;; amdgpu-corpus repo=pytorch/pytorch kind=compiled arch=gfx90a opt=O3
	.text
	.amdgcn_target "amdgcn-amd-amdhsa--gfx90a"
	.amdhsa_code_object_version 6
	.protected	_ZN2at6native28amp_update_scale_cuda_kernelEPfPiPKfddi ; -- Begin function _ZN2at6native28amp_update_scale_cuda_kernelEPfPiPKfddi
	.globl	_ZN2at6native28amp_update_scale_cuda_kernelEPfPiPKfddi
	.p2align	8
	.type	_ZN2at6native28amp_update_scale_cuda_kernelEPfPiPKfddi,@function
_ZN2at6native28amp_update_scale_cuda_kernelEPfPiPKfddi: ; @_ZN2at6native28amp_update_scale_cuda_kernelEPfPiPKfddi
; %bb.0:
	s_load_dwordx8 s[8:15], s[4:5], 0x0
	s_waitcnt lgkmcnt(0)
	s_load_dword s2, s[12:13], 0x0
	s_load_dwordx2 s[0:1], s[4:5], 0x20
	s_waitcnt lgkmcnt(0)
	v_cmp_eq_f32_e64 s[2:3], s2, 0
	s_and_b64 vcc, exec, s[2:3]
	s_cbranch_vccz .LBB0_3
; %bb.1:
	s_load_dword s2, s[10:11], 0x0
	s_load_dword s3, s[4:5], 0x28
	s_waitcnt lgkmcnt(0)
	s_add_i32 s6, s2, 1
	s_cmp_eq_u32 s6, s3
	s_mov_b64 s[2:3], 0
	s_cbranch_scc0 .LBB0_8
; %bb.2:
	s_load_dword s4, s[8:9], 0x0
	s_movk_i32 s5, 0x1f8
	s_mov_b32 s6, 0
	s_waitcnt lgkmcnt(0)
	v_cvt_f64_f32_e32 v[0:1], s4
	v_mul_f64 v[0:1], v[0:1], s[14:15]
	v_cvt_f32_f64_e32 v0, v[0:1]
	v_cmp_class_f32_e64 s[4:5], v0, s5
	s_and_b64 vcc, exec, s[2:3]
	s_cbranch_vccnz .LBB0_4
	s_branch .LBB0_5
.LBB0_3:
	s_mov_b64 s[4:5], 0
                                        ; implicit-def: $vgpr0
                                        ; implicit-def: $sgpr6
	s_cbranch_execz .LBB0_5
.LBB0_4:
	s_load_dword s2, s[8:9], 0x0
	s_mov_b64 s[4:5], -1
                                        ; implicit-def: $sgpr6
	s_waitcnt lgkmcnt(0)
	v_cvt_f64_f32_e32 v[0:1], s2
	v_mul_f64 v[0:1], v[0:1], s[0:1]
	v_cvt_f32_f64_e32 v0, v[0:1]
.LBB0_5:
	s_andn2_b64 vcc, exec, s[4:5]
	s_cbranch_vccz .LBB0_7
; %bb.6:
	v_mov_b32_e32 v0, 0
	v_mov_b32_e32 v1, s6
	global_store_dword v0, v1, s[10:11]
	s_endpgm
.LBB0_7:
	v_mov_b32_e32 v1, 0
	s_mov_b32 s6, 0
	global_store_dword v1, v0, s[8:9]
	v_mov_b32_e32 v0, 0
	v_mov_b32_e32 v1, s6
	global_store_dword v0, v1, s[10:11]
	s_endpgm
.LBB0_8:
	s_mov_b64 s[4:5], 0
                                        ; implicit-def: $vgpr0
	s_and_b64 vcc, exec, s[2:3]
	s_cbranch_vccnz .LBB0_4
	s_branch .LBB0_5
	.section	.rodata,"a",@progbits
	.p2align	6, 0x0
	.amdhsa_kernel _ZN2at6native28amp_update_scale_cuda_kernelEPfPiPKfddi
		.amdhsa_group_segment_fixed_size 0
		.amdhsa_private_segment_fixed_size 0
		.amdhsa_kernarg_size 44
		.amdhsa_user_sgpr_count 6
		.amdhsa_user_sgpr_private_segment_buffer 1
		.amdhsa_user_sgpr_dispatch_ptr 0
		.amdhsa_user_sgpr_queue_ptr 0
		.amdhsa_user_sgpr_kernarg_segment_ptr 1
		.amdhsa_user_sgpr_dispatch_id 0
		.amdhsa_user_sgpr_flat_scratch_init 0
		.amdhsa_user_sgpr_kernarg_preload_length 0
		.amdhsa_user_sgpr_kernarg_preload_offset 0
		.amdhsa_user_sgpr_private_segment_size 0
		.amdhsa_uses_dynamic_stack 0
		.amdhsa_system_sgpr_private_segment_wavefront_offset 0
		.amdhsa_system_sgpr_workgroup_id_x 1
		.amdhsa_system_sgpr_workgroup_id_y 0
		.amdhsa_system_sgpr_workgroup_id_z 0
		.amdhsa_system_sgpr_workgroup_info 0
		.amdhsa_system_vgpr_workitem_id 0
		.amdhsa_next_free_vgpr 2
		.amdhsa_next_free_sgpr 16
		.amdhsa_accum_offset 4
		.amdhsa_reserve_vcc 1
		.amdhsa_reserve_flat_scratch 0
		.amdhsa_float_round_mode_32 0
		.amdhsa_float_round_mode_16_64 0
		.amdhsa_float_denorm_mode_32 3
		.amdhsa_float_denorm_mode_16_64 3
		.amdhsa_dx10_clamp 1
		.amdhsa_ieee_mode 1
		.amdhsa_fp16_overflow 0
		.amdhsa_tg_split 0
		.amdhsa_exception_fp_ieee_invalid_op 0
		.amdhsa_exception_fp_denorm_src 0
		.amdhsa_exception_fp_ieee_div_zero 0
		.amdhsa_exception_fp_ieee_overflow 0
		.amdhsa_exception_fp_ieee_underflow 0
		.amdhsa_exception_fp_ieee_inexact 0
		.amdhsa_exception_int_div_zero 0
	.end_amdhsa_kernel
	.text
.Lfunc_end0:
	.size	_ZN2at6native28amp_update_scale_cuda_kernelEPfPiPKfddi, .Lfunc_end0-_ZN2at6native28amp_update_scale_cuda_kernelEPfPiPKfddi
                                        ; -- End function
	.section	.AMDGPU.csdata,"",@progbits
; Kernel info:
; codeLenInByte = 260
; NumSgprs: 20
; NumVgprs: 2
; NumAgprs: 0
; TotalNumVgprs: 2
; ScratchSize: 0
; MemoryBound: 0
; FloatMode: 240
; IeeeMode: 1
; LDSByteSize: 0 bytes/workgroup (compile time only)
; SGPRBlocks: 2
; VGPRBlocks: 0
; NumSGPRsForWavesPerEU: 20
; NumVGPRsForWavesPerEU: 2
; AccumOffset: 4
; Occupancy: 8
; WaveLimiterHint : 0
; COMPUTE_PGM_RSRC2:SCRATCH_EN: 0
; COMPUTE_PGM_RSRC2:USER_SGPR: 6
; COMPUTE_PGM_RSRC2:TRAP_HANDLER: 0
; COMPUTE_PGM_RSRC2:TGID_X_EN: 1
; COMPUTE_PGM_RSRC2:TGID_Y_EN: 0
; COMPUTE_PGM_RSRC2:TGID_Z_EN: 0
; COMPUTE_PGM_RSRC2:TIDIG_COMP_CNT: 0
; COMPUTE_PGM_RSRC3_GFX90A:ACCUM_OFFSET: 0
; COMPUTE_PGM_RSRC3_GFX90A:TG_SPLIT: 0
	.section	.text._ZN2at6native29vectorized_elementwise_kernelILi16EZZZNS0_12_GLOBAL__N_139_amp_non_finite_check_and_unscale_cuda_ERNS_6TensorES4_RKS3_ENKUlvE_clEvENKUlvE_clEvEUldE_St5arrayIPcLm2EEEEviT0_T1_,"axG",@progbits,_ZN2at6native29vectorized_elementwise_kernelILi16EZZZNS0_12_GLOBAL__N_139_amp_non_finite_check_and_unscale_cuda_ERNS_6TensorES4_RKS3_ENKUlvE_clEvENKUlvE_clEvEUldE_St5arrayIPcLm2EEEEviT0_T1_,comdat
	.globl	_ZN2at6native29vectorized_elementwise_kernelILi16EZZZNS0_12_GLOBAL__N_139_amp_non_finite_check_and_unscale_cuda_ERNS_6TensorES4_RKS3_ENKUlvE_clEvENKUlvE_clEvEUldE_St5arrayIPcLm2EEEEviT0_T1_ ; -- Begin function _ZN2at6native29vectorized_elementwise_kernelILi16EZZZNS0_12_GLOBAL__N_139_amp_non_finite_check_and_unscale_cuda_ERNS_6TensorES4_RKS3_ENKUlvE_clEvENKUlvE_clEvEUldE_St5arrayIPcLm2EEEEviT0_T1_
	.p2align	8
	.type	_ZN2at6native29vectorized_elementwise_kernelILi16EZZZNS0_12_GLOBAL__N_139_amp_non_finite_check_and_unscale_cuda_ERNS_6TensorES4_RKS3_ENKUlvE_clEvENKUlvE_clEvEUldE_St5arrayIPcLm2EEEEviT0_T1_,@function
_ZN2at6native29vectorized_elementwise_kernelILi16EZZZNS0_12_GLOBAL__N_139_amp_non_finite_check_and_unscale_cuda_ERNS_6TensorES4_RKS3_ENKUlvE_clEvENKUlvE_clEvEUldE_St5arrayIPcLm2EEEEviT0_T1_: ; @_ZN2at6native29vectorized_elementwise_kernelILi16EZZZNS0_12_GLOBAL__N_139_amp_non_finite_check_and_unscale_cuda_ERNS_6TensorES4_RKS3_ENKUlvE_clEvENKUlvE_clEvEUldE_St5arrayIPcLm2EEEEviT0_T1_
; %bb.0:
	s_load_dword s0, s[4:5], 0x0
	s_load_dwordx8 s[8:15], s[4:5], 0x8
	s_lshl_b32 s2, s6, 10
	s_waitcnt lgkmcnt(0)
	s_sub_i32 s6, s0, s2
	s_cmpk_gt_i32 s6, 0x3ff
	s_mov_b64 s[0:1], -1
	s_cbranch_scc0 .LBB1_10
; %bb.1:
	s_ashr_i32 s3, s2, 31
	s_lshl_b64 s[0:1], s[2:3], 3
	s_add_u32 s4, s14, s0
	s_addc_u32 s5, s15, s1
	v_lshlrev_b32_e32 v1, 5, v0
	global_load_dwordx4 v[6:9], v1, s[4:5]
	global_load_dwordx4 v[2:5], v1, s[4:5] offset:16
	s_mov_b32 s3, 0x7f800000
	v_mov_b32_e32 v10, 0
	s_waitcnt vmcnt(1)
	v_cvt_f32_f64_e32 v11, v[6:7]
	v_cmp_nlg_f32_e64 s[16:17], |v11|, s3
	s_and_saveexec_b64 s[4:5], s[16:17]
	s_cbranch_execz .LBB1_3
; %bb.2:
	v_mov_b32_e32 v11, 1.0
	global_store_dword v10, v11, s[8:9]
.LBB1_3:
	s_or_b64 exec, exec, s[4:5]
	global_load_dword v18, v10, s[10:11]
	v_cvt_f32_f64_e32 v10, v[8:9]
	v_cmp_nlg_f32_e64 s[16:17], |v10|, s3
	s_waitcnt vmcnt(0)
	v_cvt_f64_f32_e32 v[10:11], v18
	v_pk_mov_b32 v[12:13], v[10:11], v[10:11] op_sel:[0,1]
	v_mov_b32_e32 v19, v18
	s_and_saveexec_b64 s[4:5], s[16:17]
	s_cbranch_execz .LBB1_5
; %bb.4:
	v_mov_b32_e32 v12, 0
	v_mov_b32_e32 v13, 1.0
	global_store_dword v12, v13, s[8:9]
	global_load_dword v19, v12, s[10:11]
	s_waitcnt vmcnt(0)
	v_cvt_f64_f32_e32 v[12:13], v19
.LBB1_5:
	s_or_b64 exec, exec, s[4:5]
	v_cvt_f32_f64_e32 v14, v[2:3]
	v_cmp_nlg_f32_e64 s[16:17], |v14|, s3
	v_pk_mov_b32 v[14:15], v[12:13], v[12:13] op_sel:[0,1]
	v_mov_b32_e32 v20, v19
	s_and_saveexec_b64 s[4:5], s[16:17]
	s_cbranch_execz .LBB1_7
; %bb.6:
	v_mov_b32_e32 v14, 0
	v_mov_b32_e32 v15, 1.0
	global_store_dword v14, v15, s[8:9]
	global_load_dword v20, v14, s[10:11]
	s_waitcnt vmcnt(0)
	v_cvt_f64_f32_e32 v[14:15], v20
.LBB1_7:
	s_or_b64 exec, exec, s[4:5]
	v_cvt_f32_f64_e32 v16, v[4:5]
	v_cmp_nlg_f32_e64 s[16:17], |v16|, s3
	v_pk_mov_b32 v[16:17], v[14:15], v[14:15] op_sel:[0,1]
	v_mov_b32_e32 v21, v20
	s_and_saveexec_b64 s[4:5], s[16:17]
	s_cbranch_execz .LBB1_9
; %bb.8:
	v_mov_b32_e32 v16, 0
	v_mov_b32_e32 v17, 1.0
	global_store_dword v16, v17, s[8:9]
	global_load_dword v21, v16, s[10:11]
	s_waitcnt vmcnt(0)
	v_cvt_f64_f32_e32 v[16:17], v21
.LBB1_9:
	s_or_b64 exec, exec, s[4:5]
	v_mul_f64 v[14:15], v[2:3], v[14:15]
	v_cmp_eq_f32_e32 vcc, 1.0, v20
	v_cndmask_b32_e32 v3, v15, v3, vcc
	v_cndmask_b32_e32 v2, v14, v2, vcc
	v_mul_f64 v[12:13], v[8:9], v[12:13]
	v_cmp_eq_f32_e32 vcc, 1.0, v19
	v_cndmask_b32_e32 v9, v13, v9, vcc
	v_cndmask_b32_e32 v8, v12, v8, vcc
	v_mul_f64 v[10:11], v[6:7], v[10:11]
	v_cmp_eq_f32_e32 vcc, 1.0, v18
	s_add_u32 s0, s12, s0
	v_cndmask_b32_e32 v7, v11, v7, vcc
	v_cndmask_b32_e32 v6, v10, v6, vcc
	v_mul_f64 v[10:11], v[4:5], v[16:17]
	v_cmp_eq_f32_e32 vcc, 1.0, v21
	s_addc_u32 s1, s13, s1
	v_cndmask_b32_e32 v5, v11, v5, vcc
	v_cndmask_b32_e32 v4, v10, v4, vcc
	global_store_dwordx4 v1, v[6:9], s[0:1]
	global_store_dwordx4 v1, v[2:5], s[0:1] offset:16
	s_mov_b64 s[0:1], 0
.LBB1_10:
	s_and_b64 vcc, exec, s[0:1]
	s_cbranch_vccz .LBB1_37
; %bb.11:
	v_pk_mov_b32 v[14:15], 0, 0
	v_cmp_gt_i32_e32 vcc, s6, v0
	v_or_b32_e32 v10, s2, v0
	v_pk_mov_b32 v[18:19], v[14:15], v[14:15] op_sel:[0,1]
	v_mov_b32_e32 v1, v0
	s_and_saveexec_b64 s[4:5], vcc
	s_cbranch_execz .LBB1_13
; %bb.12:
	v_mov_b32_e32 v11, 0
	v_lshlrev_b64 v[2:3], 3, v[10:11]
	v_mov_b32_e32 v1, s15
	v_add_co_u32_e64 v2, s[0:1], s14, v2
	v_addc_co_u32_e64 v3, s[0:1], v1, v3, s[0:1]
	global_load_dwordx2 v[18:19], v[2:3], off
	v_or_b32_e32 v1, 0x100, v0
.LBB1_13:
	s_or_b64 exec, exec, s[4:5]
	v_cmp_gt_i32_e64 s[0:1], s6, v1
	s_and_saveexec_b64 s[4:5], s[0:1]
	s_cbranch_execz .LBB1_15
; %bb.14:
	v_add_u32_e32 v2, s2, v1
	v_mov_b32_e32 v3, 0
	v_lshlrev_b64 v[2:3], 3, v[2:3]
	v_mov_b32_e32 v4, s15
	v_add_co_u32_e64 v2, s[0:1], s14, v2
	v_addc_co_u32_e64 v3, s[0:1], v4, v3, s[0:1]
	global_load_dwordx2 v[14:15], v[2:3], off
	v_add_u32_e32 v1, 0x100, v1
.LBB1_15:
	s_or_b64 exec, exec, s[4:5]
	v_pk_mov_b32 v[12:13], 0, 0
	v_cmp_gt_i32_e64 s[0:1], s6, v1
	v_pk_mov_b32 v[16:17], v[12:13], v[12:13] op_sel:[0,1]
	s_and_saveexec_b64 s[4:5], s[0:1]
	s_cbranch_execnz .LBB1_18
; %bb.16:
	s_or_b64 exec, exec, s[4:5]
	v_cmp_gt_i32_e64 s[0:1], s6, v1
	s_and_saveexec_b64 s[4:5], s[0:1]
	s_cbranch_execnz .LBB1_19
.LBB1_17:
	s_or_b64 exec, exec, s[4:5]
                                        ; implicit-def: $vgpr2_vgpr3_vgpr4_vgpr5_vgpr6_vgpr7_vgpr8_vgpr9
	s_and_saveexec_b64 s[4:5], vcc
	s_cbranch_execnz .LBB1_20
	s_branch .LBB1_23
.LBB1_18:
	v_add_u32_e32 v2, s2, v1
	v_mov_b32_e32 v3, 0
	v_lshlrev_b64 v[2:3], 3, v[2:3]
	v_mov_b32_e32 v4, s15
	v_add_co_u32_e64 v2, s[0:1], s14, v2
	v_addc_co_u32_e64 v3, s[0:1], v4, v3, s[0:1]
	global_load_dwordx2 v[16:17], v[2:3], off
	v_add_u32_e32 v1, 0x100, v1
	s_or_b64 exec, exec, s[4:5]
	v_cmp_gt_i32_e64 s[0:1], s6, v1
	s_and_saveexec_b64 s[4:5], s[0:1]
	s_cbranch_execz .LBB1_17
.LBB1_19:
	v_add_u32_e32 v2, s2, v1
	v_mov_b32_e32 v3, 0
	v_lshlrev_b64 v[2:3], 3, v[2:3]
	v_mov_b32_e32 v1, s15
	v_add_co_u32_e64 v2, s[0:1], s14, v2
	v_addc_co_u32_e64 v3, s[0:1], v1, v3, s[0:1]
	global_load_dwordx2 v[12:13], v[2:3], off
	s_or_b64 exec, exec, s[4:5]
                                        ; implicit-def: $vgpr2_vgpr3_vgpr4_vgpr5_vgpr6_vgpr7_vgpr8_vgpr9
	s_and_saveexec_b64 s[4:5], vcc
	s_cbranch_execz .LBB1_23
.LBB1_20:
	s_waitcnt vmcnt(0)
	v_cvt_f32_f64_e32 v1, v[18:19]
	s_mov_b32 s0, 0x7f800000
	v_cmp_nlg_f32_e64 s[14:15], |v1|, s0
	s_and_saveexec_b64 s[0:1], s[14:15]
	s_cbranch_execz .LBB1_22
; %bb.21:
	v_mov_b32_e32 v1, 0
	v_mov_b32_e32 v2, 1.0
	global_store_dword v1, v2, s[8:9]
.LBB1_22:
	s_or_b64 exec, exec, s[0:1]
	v_mov_b32_e32 v1, 0
	global_load_dword v1, v1, s[10:11]
	s_waitcnt vmcnt(0)
	v_cvt_f64_f32_e32 v[2:3], v1
	v_mul_f64 v[2:3], v[18:19], v[2:3]
	v_cmp_eq_f32_e64 s[0:1], 1.0, v1
	v_cndmask_b32_e64 v3, v3, v19, s[0:1]
	v_cndmask_b32_e64 v2, v2, v18, s[0:1]
.LBB1_23:
	s_or_b64 exec, exec, s[4:5]
	v_or_b32_e32 v1, 0x100, v0
	v_cmp_gt_i32_e64 s[0:1], s6, v1
	s_and_saveexec_b64 s[4:5], s[0:1]
	s_cbranch_execz .LBB1_27
; %bb.24:
	s_waitcnt vmcnt(0)
	v_cvt_f32_f64_e32 v4, v[14:15]
	s_mov_b32 s0, 0x7f800000
	v_cmp_nlg_f32_e64 s[14:15], |v4|, s0
	s_and_saveexec_b64 s[0:1], s[14:15]
	s_cbranch_execz .LBB1_26
; %bb.25:
	v_mov_b32_e32 v4, 0
	v_mov_b32_e32 v5, 1.0
	global_store_dword v4, v5, s[8:9]
.LBB1_26:
	s_or_b64 exec, exec, s[0:1]
	v_mov_b32_e32 v4, 0
	global_load_dword v11, v4, s[10:11]
	s_waitcnt vmcnt(0)
	v_cvt_f64_f32_e32 v[4:5], v11
	v_mul_f64 v[4:5], v[14:15], v[4:5]
	v_cmp_eq_f32_e64 s[0:1], 1.0, v11
	v_cndmask_b32_e64 v5, v5, v15, s[0:1]
	v_cndmask_b32_e64 v4, v4, v14, s[0:1]
.LBB1_27:
	s_or_b64 exec, exec, s[4:5]
	v_or_b32_e32 v11, 0x200, v0
	v_cmp_gt_i32_e64 s[0:1], s6, v11
	s_and_saveexec_b64 s[4:5], s[0:1]
	s_cbranch_execz .LBB1_31
; %bb.28:
	s_waitcnt vmcnt(0)
	v_cvt_f32_f64_e32 v6, v[16:17]
	s_mov_b32 s0, 0x7f800000
	v_cmp_nlg_f32_e64 s[14:15], |v6|, s0
	s_and_saveexec_b64 s[0:1], s[14:15]
	s_cbranch_execz .LBB1_30
; %bb.29:
	v_mov_b32_e32 v6, 0
	v_mov_b32_e32 v7, 1.0
	global_store_dword v6, v7, s[8:9]
.LBB1_30:
	s_or_b64 exec, exec, s[0:1]
	v_mov_b32_e32 v6, 0
	global_load_dword v11, v6, s[10:11]
	s_waitcnt vmcnt(0)
	v_cvt_f64_f32_e32 v[6:7], v11
	v_mul_f64 v[6:7], v[16:17], v[6:7]
	v_cmp_eq_f32_e64 s[0:1], 1.0, v11
	v_cndmask_b32_e64 v7, v7, v17, s[0:1]
	v_cndmask_b32_e64 v6, v6, v16, s[0:1]
.LBB1_31:
	s_or_b64 exec, exec, s[4:5]
	v_or_b32_e32 v11, 0x300, v0
	v_cmp_gt_i32_e64 s[0:1], s6, v11
	s_and_saveexec_b64 s[4:5], s[0:1]
	s_cbranch_execnz .LBB1_38
; %bb.32:
	s_or_b64 exec, exec, s[4:5]
	s_and_saveexec_b64 s[0:1], vcc
	s_xor_b64 s[0:1], exec, s[0:1]
	s_cbranch_execnz .LBB1_41
.LBB1_33:
	s_or_b64 exec, exec, s[0:1]
	v_cmp_gt_i32_e32 vcc, s6, v0
	s_and_saveexec_b64 s[0:1], vcc
	s_cbranch_execnz .LBB1_42
.LBB1_34:
	s_or_b64 exec, exec, s[0:1]
	v_cmp_gt_i32_e32 vcc, s6, v0
	s_and_saveexec_b64 s[0:1], vcc
	s_cbranch_execnz .LBB1_43
.LBB1_35:
	s_or_b64 exec, exec, s[0:1]
	v_cmp_gt_i32_e32 vcc, s6, v0
	s_and_saveexec_b64 s[0:1], vcc
	s_cbranch_execz .LBB1_37
.LBB1_36:
	v_add_u32_e32 v0, s2, v0
	v_mov_b32_e32 v1, 0
	v_lshlrev_b64 v[0:1], 3, v[0:1]
	v_mov_b32_e32 v2, s13
	v_add_co_u32_e32 v0, vcc, s12, v0
	v_addc_co_u32_e32 v1, vcc, v2, v1, vcc
	global_store_dwordx2 v[0:1], v[8:9], off
.LBB1_37:
	s_endpgm
.LBB1_38:
	s_waitcnt vmcnt(0)
	v_cvt_f32_f64_e32 v8, v[12:13]
	s_mov_b32 s0, 0x7f800000
	v_cmp_nlg_f32_e64 s[14:15], |v8|, s0
	s_and_saveexec_b64 s[0:1], s[14:15]
	s_cbranch_execz .LBB1_40
; %bb.39:
	v_mov_b32_e32 v8, 0
	v_mov_b32_e32 v9, 1.0
	global_store_dword v8, v9, s[8:9]
.LBB1_40:
	s_or_b64 exec, exec, s[0:1]
	v_mov_b32_e32 v8, 0
	global_load_dword v11, v8, s[10:11]
	s_waitcnt vmcnt(0)
	v_cvt_f64_f32_e32 v[8:9], v11
	v_mul_f64 v[8:9], v[12:13], v[8:9]
	v_cmp_eq_f32_e64 s[0:1], 1.0, v11
	v_cndmask_b32_e64 v9, v9, v13, s[0:1]
	v_cndmask_b32_e64 v8, v8, v12, s[0:1]
	s_or_b64 exec, exec, s[4:5]
	s_and_saveexec_b64 s[0:1], vcc
	s_xor_b64 s[0:1], exec, s[0:1]
	s_cbranch_execz .LBB1_33
.LBB1_41:
	v_mov_b32_e32 v11, 0
	v_lshlrev_b64 v[10:11], 3, v[10:11]
	v_mov_b32_e32 v0, s13
	v_add_co_u32_e32 v10, vcc, s12, v10
	v_addc_co_u32_e32 v11, vcc, v0, v11, vcc
	v_mov_b32_e32 v0, v1
	global_store_dwordx2 v[10:11], v[2:3], off
	s_or_b64 exec, exec, s[0:1]
	v_cmp_gt_i32_e32 vcc, s6, v0
	s_and_saveexec_b64 s[0:1], vcc
	s_cbranch_execz .LBB1_34
.LBB1_42:
	v_add_u32_e32 v2, s2, v0
	v_mov_b32_e32 v3, 0
	v_lshlrev_b64 v[2:3], 3, v[2:3]
	v_mov_b32_e32 v1, s13
	v_add_co_u32_e32 v2, vcc, s12, v2
	v_addc_co_u32_e32 v3, vcc, v1, v3, vcc
	v_add_u32_e32 v0, 0x100, v0
	global_store_dwordx2 v[2:3], v[4:5], off
	s_or_b64 exec, exec, s[0:1]
	v_cmp_gt_i32_e32 vcc, s6, v0
	s_and_saveexec_b64 s[0:1], vcc
	s_cbranch_execz .LBB1_35
.LBB1_43:
	v_add_u32_e32 v2, s2, v0
	v_mov_b32_e32 v3, 0
	v_lshlrev_b64 v[2:3], 3, v[2:3]
	v_mov_b32_e32 v1, s13
	v_add_co_u32_e32 v2, vcc, s12, v2
	v_addc_co_u32_e32 v3, vcc, v1, v3, vcc
	v_add_u32_e32 v0, 0x100, v0
	global_store_dwordx2 v[2:3], v[6:7], off
	s_or_b64 exec, exec, s[0:1]
	v_cmp_gt_i32_e32 vcc, s6, v0
	s_and_saveexec_b64 s[0:1], vcc
	s_cbranch_execnz .LBB1_36
	s_branch .LBB1_37
	.section	.rodata,"a",@progbits
	.p2align	6, 0x0
	.amdhsa_kernel _ZN2at6native29vectorized_elementwise_kernelILi16EZZZNS0_12_GLOBAL__N_139_amp_non_finite_check_and_unscale_cuda_ERNS_6TensorES4_RKS3_ENKUlvE_clEvENKUlvE_clEvEUldE_St5arrayIPcLm2EEEEviT0_T1_
		.amdhsa_group_segment_fixed_size 0
		.amdhsa_private_segment_fixed_size 0
		.amdhsa_kernarg_size 40
		.amdhsa_user_sgpr_count 6
		.amdhsa_user_sgpr_private_segment_buffer 1
		.amdhsa_user_sgpr_dispatch_ptr 0
		.amdhsa_user_sgpr_queue_ptr 0
		.amdhsa_user_sgpr_kernarg_segment_ptr 1
		.amdhsa_user_sgpr_dispatch_id 0
		.amdhsa_user_sgpr_flat_scratch_init 0
		.amdhsa_user_sgpr_kernarg_preload_length 0
		.amdhsa_user_sgpr_kernarg_preload_offset 0
		.amdhsa_user_sgpr_private_segment_size 0
		.amdhsa_uses_dynamic_stack 0
		.amdhsa_system_sgpr_private_segment_wavefront_offset 0
		.amdhsa_system_sgpr_workgroup_id_x 1
		.amdhsa_system_sgpr_workgroup_id_y 0
		.amdhsa_system_sgpr_workgroup_id_z 0
		.amdhsa_system_sgpr_workgroup_info 0
		.amdhsa_system_vgpr_workitem_id 0
		.amdhsa_next_free_vgpr 22
		.amdhsa_next_free_sgpr 18
		.amdhsa_accum_offset 24
		.amdhsa_reserve_vcc 1
		.amdhsa_reserve_flat_scratch 0
		.amdhsa_float_round_mode_32 0
		.amdhsa_float_round_mode_16_64 0
		.amdhsa_float_denorm_mode_32 3
		.amdhsa_float_denorm_mode_16_64 3
		.amdhsa_dx10_clamp 1
		.amdhsa_ieee_mode 1
		.amdhsa_fp16_overflow 0
		.amdhsa_tg_split 0
		.amdhsa_exception_fp_ieee_invalid_op 0
		.amdhsa_exception_fp_denorm_src 0
		.amdhsa_exception_fp_ieee_div_zero 0
		.amdhsa_exception_fp_ieee_overflow 0
		.amdhsa_exception_fp_ieee_underflow 0
		.amdhsa_exception_fp_ieee_inexact 0
		.amdhsa_exception_int_div_zero 0
	.end_amdhsa_kernel
	.section	.text._ZN2at6native29vectorized_elementwise_kernelILi16EZZZNS0_12_GLOBAL__N_139_amp_non_finite_check_and_unscale_cuda_ERNS_6TensorES4_RKS3_ENKUlvE_clEvENKUlvE_clEvEUldE_St5arrayIPcLm2EEEEviT0_T1_,"axG",@progbits,_ZN2at6native29vectorized_elementwise_kernelILi16EZZZNS0_12_GLOBAL__N_139_amp_non_finite_check_and_unscale_cuda_ERNS_6TensorES4_RKS3_ENKUlvE_clEvENKUlvE_clEvEUldE_St5arrayIPcLm2EEEEviT0_T1_,comdat
.Lfunc_end1:
	.size	_ZN2at6native29vectorized_elementwise_kernelILi16EZZZNS0_12_GLOBAL__N_139_amp_non_finite_check_and_unscale_cuda_ERNS_6TensorES4_RKS3_ENKUlvE_clEvENKUlvE_clEvEUldE_St5arrayIPcLm2EEEEviT0_T1_, .Lfunc_end1-_ZN2at6native29vectorized_elementwise_kernelILi16EZZZNS0_12_GLOBAL__N_139_amp_non_finite_check_and_unscale_cuda_ERNS_6TensorES4_RKS3_ENKUlvE_clEvENKUlvE_clEvEUldE_St5arrayIPcLm2EEEEviT0_T1_
                                        ; -- End function
	.section	.AMDGPU.csdata,"",@progbits
; Kernel info:
; codeLenInByte = 1616
; NumSgprs: 22
; NumVgprs: 22
; NumAgprs: 0
; TotalNumVgprs: 22
; ScratchSize: 0
; MemoryBound: 1
; FloatMode: 240
; IeeeMode: 1
; LDSByteSize: 0 bytes/workgroup (compile time only)
; SGPRBlocks: 2
; VGPRBlocks: 2
; NumSGPRsForWavesPerEU: 22
; NumVGPRsForWavesPerEU: 22
; AccumOffset: 24
; Occupancy: 8
; WaveLimiterHint : 0
; COMPUTE_PGM_RSRC2:SCRATCH_EN: 0
; COMPUTE_PGM_RSRC2:USER_SGPR: 6
; COMPUTE_PGM_RSRC2:TRAP_HANDLER: 0
; COMPUTE_PGM_RSRC2:TGID_X_EN: 1
; COMPUTE_PGM_RSRC2:TGID_Y_EN: 0
; COMPUTE_PGM_RSRC2:TGID_Z_EN: 0
; COMPUTE_PGM_RSRC2:TIDIG_COMP_CNT: 0
; COMPUTE_PGM_RSRC3_GFX90A:ACCUM_OFFSET: 5
; COMPUTE_PGM_RSRC3_GFX90A:TG_SPLIT: 0
	.section	.text._ZN2at6native29vectorized_elementwise_kernelILi8EZZZNS0_12_GLOBAL__N_139_amp_non_finite_check_and_unscale_cuda_ERNS_6TensorES4_RKS3_ENKUlvE_clEvENKUlvE_clEvEUldE_St5arrayIPcLm2EEEEviT0_T1_,"axG",@progbits,_ZN2at6native29vectorized_elementwise_kernelILi8EZZZNS0_12_GLOBAL__N_139_amp_non_finite_check_and_unscale_cuda_ERNS_6TensorES4_RKS3_ENKUlvE_clEvENKUlvE_clEvEUldE_St5arrayIPcLm2EEEEviT0_T1_,comdat
	.globl	_ZN2at6native29vectorized_elementwise_kernelILi8EZZZNS0_12_GLOBAL__N_139_amp_non_finite_check_and_unscale_cuda_ERNS_6TensorES4_RKS3_ENKUlvE_clEvENKUlvE_clEvEUldE_St5arrayIPcLm2EEEEviT0_T1_ ; -- Begin function _ZN2at6native29vectorized_elementwise_kernelILi8EZZZNS0_12_GLOBAL__N_139_amp_non_finite_check_and_unscale_cuda_ERNS_6TensorES4_RKS3_ENKUlvE_clEvENKUlvE_clEvEUldE_St5arrayIPcLm2EEEEviT0_T1_
	.p2align	8
	.type	_ZN2at6native29vectorized_elementwise_kernelILi8EZZZNS0_12_GLOBAL__N_139_amp_non_finite_check_and_unscale_cuda_ERNS_6TensorES4_RKS3_ENKUlvE_clEvENKUlvE_clEvEUldE_St5arrayIPcLm2EEEEviT0_T1_,@function
_ZN2at6native29vectorized_elementwise_kernelILi8EZZZNS0_12_GLOBAL__N_139_amp_non_finite_check_and_unscale_cuda_ERNS_6TensorES4_RKS3_ENKUlvE_clEvENKUlvE_clEvEUldE_St5arrayIPcLm2EEEEviT0_T1_: ; @_ZN2at6native29vectorized_elementwise_kernelILi8EZZZNS0_12_GLOBAL__N_139_amp_non_finite_check_and_unscale_cuda_ERNS_6TensorES4_RKS3_ENKUlvE_clEvENKUlvE_clEvEUldE_St5arrayIPcLm2EEEEviT0_T1_
; %bb.0:
	s_load_dword s0, s[4:5], 0x0
	s_load_dwordx8 s[8:15], s[4:5], 0x8
	s_lshl_b32 s2, s6, 10
	s_waitcnt lgkmcnt(0)
	s_sub_i32 s6, s0, s2
	s_cmpk_gt_i32 s6, 0x3ff
	s_mov_b64 s[0:1], -1
	s_cbranch_scc0 .LBB2_10
; %bb.1:
	s_ashr_i32 s3, s2, 31
	s_lshl_b64 s[0:1], s[2:3], 3
	s_add_u32 s4, s14, s0
	s_addc_u32 s5, s15, s1
	v_lshlrev_b32_e32 v1, 5, v0
	global_load_dwordx4 v[6:9], v1, s[4:5]
	global_load_dwordx4 v[2:5], v1, s[4:5] offset:16
	s_mov_b32 s3, 0x7f800000
	v_mov_b32_e32 v10, 0
	s_waitcnt vmcnt(1)
	v_cvt_f32_f64_e32 v11, v[6:7]
	v_cmp_nlg_f32_e64 s[16:17], |v11|, s3
	s_and_saveexec_b64 s[4:5], s[16:17]
	s_cbranch_execz .LBB2_3
; %bb.2:
	v_mov_b32_e32 v11, 1.0
	global_store_dword v10, v11, s[8:9]
.LBB2_3:
	s_or_b64 exec, exec, s[4:5]
	global_load_dword v18, v10, s[10:11]
	v_cvt_f32_f64_e32 v10, v[8:9]
	v_cmp_nlg_f32_e64 s[16:17], |v10|, s3
	s_waitcnt vmcnt(0)
	v_cvt_f64_f32_e32 v[10:11], v18
	v_pk_mov_b32 v[12:13], v[10:11], v[10:11] op_sel:[0,1]
	v_mov_b32_e32 v19, v18
	s_and_saveexec_b64 s[4:5], s[16:17]
	s_cbranch_execz .LBB2_5
; %bb.4:
	v_mov_b32_e32 v12, 0
	v_mov_b32_e32 v13, 1.0
	global_store_dword v12, v13, s[8:9]
	global_load_dword v19, v12, s[10:11]
	s_waitcnt vmcnt(0)
	v_cvt_f64_f32_e32 v[12:13], v19
.LBB2_5:
	s_or_b64 exec, exec, s[4:5]
	v_cvt_f32_f64_e32 v14, v[2:3]
	v_cmp_nlg_f32_e64 s[16:17], |v14|, s3
	v_pk_mov_b32 v[14:15], v[12:13], v[12:13] op_sel:[0,1]
	v_mov_b32_e32 v20, v19
	s_and_saveexec_b64 s[4:5], s[16:17]
	s_cbranch_execz .LBB2_7
; %bb.6:
	v_mov_b32_e32 v14, 0
	v_mov_b32_e32 v15, 1.0
	global_store_dword v14, v15, s[8:9]
	global_load_dword v20, v14, s[10:11]
	s_waitcnt vmcnt(0)
	v_cvt_f64_f32_e32 v[14:15], v20
.LBB2_7:
	s_or_b64 exec, exec, s[4:5]
	v_cvt_f32_f64_e32 v16, v[4:5]
	v_cmp_nlg_f32_e64 s[16:17], |v16|, s3
	v_pk_mov_b32 v[16:17], v[14:15], v[14:15] op_sel:[0,1]
	v_mov_b32_e32 v21, v20
	s_and_saveexec_b64 s[4:5], s[16:17]
	s_cbranch_execz .LBB2_9
; %bb.8:
	v_mov_b32_e32 v16, 0
	v_mov_b32_e32 v17, 1.0
	global_store_dword v16, v17, s[8:9]
	global_load_dword v21, v16, s[10:11]
	s_waitcnt vmcnt(0)
	v_cvt_f64_f32_e32 v[16:17], v21
.LBB2_9:
	s_or_b64 exec, exec, s[4:5]
	v_mul_f64 v[14:15], v[2:3], v[14:15]
	v_cmp_eq_f32_e32 vcc, 1.0, v20
	v_cndmask_b32_e32 v3, v15, v3, vcc
	v_cndmask_b32_e32 v2, v14, v2, vcc
	v_mul_f64 v[12:13], v[8:9], v[12:13]
	v_cmp_eq_f32_e32 vcc, 1.0, v19
	v_cndmask_b32_e32 v9, v13, v9, vcc
	v_cndmask_b32_e32 v8, v12, v8, vcc
	v_mul_f64 v[10:11], v[6:7], v[10:11]
	v_cmp_eq_f32_e32 vcc, 1.0, v18
	s_add_u32 s0, s12, s0
	v_cndmask_b32_e32 v7, v11, v7, vcc
	v_cndmask_b32_e32 v6, v10, v6, vcc
	v_mul_f64 v[10:11], v[4:5], v[16:17]
	v_cmp_eq_f32_e32 vcc, 1.0, v21
	s_addc_u32 s1, s13, s1
	v_cndmask_b32_e32 v5, v11, v5, vcc
	v_cndmask_b32_e32 v4, v10, v4, vcc
	global_store_dwordx4 v1, v[6:9], s[0:1]
	global_store_dwordx4 v1, v[2:5], s[0:1] offset:16
	s_mov_b64 s[0:1], 0
.LBB2_10:
	s_and_b64 vcc, exec, s[0:1]
	s_cbranch_vccz .LBB2_37
; %bb.11:
	v_pk_mov_b32 v[14:15], 0, 0
	v_cmp_gt_i32_e32 vcc, s6, v0
	v_or_b32_e32 v10, s2, v0
	v_pk_mov_b32 v[18:19], v[14:15], v[14:15] op_sel:[0,1]
	v_mov_b32_e32 v1, v0
	s_and_saveexec_b64 s[4:5], vcc
	s_cbranch_execz .LBB2_13
; %bb.12:
	v_mov_b32_e32 v11, 0
	v_lshlrev_b64 v[2:3], 3, v[10:11]
	v_mov_b32_e32 v1, s15
	v_add_co_u32_e64 v2, s[0:1], s14, v2
	v_addc_co_u32_e64 v3, s[0:1], v1, v3, s[0:1]
	global_load_dwordx2 v[18:19], v[2:3], off
	v_or_b32_e32 v1, 0x100, v0
.LBB2_13:
	s_or_b64 exec, exec, s[4:5]
	v_cmp_gt_i32_e64 s[0:1], s6, v1
	s_and_saveexec_b64 s[4:5], s[0:1]
	s_cbranch_execz .LBB2_15
; %bb.14:
	v_add_u32_e32 v2, s2, v1
	v_mov_b32_e32 v3, 0
	v_lshlrev_b64 v[2:3], 3, v[2:3]
	v_mov_b32_e32 v4, s15
	v_add_co_u32_e64 v2, s[0:1], s14, v2
	v_addc_co_u32_e64 v3, s[0:1], v4, v3, s[0:1]
	global_load_dwordx2 v[14:15], v[2:3], off
	v_add_u32_e32 v1, 0x100, v1
.LBB2_15:
	s_or_b64 exec, exec, s[4:5]
	v_pk_mov_b32 v[12:13], 0, 0
	v_cmp_gt_i32_e64 s[0:1], s6, v1
	v_pk_mov_b32 v[16:17], v[12:13], v[12:13] op_sel:[0,1]
	s_and_saveexec_b64 s[4:5], s[0:1]
	s_cbranch_execnz .LBB2_18
; %bb.16:
	s_or_b64 exec, exec, s[4:5]
	v_cmp_gt_i32_e64 s[0:1], s6, v1
	s_and_saveexec_b64 s[4:5], s[0:1]
	s_cbranch_execnz .LBB2_19
.LBB2_17:
	s_or_b64 exec, exec, s[4:5]
                                        ; implicit-def: $vgpr2_vgpr3_vgpr4_vgpr5_vgpr6_vgpr7_vgpr8_vgpr9
	s_and_saveexec_b64 s[4:5], vcc
	s_cbranch_execnz .LBB2_20
	s_branch .LBB2_23
.LBB2_18:
	v_add_u32_e32 v2, s2, v1
	v_mov_b32_e32 v3, 0
	v_lshlrev_b64 v[2:3], 3, v[2:3]
	v_mov_b32_e32 v4, s15
	v_add_co_u32_e64 v2, s[0:1], s14, v2
	v_addc_co_u32_e64 v3, s[0:1], v4, v3, s[0:1]
	global_load_dwordx2 v[16:17], v[2:3], off
	v_add_u32_e32 v1, 0x100, v1
	s_or_b64 exec, exec, s[4:5]
	v_cmp_gt_i32_e64 s[0:1], s6, v1
	s_and_saveexec_b64 s[4:5], s[0:1]
	s_cbranch_execz .LBB2_17
.LBB2_19:
	v_add_u32_e32 v2, s2, v1
	v_mov_b32_e32 v3, 0
	v_lshlrev_b64 v[2:3], 3, v[2:3]
	v_mov_b32_e32 v1, s15
	v_add_co_u32_e64 v2, s[0:1], s14, v2
	v_addc_co_u32_e64 v3, s[0:1], v1, v3, s[0:1]
	global_load_dwordx2 v[12:13], v[2:3], off
	s_or_b64 exec, exec, s[4:5]
                                        ; implicit-def: $vgpr2_vgpr3_vgpr4_vgpr5_vgpr6_vgpr7_vgpr8_vgpr9
	s_and_saveexec_b64 s[4:5], vcc
	s_cbranch_execz .LBB2_23
.LBB2_20:
	s_waitcnt vmcnt(0)
	v_cvt_f32_f64_e32 v1, v[18:19]
	s_mov_b32 s0, 0x7f800000
	v_cmp_nlg_f32_e64 s[14:15], |v1|, s0
	s_and_saveexec_b64 s[0:1], s[14:15]
	s_cbranch_execz .LBB2_22
; %bb.21:
	v_mov_b32_e32 v1, 0
	v_mov_b32_e32 v2, 1.0
	global_store_dword v1, v2, s[8:9]
.LBB2_22:
	s_or_b64 exec, exec, s[0:1]
	v_mov_b32_e32 v1, 0
	global_load_dword v1, v1, s[10:11]
	s_waitcnt vmcnt(0)
	v_cvt_f64_f32_e32 v[2:3], v1
	v_mul_f64 v[2:3], v[18:19], v[2:3]
	v_cmp_eq_f32_e64 s[0:1], 1.0, v1
	v_cndmask_b32_e64 v3, v3, v19, s[0:1]
	v_cndmask_b32_e64 v2, v2, v18, s[0:1]
.LBB2_23:
	s_or_b64 exec, exec, s[4:5]
	v_or_b32_e32 v1, 0x100, v0
	v_cmp_gt_i32_e64 s[0:1], s6, v1
	s_and_saveexec_b64 s[4:5], s[0:1]
	s_cbranch_execz .LBB2_27
; %bb.24:
	s_waitcnt vmcnt(0)
	v_cvt_f32_f64_e32 v4, v[14:15]
	s_mov_b32 s0, 0x7f800000
	v_cmp_nlg_f32_e64 s[14:15], |v4|, s0
	s_and_saveexec_b64 s[0:1], s[14:15]
	s_cbranch_execz .LBB2_26
; %bb.25:
	v_mov_b32_e32 v4, 0
	v_mov_b32_e32 v5, 1.0
	global_store_dword v4, v5, s[8:9]
.LBB2_26:
	s_or_b64 exec, exec, s[0:1]
	v_mov_b32_e32 v4, 0
	global_load_dword v11, v4, s[10:11]
	s_waitcnt vmcnt(0)
	v_cvt_f64_f32_e32 v[4:5], v11
	v_mul_f64 v[4:5], v[14:15], v[4:5]
	v_cmp_eq_f32_e64 s[0:1], 1.0, v11
	v_cndmask_b32_e64 v5, v5, v15, s[0:1]
	v_cndmask_b32_e64 v4, v4, v14, s[0:1]
.LBB2_27:
	s_or_b64 exec, exec, s[4:5]
	v_or_b32_e32 v11, 0x200, v0
	v_cmp_gt_i32_e64 s[0:1], s6, v11
	s_and_saveexec_b64 s[4:5], s[0:1]
	s_cbranch_execz .LBB2_31
; %bb.28:
	s_waitcnt vmcnt(0)
	v_cvt_f32_f64_e32 v6, v[16:17]
	s_mov_b32 s0, 0x7f800000
	v_cmp_nlg_f32_e64 s[14:15], |v6|, s0
	s_and_saveexec_b64 s[0:1], s[14:15]
	s_cbranch_execz .LBB2_30
; %bb.29:
	v_mov_b32_e32 v6, 0
	v_mov_b32_e32 v7, 1.0
	global_store_dword v6, v7, s[8:9]
.LBB2_30:
	s_or_b64 exec, exec, s[0:1]
	v_mov_b32_e32 v6, 0
	global_load_dword v11, v6, s[10:11]
	s_waitcnt vmcnt(0)
	v_cvt_f64_f32_e32 v[6:7], v11
	v_mul_f64 v[6:7], v[16:17], v[6:7]
	v_cmp_eq_f32_e64 s[0:1], 1.0, v11
	v_cndmask_b32_e64 v7, v7, v17, s[0:1]
	v_cndmask_b32_e64 v6, v6, v16, s[0:1]
.LBB2_31:
	s_or_b64 exec, exec, s[4:5]
	v_or_b32_e32 v11, 0x300, v0
	v_cmp_gt_i32_e64 s[0:1], s6, v11
	s_and_saveexec_b64 s[4:5], s[0:1]
	s_cbranch_execnz .LBB2_38
; %bb.32:
	s_or_b64 exec, exec, s[4:5]
	s_and_saveexec_b64 s[0:1], vcc
	s_xor_b64 s[0:1], exec, s[0:1]
	s_cbranch_execnz .LBB2_41
.LBB2_33:
	s_or_b64 exec, exec, s[0:1]
	v_cmp_gt_i32_e32 vcc, s6, v0
	s_and_saveexec_b64 s[0:1], vcc
	s_cbranch_execnz .LBB2_42
.LBB2_34:
	s_or_b64 exec, exec, s[0:1]
	v_cmp_gt_i32_e32 vcc, s6, v0
	s_and_saveexec_b64 s[0:1], vcc
	s_cbranch_execnz .LBB2_43
.LBB2_35:
	s_or_b64 exec, exec, s[0:1]
	v_cmp_gt_i32_e32 vcc, s6, v0
	s_and_saveexec_b64 s[0:1], vcc
	s_cbranch_execz .LBB2_37
.LBB2_36:
	v_add_u32_e32 v0, s2, v0
	v_mov_b32_e32 v1, 0
	v_lshlrev_b64 v[0:1], 3, v[0:1]
	v_mov_b32_e32 v2, s13
	v_add_co_u32_e32 v0, vcc, s12, v0
	v_addc_co_u32_e32 v1, vcc, v2, v1, vcc
	global_store_dwordx2 v[0:1], v[8:9], off
.LBB2_37:
	s_endpgm
.LBB2_38:
	s_waitcnt vmcnt(0)
	v_cvt_f32_f64_e32 v8, v[12:13]
	s_mov_b32 s0, 0x7f800000
	v_cmp_nlg_f32_e64 s[14:15], |v8|, s0
	s_and_saveexec_b64 s[0:1], s[14:15]
	s_cbranch_execz .LBB2_40
; %bb.39:
	v_mov_b32_e32 v8, 0
	v_mov_b32_e32 v9, 1.0
	global_store_dword v8, v9, s[8:9]
.LBB2_40:
	s_or_b64 exec, exec, s[0:1]
	v_mov_b32_e32 v8, 0
	global_load_dword v11, v8, s[10:11]
	s_waitcnt vmcnt(0)
	v_cvt_f64_f32_e32 v[8:9], v11
	v_mul_f64 v[8:9], v[12:13], v[8:9]
	v_cmp_eq_f32_e64 s[0:1], 1.0, v11
	v_cndmask_b32_e64 v9, v9, v13, s[0:1]
	v_cndmask_b32_e64 v8, v8, v12, s[0:1]
	s_or_b64 exec, exec, s[4:5]
	s_and_saveexec_b64 s[0:1], vcc
	s_xor_b64 s[0:1], exec, s[0:1]
	s_cbranch_execz .LBB2_33
.LBB2_41:
	v_mov_b32_e32 v11, 0
	v_lshlrev_b64 v[10:11], 3, v[10:11]
	v_mov_b32_e32 v0, s13
	v_add_co_u32_e32 v10, vcc, s12, v10
	v_addc_co_u32_e32 v11, vcc, v0, v11, vcc
	v_mov_b32_e32 v0, v1
	global_store_dwordx2 v[10:11], v[2:3], off
	s_or_b64 exec, exec, s[0:1]
	v_cmp_gt_i32_e32 vcc, s6, v0
	s_and_saveexec_b64 s[0:1], vcc
	s_cbranch_execz .LBB2_34
.LBB2_42:
	v_add_u32_e32 v2, s2, v0
	v_mov_b32_e32 v3, 0
	v_lshlrev_b64 v[2:3], 3, v[2:3]
	v_mov_b32_e32 v1, s13
	v_add_co_u32_e32 v2, vcc, s12, v2
	v_addc_co_u32_e32 v3, vcc, v1, v3, vcc
	v_add_u32_e32 v0, 0x100, v0
	global_store_dwordx2 v[2:3], v[4:5], off
	s_or_b64 exec, exec, s[0:1]
	v_cmp_gt_i32_e32 vcc, s6, v0
	s_and_saveexec_b64 s[0:1], vcc
	s_cbranch_execz .LBB2_35
.LBB2_43:
	v_add_u32_e32 v2, s2, v0
	v_mov_b32_e32 v3, 0
	v_lshlrev_b64 v[2:3], 3, v[2:3]
	v_mov_b32_e32 v1, s13
	v_add_co_u32_e32 v2, vcc, s12, v2
	v_addc_co_u32_e32 v3, vcc, v1, v3, vcc
	v_add_u32_e32 v0, 0x100, v0
	global_store_dwordx2 v[2:3], v[6:7], off
	s_or_b64 exec, exec, s[0:1]
	v_cmp_gt_i32_e32 vcc, s6, v0
	s_and_saveexec_b64 s[0:1], vcc
	s_cbranch_execnz .LBB2_36
	s_branch .LBB2_37
	.section	.rodata,"a",@progbits
	.p2align	6, 0x0
	.amdhsa_kernel _ZN2at6native29vectorized_elementwise_kernelILi8EZZZNS0_12_GLOBAL__N_139_amp_non_finite_check_and_unscale_cuda_ERNS_6TensorES4_RKS3_ENKUlvE_clEvENKUlvE_clEvEUldE_St5arrayIPcLm2EEEEviT0_T1_
		.amdhsa_group_segment_fixed_size 0
		.amdhsa_private_segment_fixed_size 0
		.amdhsa_kernarg_size 40
		.amdhsa_user_sgpr_count 6
		.amdhsa_user_sgpr_private_segment_buffer 1
		.amdhsa_user_sgpr_dispatch_ptr 0
		.amdhsa_user_sgpr_queue_ptr 0
		.amdhsa_user_sgpr_kernarg_segment_ptr 1
		.amdhsa_user_sgpr_dispatch_id 0
		.amdhsa_user_sgpr_flat_scratch_init 0
		.amdhsa_user_sgpr_kernarg_preload_length 0
		.amdhsa_user_sgpr_kernarg_preload_offset 0
		.amdhsa_user_sgpr_private_segment_size 0
		.amdhsa_uses_dynamic_stack 0
		.amdhsa_system_sgpr_private_segment_wavefront_offset 0
		.amdhsa_system_sgpr_workgroup_id_x 1
		.amdhsa_system_sgpr_workgroup_id_y 0
		.amdhsa_system_sgpr_workgroup_id_z 0
		.amdhsa_system_sgpr_workgroup_info 0
		.amdhsa_system_vgpr_workitem_id 0
		.amdhsa_next_free_vgpr 22
		.amdhsa_next_free_sgpr 18
		.amdhsa_accum_offset 24
		.amdhsa_reserve_vcc 1
		.amdhsa_reserve_flat_scratch 0
		.amdhsa_float_round_mode_32 0
		.amdhsa_float_round_mode_16_64 0
		.amdhsa_float_denorm_mode_32 3
		.amdhsa_float_denorm_mode_16_64 3
		.amdhsa_dx10_clamp 1
		.amdhsa_ieee_mode 1
		.amdhsa_fp16_overflow 0
		.amdhsa_tg_split 0
		.amdhsa_exception_fp_ieee_invalid_op 0
		.amdhsa_exception_fp_denorm_src 0
		.amdhsa_exception_fp_ieee_div_zero 0
		.amdhsa_exception_fp_ieee_overflow 0
		.amdhsa_exception_fp_ieee_underflow 0
		.amdhsa_exception_fp_ieee_inexact 0
		.amdhsa_exception_int_div_zero 0
	.end_amdhsa_kernel
	.section	.text._ZN2at6native29vectorized_elementwise_kernelILi8EZZZNS0_12_GLOBAL__N_139_amp_non_finite_check_and_unscale_cuda_ERNS_6TensorES4_RKS3_ENKUlvE_clEvENKUlvE_clEvEUldE_St5arrayIPcLm2EEEEviT0_T1_,"axG",@progbits,_ZN2at6native29vectorized_elementwise_kernelILi8EZZZNS0_12_GLOBAL__N_139_amp_non_finite_check_and_unscale_cuda_ERNS_6TensorES4_RKS3_ENKUlvE_clEvENKUlvE_clEvEUldE_St5arrayIPcLm2EEEEviT0_T1_,comdat
.Lfunc_end2:
	.size	_ZN2at6native29vectorized_elementwise_kernelILi8EZZZNS0_12_GLOBAL__N_139_amp_non_finite_check_and_unscale_cuda_ERNS_6TensorES4_RKS3_ENKUlvE_clEvENKUlvE_clEvEUldE_St5arrayIPcLm2EEEEviT0_T1_, .Lfunc_end2-_ZN2at6native29vectorized_elementwise_kernelILi8EZZZNS0_12_GLOBAL__N_139_amp_non_finite_check_and_unscale_cuda_ERNS_6TensorES4_RKS3_ENKUlvE_clEvENKUlvE_clEvEUldE_St5arrayIPcLm2EEEEviT0_T1_
                                        ; -- End function
	.section	.AMDGPU.csdata,"",@progbits
; Kernel info:
; codeLenInByte = 1616
; NumSgprs: 22
; NumVgprs: 22
; NumAgprs: 0
; TotalNumVgprs: 22
; ScratchSize: 0
; MemoryBound: 1
; FloatMode: 240
; IeeeMode: 1
; LDSByteSize: 0 bytes/workgroup (compile time only)
; SGPRBlocks: 2
; VGPRBlocks: 2
; NumSGPRsForWavesPerEU: 22
; NumVGPRsForWavesPerEU: 22
; AccumOffset: 24
; Occupancy: 8
; WaveLimiterHint : 0
; COMPUTE_PGM_RSRC2:SCRATCH_EN: 0
; COMPUTE_PGM_RSRC2:USER_SGPR: 6
; COMPUTE_PGM_RSRC2:TRAP_HANDLER: 0
; COMPUTE_PGM_RSRC2:TGID_X_EN: 1
; COMPUTE_PGM_RSRC2:TGID_Y_EN: 0
; COMPUTE_PGM_RSRC2:TGID_Z_EN: 0
; COMPUTE_PGM_RSRC2:TIDIG_COMP_CNT: 0
; COMPUTE_PGM_RSRC3_GFX90A:ACCUM_OFFSET: 5
; COMPUTE_PGM_RSRC3_GFX90A:TG_SPLIT: 0
	.section	.text._ZN2at6native29vectorized_elementwise_kernelILi4EZZZNS0_12_GLOBAL__N_139_amp_non_finite_check_and_unscale_cuda_ERNS_6TensorES4_RKS3_ENKUlvE_clEvENKUlvE_clEvEUldE_St5arrayIPcLm2EEEEviT0_T1_,"axG",@progbits,_ZN2at6native29vectorized_elementwise_kernelILi4EZZZNS0_12_GLOBAL__N_139_amp_non_finite_check_and_unscale_cuda_ERNS_6TensorES4_RKS3_ENKUlvE_clEvENKUlvE_clEvEUldE_St5arrayIPcLm2EEEEviT0_T1_,comdat
	.globl	_ZN2at6native29vectorized_elementwise_kernelILi4EZZZNS0_12_GLOBAL__N_139_amp_non_finite_check_and_unscale_cuda_ERNS_6TensorES4_RKS3_ENKUlvE_clEvENKUlvE_clEvEUldE_St5arrayIPcLm2EEEEviT0_T1_ ; -- Begin function _ZN2at6native29vectorized_elementwise_kernelILi4EZZZNS0_12_GLOBAL__N_139_amp_non_finite_check_and_unscale_cuda_ERNS_6TensorES4_RKS3_ENKUlvE_clEvENKUlvE_clEvEUldE_St5arrayIPcLm2EEEEviT0_T1_
	.p2align	8
	.type	_ZN2at6native29vectorized_elementwise_kernelILi4EZZZNS0_12_GLOBAL__N_139_amp_non_finite_check_and_unscale_cuda_ERNS_6TensorES4_RKS3_ENKUlvE_clEvENKUlvE_clEvEUldE_St5arrayIPcLm2EEEEviT0_T1_,@function
_ZN2at6native29vectorized_elementwise_kernelILi4EZZZNS0_12_GLOBAL__N_139_amp_non_finite_check_and_unscale_cuda_ERNS_6TensorES4_RKS3_ENKUlvE_clEvENKUlvE_clEvEUldE_St5arrayIPcLm2EEEEviT0_T1_: ; @_ZN2at6native29vectorized_elementwise_kernelILi4EZZZNS0_12_GLOBAL__N_139_amp_non_finite_check_and_unscale_cuda_ERNS_6TensorES4_RKS3_ENKUlvE_clEvENKUlvE_clEvEUldE_St5arrayIPcLm2EEEEviT0_T1_
; %bb.0:
	s_load_dword s0, s[4:5], 0x0
	s_load_dwordx8 s[8:15], s[4:5], 0x8
	s_lshl_b32 s2, s6, 10
	s_waitcnt lgkmcnt(0)
	s_sub_i32 s6, s0, s2
	s_cmpk_gt_i32 s6, 0x3ff
	s_mov_b64 s[0:1], -1
	s_cbranch_scc0 .LBB3_10
; %bb.1:
	s_ashr_i32 s3, s2, 31
	s_lshl_b64 s[0:1], s[2:3], 3
	s_add_u32 s4, s14, s0
	s_addc_u32 s5, s15, s1
	v_lshlrev_b32_e32 v1, 5, v0
	global_load_dwordx4 v[6:9], v1, s[4:5]
	global_load_dwordx4 v[2:5], v1, s[4:5] offset:16
	s_mov_b32 s3, 0x7f800000
	v_mov_b32_e32 v10, 0
	s_waitcnt vmcnt(1)
	v_cvt_f32_f64_e32 v11, v[6:7]
	v_cmp_nlg_f32_e64 s[16:17], |v11|, s3
	s_and_saveexec_b64 s[4:5], s[16:17]
	s_cbranch_execz .LBB3_3
; %bb.2:
	v_mov_b32_e32 v11, 1.0
	global_store_dword v10, v11, s[8:9]
.LBB3_3:
	s_or_b64 exec, exec, s[4:5]
	global_load_dword v18, v10, s[10:11]
	v_cvt_f32_f64_e32 v10, v[8:9]
	v_cmp_nlg_f32_e64 s[16:17], |v10|, s3
	s_waitcnt vmcnt(0)
	v_cvt_f64_f32_e32 v[10:11], v18
	v_pk_mov_b32 v[12:13], v[10:11], v[10:11] op_sel:[0,1]
	v_mov_b32_e32 v19, v18
	s_and_saveexec_b64 s[4:5], s[16:17]
	s_cbranch_execz .LBB3_5
; %bb.4:
	v_mov_b32_e32 v12, 0
	v_mov_b32_e32 v13, 1.0
	global_store_dword v12, v13, s[8:9]
	global_load_dword v19, v12, s[10:11]
	s_waitcnt vmcnt(0)
	v_cvt_f64_f32_e32 v[12:13], v19
.LBB3_5:
	s_or_b64 exec, exec, s[4:5]
	v_cvt_f32_f64_e32 v14, v[2:3]
	v_cmp_nlg_f32_e64 s[16:17], |v14|, s3
	v_pk_mov_b32 v[14:15], v[12:13], v[12:13] op_sel:[0,1]
	v_mov_b32_e32 v20, v19
	s_and_saveexec_b64 s[4:5], s[16:17]
	s_cbranch_execz .LBB3_7
; %bb.6:
	v_mov_b32_e32 v14, 0
	v_mov_b32_e32 v15, 1.0
	global_store_dword v14, v15, s[8:9]
	global_load_dword v20, v14, s[10:11]
	s_waitcnt vmcnt(0)
	v_cvt_f64_f32_e32 v[14:15], v20
.LBB3_7:
	s_or_b64 exec, exec, s[4:5]
	v_cvt_f32_f64_e32 v16, v[4:5]
	v_cmp_nlg_f32_e64 s[16:17], |v16|, s3
	v_pk_mov_b32 v[16:17], v[14:15], v[14:15] op_sel:[0,1]
	v_mov_b32_e32 v21, v20
	s_and_saveexec_b64 s[4:5], s[16:17]
	s_cbranch_execz .LBB3_9
; %bb.8:
	v_mov_b32_e32 v16, 0
	v_mov_b32_e32 v17, 1.0
	global_store_dword v16, v17, s[8:9]
	global_load_dword v21, v16, s[10:11]
	s_waitcnt vmcnt(0)
	v_cvt_f64_f32_e32 v[16:17], v21
.LBB3_9:
	s_or_b64 exec, exec, s[4:5]
	v_mul_f64 v[14:15], v[2:3], v[14:15]
	v_cmp_eq_f32_e32 vcc, 1.0, v20
	v_cndmask_b32_e32 v3, v15, v3, vcc
	v_cndmask_b32_e32 v2, v14, v2, vcc
	v_mul_f64 v[12:13], v[8:9], v[12:13]
	v_cmp_eq_f32_e32 vcc, 1.0, v19
	v_cndmask_b32_e32 v9, v13, v9, vcc
	v_cndmask_b32_e32 v8, v12, v8, vcc
	v_mul_f64 v[10:11], v[6:7], v[10:11]
	v_cmp_eq_f32_e32 vcc, 1.0, v18
	s_add_u32 s0, s12, s0
	v_cndmask_b32_e32 v7, v11, v7, vcc
	v_cndmask_b32_e32 v6, v10, v6, vcc
	v_mul_f64 v[10:11], v[4:5], v[16:17]
	v_cmp_eq_f32_e32 vcc, 1.0, v21
	s_addc_u32 s1, s13, s1
	v_cndmask_b32_e32 v5, v11, v5, vcc
	v_cndmask_b32_e32 v4, v10, v4, vcc
	global_store_dwordx4 v1, v[6:9], s[0:1]
	global_store_dwordx4 v1, v[2:5], s[0:1] offset:16
	s_mov_b64 s[0:1], 0
.LBB3_10:
	s_and_b64 vcc, exec, s[0:1]
	s_cbranch_vccz .LBB3_37
; %bb.11:
	v_pk_mov_b32 v[14:15], 0, 0
	v_cmp_gt_i32_e32 vcc, s6, v0
	v_or_b32_e32 v10, s2, v0
	v_pk_mov_b32 v[18:19], v[14:15], v[14:15] op_sel:[0,1]
	v_mov_b32_e32 v1, v0
	s_and_saveexec_b64 s[4:5], vcc
	s_cbranch_execz .LBB3_13
; %bb.12:
	v_mov_b32_e32 v11, 0
	v_lshlrev_b64 v[2:3], 3, v[10:11]
	v_mov_b32_e32 v1, s15
	v_add_co_u32_e64 v2, s[0:1], s14, v2
	v_addc_co_u32_e64 v3, s[0:1], v1, v3, s[0:1]
	global_load_dwordx2 v[18:19], v[2:3], off
	v_or_b32_e32 v1, 0x100, v0
.LBB3_13:
	s_or_b64 exec, exec, s[4:5]
	v_cmp_gt_i32_e64 s[0:1], s6, v1
	s_and_saveexec_b64 s[4:5], s[0:1]
	s_cbranch_execz .LBB3_15
; %bb.14:
	v_add_u32_e32 v2, s2, v1
	v_mov_b32_e32 v3, 0
	v_lshlrev_b64 v[2:3], 3, v[2:3]
	v_mov_b32_e32 v4, s15
	v_add_co_u32_e64 v2, s[0:1], s14, v2
	v_addc_co_u32_e64 v3, s[0:1], v4, v3, s[0:1]
	global_load_dwordx2 v[14:15], v[2:3], off
	v_add_u32_e32 v1, 0x100, v1
.LBB3_15:
	s_or_b64 exec, exec, s[4:5]
	v_pk_mov_b32 v[12:13], 0, 0
	v_cmp_gt_i32_e64 s[0:1], s6, v1
	v_pk_mov_b32 v[16:17], v[12:13], v[12:13] op_sel:[0,1]
	s_and_saveexec_b64 s[4:5], s[0:1]
	s_cbranch_execnz .LBB3_18
; %bb.16:
	s_or_b64 exec, exec, s[4:5]
	v_cmp_gt_i32_e64 s[0:1], s6, v1
	s_and_saveexec_b64 s[4:5], s[0:1]
	s_cbranch_execnz .LBB3_19
.LBB3_17:
	s_or_b64 exec, exec, s[4:5]
                                        ; implicit-def: $vgpr2_vgpr3_vgpr4_vgpr5_vgpr6_vgpr7_vgpr8_vgpr9
	s_and_saveexec_b64 s[4:5], vcc
	s_cbranch_execnz .LBB3_20
	s_branch .LBB3_23
.LBB3_18:
	v_add_u32_e32 v2, s2, v1
	v_mov_b32_e32 v3, 0
	v_lshlrev_b64 v[2:3], 3, v[2:3]
	v_mov_b32_e32 v4, s15
	v_add_co_u32_e64 v2, s[0:1], s14, v2
	v_addc_co_u32_e64 v3, s[0:1], v4, v3, s[0:1]
	global_load_dwordx2 v[16:17], v[2:3], off
	v_add_u32_e32 v1, 0x100, v1
	s_or_b64 exec, exec, s[4:5]
	v_cmp_gt_i32_e64 s[0:1], s6, v1
	s_and_saveexec_b64 s[4:5], s[0:1]
	s_cbranch_execz .LBB3_17
.LBB3_19:
	v_add_u32_e32 v2, s2, v1
	v_mov_b32_e32 v3, 0
	v_lshlrev_b64 v[2:3], 3, v[2:3]
	v_mov_b32_e32 v1, s15
	v_add_co_u32_e64 v2, s[0:1], s14, v2
	v_addc_co_u32_e64 v3, s[0:1], v1, v3, s[0:1]
	global_load_dwordx2 v[12:13], v[2:3], off
	s_or_b64 exec, exec, s[4:5]
                                        ; implicit-def: $vgpr2_vgpr3_vgpr4_vgpr5_vgpr6_vgpr7_vgpr8_vgpr9
	s_and_saveexec_b64 s[4:5], vcc
	s_cbranch_execz .LBB3_23
.LBB3_20:
	s_waitcnt vmcnt(0)
	v_cvt_f32_f64_e32 v1, v[18:19]
	s_mov_b32 s0, 0x7f800000
	v_cmp_nlg_f32_e64 s[14:15], |v1|, s0
	s_and_saveexec_b64 s[0:1], s[14:15]
	s_cbranch_execz .LBB3_22
; %bb.21:
	v_mov_b32_e32 v1, 0
	v_mov_b32_e32 v2, 1.0
	global_store_dword v1, v2, s[8:9]
.LBB3_22:
	s_or_b64 exec, exec, s[0:1]
	v_mov_b32_e32 v1, 0
	global_load_dword v1, v1, s[10:11]
	s_waitcnt vmcnt(0)
	v_cvt_f64_f32_e32 v[2:3], v1
	v_mul_f64 v[2:3], v[18:19], v[2:3]
	v_cmp_eq_f32_e64 s[0:1], 1.0, v1
	v_cndmask_b32_e64 v3, v3, v19, s[0:1]
	v_cndmask_b32_e64 v2, v2, v18, s[0:1]
.LBB3_23:
	s_or_b64 exec, exec, s[4:5]
	v_or_b32_e32 v1, 0x100, v0
	v_cmp_gt_i32_e64 s[0:1], s6, v1
	s_and_saveexec_b64 s[4:5], s[0:1]
	s_cbranch_execz .LBB3_27
; %bb.24:
	s_waitcnt vmcnt(0)
	v_cvt_f32_f64_e32 v4, v[14:15]
	s_mov_b32 s0, 0x7f800000
	v_cmp_nlg_f32_e64 s[14:15], |v4|, s0
	s_and_saveexec_b64 s[0:1], s[14:15]
	s_cbranch_execz .LBB3_26
; %bb.25:
	v_mov_b32_e32 v4, 0
	v_mov_b32_e32 v5, 1.0
	global_store_dword v4, v5, s[8:9]
.LBB3_26:
	s_or_b64 exec, exec, s[0:1]
	v_mov_b32_e32 v4, 0
	global_load_dword v11, v4, s[10:11]
	s_waitcnt vmcnt(0)
	v_cvt_f64_f32_e32 v[4:5], v11
	v_mul_f64 v[4:5], v[14:15], v[4:5]
	v_cmp_eq_f32_e64 s[0:1], 1.0, v11
	v_cndmask_b32_e64 v5, v5, v15, s[0:1]
	v_cndmask_b32_e64 v4, v4, v14, s[0:1]
.LBB3_27:
	s_or_b64 exec, exec, s[4:5]
	v_or_b32_e32 v11, 0x200, v0
	v_cmp_gt_i32_e64 s[0:1], s6, v11
	s_and_saveexec_b64 s[4:5], s[0:1]
	s_cbranch_execz .LBB3_31
; %bb.28:
	s_waitcnt vmcnt(0)
	v_cvt_f32_f64_e32 v6, v[16:17]
	s_mov_b32 s0, 0x7f800000
	v_cmp_nlg_f32_e64 s[14:15], |v6|, s0
	s_and_saveexec_b64 s[0:1], s[14:15]
	s_cbranch_execz .LBB3_30
; %bb.29:
	v_mov_b32_e32 v6, 0
	v_mov_b32_e32 v7, 1.0
	global_store_dword v6, v7, s[8:9]
.LBB3_30:
	s_or_b64 exec, exec, s[0:1]
	v_mov_b32_e32 v6, 0
	global_load_dword v11, v6, s[10:11]
	s_waitcnt vmcnt(0)
	v_cvt_f64_f32_e32 v[6:7], v11
	v_mul_f64 v[6:7], v[16:17], v[6:7]
	v_cmp_eq_f32_e64 s[0:1], 1.0, v11
	v_cndmask_b32_e64 v7, v7, v17, s[0:1]
	v_cndmask_b32_e64 v6, v6, v16, s[0:1]
.LBB3_31:
	s_or_b64 exec, exec, s[4:5]
	v_or_b32_e32 v11, 0x300, v0
	v_cmp_gt_i32_e64 s[0:1], s6, v11
	s_and_saveexec_b64 s[4:5], s[0:1]
	s_cbranch_execnz .LBB3_38
; %bb.32:
	s_or_b64 exec, exec, s[4:5]
	s_and_saveexec_b64 s[0:1], vcc
	s_xor_b64 s[0:1], exec, s[0:1]
	s_cbranch_execnz .LBB3_41
.LBB3_33:
	s_or_b64 exec, exec, s[0:1]
	v_cmp_gt_i32_e32 vcc, s6, v0
	s_and_saveexec_b64 s[0:1], vcc
	s_cbranch_execnz .LBB3_42
.LBB3_34:
	s_or_b64 exec, exec, s[0:1]
	v_cmp_gt_i32_e32 vcc, s6, v0
	s_and_saveexec_b64 s[0:1], vcc
	s_cbranch_execnz .LBB3_43
.LBB3_35:
	s_or_b64 exec, exec, s[0:1]
	v_cmp_gt_i32_e32 vcc, s6, v0
	s_and_saveexec_b64 s[0:1], vcc
	s_cbranch_execz .LBB3_37
.LBB3_36:
	v_add_u32_e32 v0, s2, v0
	v_mov_b32_e32 v1, 0
	v_lshlrev_b64 v[0:1], 3, v[0:1]
	v_mov_b32_e32 v2, s13
	v_add_co_u32_e32 v0, vcc, s12, v0
	v_addc_co_u32_e32 v1, vcc, v2, v1, vcc
	global_store_dwordx2 v[0:1], v[8:9], off
.LBB3_37:
	s_endpgm
.LBB3_38:
	s_waitcnt vmcnt(0)
	v_cvt_f32_f64_e32 v8, v[12:13]
	s_mov_b32 s0, 0x7f800000
	v_cmp_nlg_f32_e64 s[14:15], |v8|, s0
	s_and_saveexec_b64 s[0:1], s[14:15]
	s_cbranch_execz .LBB3_40
; %bb.39:
	v_mov_b32_e32 v8, 0
	v_mov_b32_e32 v9, 1.0
	global_store_dword v8, v9, s[8:9]
.LBB3_40:
	s_or_b64 exec, exec, s[0:1]
	v_mov_b32_e32 v8, 0
	global_load_dword v11, v8, s[10:11]
	s_waitcnt vmcnt(0)
	v_cvt_f64_f32_e32 v[8:9], v11
	v_mul_f64 v[8:9], v[12:13], v[8:9]
	v_cmp_eq_f32_e64 s[0:1], 1.0, v11
	v_cndmask_b32_e64 v9, v9, v13, s[0:1]
	v_cndmask_b32_e64 v8, v8, v12, s[0:1]
	s_or_b64 exec, exec, s[4:5]
	s_and_saveexec_b64 s[0:1], vcc
	s_xor_b64 s[0:1], exec, s[0:1]
	s_cbranch_execz .LBB3_33
.LBB3_41:
	v_mov_b32_e32 v11, 0
	v_lshlrev_b64 v[10:11], 3, v[10:11]
	v_mov_b32_e32 v0, s13
	v_add_co_u32_e32 v10, vcc, s12, v10
	v_addc_co_u32_e32 v11, vcc, v0, v11, vcc
	v_mov_b32_e32 v0, v1
	global_store_dwordx2 v[10:11], v[2:3], off
	s_or_b64 exec, exec, s[0:1]
	v_cmp_gt_i32_e32 vcc, s6, v0
	s_and_saveexec_b64 s[0:1], vcc
	s_cbranch_execz .LBB3_34
.LBB3_42:
	v_add_u32_e32 v2, s2, v0
	v_mov_b32_e32 v3, 0
	v_lshlrev_b64 v[2:3], 3, v[2:3]
	v_mov_b32_e32 v1, s13
	v_add_co_u32_e32 v2, vcc, s12, v2
	v_addc_co_u32_e32 v3, vcc, v1, v3, vcc
	v_add_u32_e32 v0, 0x100, v0
	global_store_dwordx2 v[2:3], v[4:5], off
	s_or_b64 exec, exec, s[0:1]
	v_cmp_gt_i32_e32 vcc, s6, v0
	s_and_saveexec_b64 s[0:1], vcc
	s_cbranch_execz .LBB3_35
.LBB3_43:
	v_add_u32_e32 v2, s2, v0
	v_mov_b32_e32 v3, 0
	v_lshlrev_b64 v[2:3], 3, v[2:3]
	v_mov_b32_e32 v1, s13
	v_add_co_u32_e32 v2, vcc, s12, v2
	v_addc_co_u32_e32 v3, vcc, v1, v3, vcc
	v_add_u32_e32 v0, 0x100, v0
	global_store_dwordx2 v[2:3], v[6:7], off
	s_or_b64 exec, exec, s[0:1]
	v_cmp_gt_i32_e32 vcc, s6, v0
	s_and_saveexec_b64 s[0:1], vcc
	s_cbranch_execnz .LBB3_36
	s_branch .LBB3_37
	.section	.rodata,"a",@progbits
	.p2align	6, 0x0
	.amdhsa_kernel _ZN2at6native29vectorized_elementwise_kernelILi4EZZZNS0_12_GLOBAL__N_139_amp_non_finite_check_and_unscale_cuda_ERNS_6TensorES4_RKS3_ENKUlvE_clEvENKUlvE_clEvEUldE_St5arrayIPcLm2EEEEviT0_T1_
		.amdhsa_group_segment_fixed_size 0
		.amdhsa_private_segment_fixed_size 0
		.amdhsa_kernarg_size 40
		.amdhsa_user_sgpr_count 6
		.amdhsa_user_sgpr_private_segment_buffer 1
		.amdhsa_user_sgpr_dispatch_ptr 0
		.amdhsa_user_sgpr_queue_ptr 0
		.amdhsa_user_sgpr_kernarg_segment_ptr 1
		.amdhsa_user_sgpr_dispatch_id 0
		.amdhsa_user_sgpr_flat_scratch_init 0
		.amdhsa_user_sgpr_kernarg_preload_length 0
		.amdhsa_user_sgpr_kernarg_preload_offset 0
		.amdhsa_user_sgpr_private_segment_size 0
		.amdhsa_uses_dynamic_stack 0
		.amdhsa_system_sgpr_private_segment_wavefront_offset 0
		.amdhsa_system_sgpr_workgroup_id_x 1
		.amdhsa_system_sgpr_workgroup_id_y 0
		.amdhsa_system_sgpr_workgroup_id_z 0
		.amdhsa_system_sgpr_workgroup_info 0
		.amdhsa_system_vgpr_workitem_id 0
		.amdhsa_next_free_vgpr 22
		.amdhsa_next_free_sgpr 18
		.amdhsa_accum_offset 24
		.amdhsa_reserve_vcc 1
		.amdhsa_reserve_flat_scratch 0
		.amdhsa_float_round_mode_32 0
		.amdhsa_float_round_mode_16_64 0
		.amdhsa_float_denorm_mode_32 3
		.amdhsa_float_denorm_mode_16_64 3
		.amdhsa_dx10_clamp 1
		.amdhsa_ieee_mode 1
		.amdhsa_fp16_overflow 0
		.amdhsa_tg_split 0
		.amdhsa_exception_fp_ieee_invalid_op 0
		.amdhsa_exception_fp_denorm_src 0
		.amdhsa_exception_fp_ieee_div_zero 0
		.amdhsa_exception_fp_ieee_overflow 0
		.amdhsa_exception_fp_ieee_underflow 0
		.amdhsa_exception_fp_ieee_inexact 0
		.amdhsa_exception_int_div_zero 0
	.end_amdhsa_kernel
	.section	.text._ZN2at6native29vectorized_elementwise_kernelILi4EZZZNS0_12_GLOBAL__N_139_amp_non_finite_check_and_unscale_cuda_ERNS_6TensorES4_RKS3_ENKUlvE_clEvENKUlvE_clEvEUldE_St5arrayIPcLm2EEEEviT0_T1_,"axG",@progbits,_ZN2at6native29vectorized_elementwise_kernelILi4EZZZNS0_12_GLOBAL__N_139_amp_non_finite_check_and_unscale_cuda_ERNS_6TensorES4_RKS3_ENKUlvE_clEvENKUlvE_clEvEUldE_St5arrayIPcLm2EEEEviT0_T1_,comdat
.Lfunc_end3:
	.size	_ZN2at6native29vectorized_elementwise_kernelILi4EZZZNS0_12_GLOBAL__N_139_amp_non_finite_check_and_unscale_cuda_ERNS_6TensorES4_RKS3_ENKUlvE_clEvENKUlvE_clEvEUldE_St5arrayIPcLm2EEEEviT0_T1_, .Lfunc_end3-_ZN2at6native29vectorized_elementwise_kernelILi4EZZZNS0_12_GLOBAL__N_139_amp_non_finite_check_and_unscale_cuda_ERNS_6TensorES4_RKS3_ENKUlvE_clEvENKUlvE_clEvEUldE_St5arrayIPcLm2EEEEviT0_T1_
                                        ; -- End function
	.section	.AMDGPU.csdata,"",@progbits
; Kernel info:
; codeLenInByte = 1616
; NumSgprs: 22
; NumVgprs: 22
; NumAgprs: 0
; TotalNumVgprs: 22
; ScratchSize: 0
; MemoryBound: 1
; FloatMode: 240
; IeeeMode: 1
; LDSByteSize: 0 bytes/workgroup (compile time only)
; SGPRBlocks: 2
; VGPRBlocks: 2
; NumSGPRsForWavesPerEU: 22
; NumVGPRsForWavesPerEU: 22
; AccumOffset: 24
; Occupancy: 8
; WaveLimiterHint : 0
; COMPUTE_PGM_RSRC2:SCRATCH_EN: 0
; COMPUTE_PGM_RSRC2:USER_SGPR: 6
; COMPUTE_PGM_RSRC2:TRAP_HANDLER: 0
; COMPUTE_PGM_RSRC2:TGID_X_EN: 1
; COMPUTE_PGM_RSRC2:TGID_Y_EN: 0
; COMPUTE_PGM_RSRC2:TGID_Z_EN: 0
; COMPUTE_PGM_RSRC2:TIDIG_COMP_CNT: 0
; COMPUTE_PGM_RSRC3_GFX90A:ACCUM_OFFSET: 5
; COMPUTE_PGM_RSRC3_GFX90A:TG_SPLIT: 0
	.section	.text._ZN2at6native29vectorized_elementwise_kernelILi2EZZZNS0_12_GLOBAL__N_139_amp_non_finite_check_and_unscale_cuda_ERNS_6TensorES4_RKS3_ENKUlvE_clEvENKUlvE_clEvEUldE_St5arrayIPcLm2EEEEviT0_T1_,"axG",@progbits,_ZN2at6native29vectorized_elementwise_kernelILi2EZZZNS0_12_GLOBAL__N_139_amp_non_finite_check_and_unscale_cuda_ERNS_6TensorES4_RKS3_ENKUlvE_clEvENKUlvE_clEvEUldE_St5arrayIPcLm2EEEEviT0_T1_,comdat
	.globl	_ZN2at6native29vectorized_elementwise_kernelILi2EZZZNS0_12_GLOBAL__N_139_amp_non_finite_check_and_unscale_cuda_ERNS_6TensorES4_RKS3_ENKUlvE_clEvENKUlvE_clEvEUldE_St5arrayIPcLm2EEEEviT0_T1_ ; -- Begin function _ZN2at6native29vectorized_elementwise_kernelILi2EZZZNS0_12_GLOBAL__N_139_amp_non_finite_check_and_unscale_cuda_ERNS_6TensorES4_RKS3_ENKUlvE_clEvENKUlvE_clEvEUldE_St5arrayIPcLm2EEEEviT0_T1_
	.p2align	8
	.type	_ZN2at6native29vectorized_elementwise_kernelILi2EZZZNS0_12_GLOBAL__N_139_amp_non_finite_check_and_unscale_cuda_ERNS_6TensorES4_RKS3_ENKUlvE_clEvENKUlvE_clEvEUldE_St5arrayIPcLm2EEEEviT0_T1_,@function
_ZN2at6native29vectorized_elementwise_kernelILi2EZZZNS0_12_GLOBAL__N_139_amp_non_finite_check_and_unscale_cuda_ERNS_6TensorES4_RKS3_ENKUlvE_clEvENKUlvE_clEvEUldE_St5arrayIPcLm2EEEEviT0_T1_: ; @_ZN2at6native29vectorized_elementwise_kernelILi2EZZZNS0_12_GLOBAL__N_139_amp_non_finite_check_and_unscale_cuda_ERNS_6TensorES4_RKS3_ENKUlvE_clEvENKUlvE_clEvEUldE_St5arrayIPcLm2EEEEviT0_T1_
; %bb.0:
	s_load_dword s0, s[4:5], 0x0
	s_load_dwordx8 s[8:15], s[4:5], 0x8
	s_lshl_b32 s2, s6, 10
	s_waitcnt lgkmcnt(0)
	s_sub_i32 s6, s0, s2
	s_cmpk_gt_i32 s6, 0x3ff
	s_mov_b64 s[0:1], -1
	s_cbranch_scc0 .LBB4_10
; %bb.1:
	s_ashr_i32 s3, s2, 31
	s_lshl_b64 s[0:1], s[2:3], 3
	s_add_u32 s4, s14, s0
	s_addc_u32 s5, s15, s1
	v_lshlrev_b32_e32 v1, 4, v0
	v_mov_b32_e32 v2, s5
	v_add_co_u32_e32 v6, vcc, s4, v1
	v_addc_co_u32_e32 v7, vcc, 0, v2, vcc
	global_load_dwordx4 v[2:5], v1, s[4:5]
	v_add_co_u32_e32 v6, vcc, 0x1000, v6
	v_addc_co_u32_e32 v7, vcc, 0, v7, vcc
	global_load_dwordx4 v[6:9], v[6:7], off
	s_mov_b32 s3, 0x7f800000
	s_waitcnt vmcnt(1)
	v_cvt_f32_f64_e32 v10, v[2:3]
	v_cmp_nlg_f32_e64 s[16:17], |v10|, s3
	s_and_saveexec_b64 s[4:5], s[16:17]
	s_cbranch_execz .LBB4_3
; %bb.2:
	v_mov_b32_e32 v10, 0
	v_mov_b32_e32 v11, 1.0
	global_store_dword v10, v11, s[8:9]
.LBB4_3:
	s_or_b64 exec, exec, s[4:5]
	v_mov_b32_e32 v14, 0
	global_load_dword v18, v14, s[10:11]
	v_cvt_f32_f64_e32 v10, v[4:5]
	v_cmp_nlg_f32_e64 s[16:17], |v10|, s3
	s_waitcnt vmcnt(0)
	v_cvt_f64_f32_e32 v[10:11], v18
	v_pk_mov_b32 v[12:13], v[10:11], v[10:11] op_sel:[0,1]
	v_mov_b32_e32 v19, v18
	s_and_saveexec_b64 s[4:5], s[16:17]
	s_cbranch_execz .LBB4_5
; %bb.4:
	v_mov_b32_e32 v12, 1.0
	global_store_dword v14, v12, s[8:9]
	global_load_dword v19, v14, s[10:11]
	s_waitcnt vmcnt(0)
	v_cvt_f64_f32_e32 v[12:13], v19
.LBB4_5:
	s_or_b64 exec, exec, s[4:5]
	v_cvt_f32_f64_e32 v14, v[6:7]
	v_cmp_nlg_f32_e64 s[16:17], |v14|, s3
	v_pk_mov_b32 v[14:15], v[12:13], v[12:13] op_sel:[0,1]
	v_mov_b32_e32 v20, v19
	s_and_saveexec_b64 s[4:5], s[16:17]
	s_cbranch_execz .LBB4_7
; %bb.6:
	v_mov_b32_e32 v14, 0
	v_mov_b32_e32 v15, 1.0
	global_store_dword v14, v15, s[8:9]
	global_load_dword v20, v14, s[10:11]
	s_waitcnt vmcnt(0)
	v_cvt_f64_f32_e32 v[14:15], v20
.LBB4_7:
	s_or_b64 exec, exec, s[4:5]
	v_cvt_f32_f64_e32 v16, v[8:9]
	v_cmp_nlg_f32_e64 s[16:17], |v16|, s3
	v_pk_mov_b32 v[16:17], v[14:15], v[14:15] op_sel:[0,1]
	v_mov_b32_e32 v21, v20
	s_and_saveexec_b64 s[4:5], s[16:17]
	s_cbranch_execz .LBB4_9
; %bb.8:
	v_mov_b32_e32 v16, 0
	v_mov_b32_e32 v17, 1.0
	global_store_dword v16, v17, s[8:9]
	global_load_dword v21, v16, s[10:11]
	s_waitcnt vmcnt(0)
	v_cvt_f64_f32_e32 v[16:17], v21
.LBB4_9:
	s_or_b64 exec, exec, s[4:5]
	v_mul_f64 v[14:15], v[6:7], v[14:15]
	v_cmp_eq_f32_e32 vcc, 1.0, v20
	v_cndmask_b32_e32 v7, v15, v7, vcc
	v_cndmask_b32_e32 v6, v14, v6, vcc
	v_mul_f64 v[12:13], v[4:5], v[12:13]
	v_cmp_eq_f32_e32 vcc, 1.0, v19
	v_cndmask_b32_e32 v5, v13, v5, vcc
	v_cndmask_b32_e32 v4, v12, v4, vcc
	v_mul_f64 v[10:11], v[2:3], v[10:11]
	v_cmp_eq_f32_e32 vcc, 1.0, v18
	s_add_u32 s0, s12, s0
	v_cndmask_b32_e32 v3, v11, v3, vcc
	v_cndmask_b32_e32 v2, v10, v2, vcc
	v_mul_f64 v[10:11], v[8:9], v[16:17]
	v_cmp_eq_f32_e32 vcc, 1.0, v21
	s_addc_u32 s1, s13, s1
	v_cndmask_b32_e32 v9, v11, v9, vcc
	v_cndmask_b32_e32 v8, v10, v8, vcc
	v_mov_b32_e32 v10, s1
	v_add_co_u32_e32 v11, vcc, s0, v1
	v_addc_co_u32_e32 v10, vcc, 0, v10, vcc
	global_store_dwordx4 v1, v[2:5], s[0:1]
	s_mov_b64 s[0:1], 0
	v_add_co_u32_e32 v2, vcc, 0x1000, v11
	v_addc_co_u32_e32 v3, vcc, 0, v10, vcc
	global_store_dwordx4 v[2:3], v[6:9], off
.LBB4_10:
	s_and_b64 vcc, exec, s[0:1]
	s_cbranch_vccz .LBB4_37
; %bb.11:
	v_pk_mov_b32 v[14:15], 0, 0
	v_cmp_gt_i32_e32 vcc, s6, v0
	v_or_b32_e32 v10, s2, v0
	v_pk_mov_b32 v[18:19], v[14:15], v[14:15] op_sel:[0,1]
	v_mov_b32_e32 v1, v0
	s_and_saveexec_b64 s[4:5], vcc
	s_cbranch_execz .LBB4_13
; %bb.12:
	v_mov_b32_e32 v11, 0
	v_lshlrev_b64 v[2:3], 3, v[10:11]
	v_mov_b32_e32 v1, s15
	v_add_co_u32_e64 v2, s[0:1], s14, v2
	v_addc_co_u32_e64 v3, s[0:1], v1, v3, s[0:1]
	global_load_dwordx2 v[18:19], v[2:3], off
	v_or_b32_e32 v1, 0x100, v0
.LBB4_13:
	s_or_b64 exec, exec, s[4:5]
	v_cmp_gt_i32_e64 s[0:1], s6, v1
	s_and_saveexec_b64 s[4:5], s[0:1]
	s_cbranch_execz .LBB4_15
; %bb.14:
	v_add_u32_e32 v2, s2, v1
	v_mov_b32_e32 v3, 0
	v_lshlrev_b64 v[2:3], 3, v[2:3]
	v_mov_b32_e32 v4, s15
	v_add_co_u32_e64 v2, s[0:1], s14, v2
	v_addc_co_u32_e64 v3, s[0:1], v4, v3, s[0:1]
	global_load_dwordx2 v[14:15], v[2:3], off
	v_add_u32_e32 v1, 0x100, v1
.LBB4_15:
	s_or_b64 exec, exec, s[4:5]
	v_pk_mov_b32 v[12:13], 0, 0
	v_cmp_gt_i32_e64 s[0:1], s6, v1
	v_pk_mov_b32 v[16:17], v[12:13], v[12:13] op_sel:[0,1]
	s_and_saveexec_b64 s[4:5], s[0:1]
	s_cbranch_execnz .LBB4_18
; %bb.16:
	s_or_b64 exec, exec, s[4:5]
	v_cmp_gt_i32_e64 s[0:1], s6, v1
	s_and_saveexec_b64 s[4:5], s[0:1]
	s_cbranch_execnz .LBB4_19
.LBB4_17:
	s_or_b64 exec, exec, s[4:5]
                                        ; implicit-def: $vgpr2_vgpr3_vgpr4_vgpr5_vgpr6_vgpr7_vgpr8_vgpr9
	s_and_saveexec_b64 s[4:5], vcc
	s_cbranch_execnz .LBB4_20
	s_branch .LBB4_23
.LBB4_18:
	v_add_u32_e32 v2, s2, v1
	v_mov_b32_e32 v3, 0
	v_lshlrev_b64 v[2:3], 3, v[2:3]
	v_mov_b32_e32 v4, s15
	v_add_co_u32_e64 v2, s[0:1], s14, v2
	v_addc_co_u32_e64 v3, s[0:1], v4, v3, s[0:1]
	global_load_dwordx2 v[16:17], v[2:3], off
	v_add_u32_e32 v1, 0x100, v1
	s_or_b64 exec, exec, s[4:5]
	v_cmp_gt_i32_e64 s[0:1], s6, v1
	s_and_saveexec_b64 s[4:5], s[0:1]
	s_cbranch_execz .LBB4_17
.LBB4_19:
	v_add_u32_e32 v2, s2, v1
	v_mov_b32_e32 v3, 0
	v_lshlrev_b64 v[2:3], 3, v[2:3]
	v_mov_b32_e32 v1, s15
	v_add_co_u32_e64 v2, s[0:1], s14, v2
	v_addc_co_u32_e64 v3, s[0:1], v1, v3, s[0:1]
	global_load_dwordx2 v[12:13], v[2:3], off
	s_or_b64 exec, exec, s[4:5]
                                        ; implicit-def: $vgpr2_vgpr3_vgpr4_vgpr5_vgpr6_vgpr7_vgpr8_vgpr9
	s_and_saveexec_b64 s[4:5], vcc
	s_cbranch_execz .LBB4_23
.LBB4_20:
	s_waitcnt vmcnt(0)
	v_cvt_f32_f64_e32 v1, v[18:19]
	s_mov_b32 s0, 0x7f800000
	v_cmp_nlg_f32_e64 s[14:15], |v1|, s0
	s_and_saveexec_b64 s[0:1], s[14:15]
	s_cbranch_execz .LBB4_22
; %bb.21:
	v_mov_b32_e32 v1, 0
	v_mov_b32_e32 v2, 1.0
	global_store_dword v1, v2, s[8:9]
.LBB4_22:
	s_or_b64 exec, exec, s[0:1]
	v_mov_b32_e32 v1, 0
	global_load_dword v1, v1, s[10:11]
	s_waitcnt vmcnt(0)
	v_cvt_f64_f32_e32 v[2:3], v1
	v_mul_f64 v[2:3], v[18:19], v[2:3]
	v_cmp_eq_f32_e64 s[0:1], 1.0, v1
	v_cndmask_b32_e64 v3, v3, v19, s[0:1]
	v_cndmask_b32_e64 v2, v2, v18, s[0:1]
.LBB4_23:
	s_or_b64 exec, exec, s[4:5]
	v_or_b32_e32 v1, 0x100, v0
	v_cmp_gt_i32_e64 s[0:1], s6, v1
	s_and_saveexec_b64 s[4:5], s[0:1]
	s_cbranch_execz .LBB4_27
; %bb.24:
	s_waitcnt vmcnt(0)
	v_cvt_f32_f64_e32 v4, v[14:15]
	s_mov_b32 s0, 0x7f800000
	v_cmp_nlg_f32_e64 s[14:15], |v4|, s0
	s_and_saveexec_b64 s[0:1], s[14:15]
	s_cbranch_execz .LBB4_26
; %bb.25:
	v_mov_b32_e32 v4, 0
	v_mov_b32_e32 v5, 1.0
	global_store_dword v4, v5, s[8:9]
.LBB4_26:
	s_or_b64 exec, exec, s[0:1]
	v_mov_b32_e32 v4, 0
	global_load_dword v11, v4, s[10:11]
	s_waitcnt vmcnt(0)
	v_cvt_f64_f32_e32 v[4:5], v11
	v_mul_f64 v[4:5], v[14:15], v[4:5]
	v_cmp_eq_f32_e64 s[0:1], 1.0, v11
	v_cndmask_b32_e64 v5, v5, v15, s[0:1]
	v_cndmask_b32_e64 v4, v4, v14, s[0:1]
.LBB4_27:
	s_or_b64 exec, exec, s[4:5]
	v_or_b32_e32 v11, 0x200, v0
	v_cmp_gt_i32_e64 s[0:1], s6, v11
	s_and_saveexec_b64 s[4:5], s[0:1]
	s_cbranch_execz .LBB4_31
; %bb.28:
	s_waitcnt vmcnt(0)
	v_cvt_f32_f64_e32 v6, v[16:17]
	s_mov_b32 s0, 0x7f800000
	v_cmp_nlg_f32_e64 s[14:15], |v6|, s0
	s_and_saveexec_b64 s[0:1], s[14:15]
	s_cbranch_execz .LBB4_30
; %bb.29:
	v_mov_b32_e32 v6, 0
	v_mov_b32_e32 v7, 1.0
	global_store_dword v6, v7, s[8:9]
.LBB4_30:
	s_or_b64 exec, exec, s[0:1]
	v_mov_b32_e32 v6, 0
	global_load_dword v11, v6, s[10:11]
	s_waitcnt vmcnt(0)
	v_cvt_f64_f32_e32 v[6:7], v11
	v_mul_f64 v[6:7], v[16:17], v[6:7]
	v_cmp_eq_f32_e64 s[0:1], 1.0, v11
	v_cndmask_b32_e64 v7, v7, v17, s[0:1]
	v_cndmask_b32_e64 v6, v6, v16, s[0:1]
.LBB4_31:
	s_or_b64 exec, exec, s[4:5]
	v_or_b32_e32 v11, 0x300, v0
	v_cmp_gt_i32_e64 s[0:1], s6, v11
	s_and_saveexec_b64 s[4:5], s[0:1]
	s_cbranch_execnz .LBB4_38
; %bb.32:
	s_or_b64 exec, exec, s[4:5]
	s_and_saveexec_b64 s[0:1], vcc
	s_xor_b64 s[0:1], exec, s[0:1]
	s_cbranch_execnz .LBB4_41
.LBB4_33:
	s_or_b64 exec, exec, s[0:1]
	v_cmp_gt_i32_e32 vcc, s6, v0
	s_and_saveexec_b64 s[0:1], vcc
	s_cbranch_execnz .LBB4_42
.LBB4_34:
	s_or_b64 exec, exec, s[0:1]
	v_cmp_gt_i32_e32 vcc, s6, v0
	s_and_saveexec_b64 s[0:1], vcc
	s_cbranch_execnz .LBB4_43
.LBB4_35:
	s_or_b64 exec, exec, s[0:1]
	v_cmp_gt_i32_e32 vcc, s6, v0
	s_and_saveexec_b64 s[0:1], vcc
	s_cbranch_execz .LBB4_37
.LBB4_36:
	v_add_u32_e32 v0, s2, v0
	v_mov_b32_e32 v1, 0
	v_lshlrev_b64 v[0:1], 3, v[0:1]
	v_mov_b32_e32 v2, s13
	v_add_co_u32_e32 v0, vcc, s12, v0
	v_addc_co_u32_e32 v1, vcc, v2, v1, vcc
	global_store_dwordx2 v[0:1], v[8:9], off
.LBB4_37:
	s_endpgm
.LBB4_38:
	s_waitcnt vmcnt(0)
	v_cvt_f32_f64_e32 v8, v[12:13]
	s_mov_b32 s0, 0x7f800000
	v_cmp_nlg_f32_e64 s[14:15], |v8|, s0
	s_and_saveexec_b64 s[0:1], s[14:15]
	s_cbranch_execz .LBB4_40
; %bb.39:
	v_mov_b32_e32 v8, 0
	v_mov_b32_e32 v9, 1.0
	global_store_dword v8, v9, s[8:9]
.LBB4_40:
	s_or_b64 exec, exec, s[0:1]
	v_mov_b32_e32 v8, 0
	global_load_dword v11, v8, s[10:11]
	s_waitcnt vmcnt(0)
	v_cvt_f64_f32_e32 v[8:9], v11
	v_mul_f64 v[8:9], v[12:13], v[8:9]
	v_cmp_eq_f32_e64 s[0:1], 1.0, v11
	v_cndmask_b32_e64 v9, v9, v13, s[0:1]
	v_cndmask_b32_e64 v8, v8, v12, s[0:1]
	s_or_b64 exec, exec, s[4:5]
	s_and_saveexec_b64 s[0:1], vcc
	s_xor_b64 s[0:1], exec, s[0:1]
	s_cbranch_execz .LBB4_33
.LBB4_41:
	v_mov_b32_e32 v11, 0
	v_lshlrev_b64 v[10:11], 3, v[10:11]
	v_mov_b32_e32 v0, s13
	v_add_co_u32_e32 v10, vcc, s12, v10
	v_addc_co_u32_e32 v11, vcc, v0, v11, vcc
	v_mov_b32_e32 v0, v1
	global_store_dwordx2 v[10:11], v[2:3], off
	s_or_b64 exec, exec, s[0:1]
	v_cmp_gt_i32_e32 vcc, s6, v0
	s_and_saveexec_b64 s[0:1], vcc
	s_cbranch_execz .LBB4_34
.LBB4_42:
	v_add_u32_e32 v2, s2, v0
	v_mov_b32_e32 v3, 0
	v_lshlrev_b64 v[2:3], 3, v[2:3]
	v_mov_b32_e32 v1, s13
	v_add_co_u32_e32 v2, vcc, s12, v2
	v_addc_co_u32_e32 v3, vcc, v1, v3, vcc
	v_add_u32_e32 v0, 0x100, v0
	global_store_dwordx2 v[2:3], v[4:5], off
	s_or_b64 exec, exec, s[0:1]
	v_cmp_gt_i32_e32 vcc, s6, v0
	s_and_saveexec_b64 s[0:1], vcc
	s_cbranch_execz .LBB4_35
.LBB4_43:
	v_add_u32_e32 v2, s2, v0
	v_mov_b32_e32 v3, 0
	v_lshlrev_b64 v[2:3], 3, v[2:3]
	v_mov_b32_e32 v1, s13
	v_add_co_u32_e32 v2, vcc, s12, v2
	v_addc_co_u32_e32 v3, vcc, v1, v3, vcc
	v_add_u32_e32 v0, 0x100, v0
	global_store_dwordx2 v[2:3], v[6:7], off
	s_or_b64 exec, exec, s[0:1]
	v_cmp_gt_i32_e32 vcc, s6, v0
	s_and_saveexec_b64 s[0:1], vcc
	s_cbranch_execnz .LBB4_36
	s_branch .LBB4_37
	.section	.rodata,"a",@progbits
	.p2align	6, 0x0
	.amdhsa_kernel _ZN2at6native29vectorized_elementwise_kernelILi2EZZZNS0_12_GLOBAL__N_139_amp_non_finite_check_and_unscale_cuda_ERNS_6TensorES4_RKS3_ENKUlvE_clEvENKUlvE_clEvEUldE_St5arrayIPcLm2EEEEviT0_T1_
		.amdhsa_group_segment_fixed_size 0
		.amdhsa_private_segment_fixed_size 0
		.amdhsa_kernarg_size 40
		.amdhsa_user_sgpr_count 6
		.amdhsa_user_sgpr_private_segment_buffer 1
		.amdhsa_user_sgpr_dispatch_ptr 0
		.amdhsa_user_sgpr_queue_ptr 0
		.amdhsa_user_sgpr_kernarg_segment_ptr 1
		.amdhsa_user_sgpr_dispatch_id 0
		.amdhsa_user_sgpr_flat_scratch_init 0
		.amdhsa_user_sgpr_kernarg_preload_length 0
		.amdhsa_user_sgpr_kernarg_preload_offset 0
		.amdhsa_user_sgpr_private_segment_size 0
		.amdhsa_uses_dynamic_stack 0
		.amdhsa_system_sgpr_private_segment_wavefront_offset 0
		.amdhsa_system_sgpr_workgroup_id_x 1
		.amdhsa_system_sgpr_workgroup_id_y 0
		.amdhsa_system_sgpr_workgroup_id_z 0
		.amdhsa_system_sgpr_workgroup_info 0
		.amdhsa_system_vgpr_workitem_id 0
		.amdhsa_next_free_vgpr 22
		.amdhsa_next_free_sgpr 18
		.amdhsa_accum_offset 24
		.amdhsa_reserve_vcc 1
		.amdhsa_reserve_flat_scratch 0
		.amdhsa_float_round_mode_32 0
		.amdhsa_float_round_mode_16_64 0
		.amdhsa_float_denorm_mode_32 3
		.amdhsa_float_denorm_mode_16_64 3
		.amdhsa_dx10_clamp 1
		.amdhsa_ieee_mode 1
		.amdhsa_fp16_overflow 0
		.amdhsa_tg_split 0
		.amdhsa_exception_fp_ieee_invalid_op 0
		.amdhsa_exception_fp_denorm_src 0
		.amdhsa_exception_fp_ieee_div_zero 0
		.amdhsa_exception_fp_ieee_overflow 0
		.amdhsa_exception_fp_ieee_underflow 0
		.amdhsa_exception_fp_ieee_inexact 0
		.amdhsa_exception_int_div_zero 0
	.end_amdhsa_kernel
	.section	.text._ZN2at6native29vectorized_elementwise_kernelILi2EZZZNS0_12_GLOBAL__N_139_amp_non_finite_check_and_unscale_cuda_ERNS_6TensorES4_RKS3_ENKUlvE_clEvENKUlvE_clEvEUldE_St5arrayIPcLm2EEEEviT0_T1_,"axG",@progbits,_ZN2at6native29vectorized_elementwise_kernelILi2EZZZNS0_12_GLOBAL__N_139_amp_non_finite_check_and_unscale_cuda_ERNS_6TensorES4_RKS3_ENKUlvE_clEvENKUlvE_clEvEUldE_St5arrayIPcLm2EEEEviT0_T1_,comdat
.Lfunc_end4:
	.size	_ZN2at6native29vectorized_elementwise_kernelILi2EZZZNS0_12_GLOBAL__N_139_amp_non_finite_check_and_unscale_cuda_ERNS_6TensorES4_RKS3_ENKUlvE_clEvENKUlvE_clEvEUldE_St5arrayIPcLm2EEEEviT0_T1_, .Lfunc_end4-_ZN2at6native29vectorized_elementwise_kernelILi2EZZZNS0_12_GLOBAL__N_139_amp_non_finite_check_and_unscale_cuda_ERNS_6TensorES4_RKS3_ENKUlvE_clEvENKUlvE_clEvEUldE_St5arrayIPcLm2EEEEviT0_T1_
                                        ; -- End function
	.section	.AMDGPU.csdata,"",@progbits
; Kernel info:
; codeLenInByte = 1664
; NumSgprs: 22
; NumVgprs: 22
; NumAgprs: 0
; TotalNumVgprs: 22
; ScratchSize: 0
; MemoryBound: 0
; FloatMode: 240
; IeeeMode: 1
; LDSByteSize: 0 bytes/workgroup (compile time only)
; SGPRBlocks: 2
; VGPRBlocks: 2
; NumSGPRsForWavesPerEU: 22
; NumVGPRsForWavesPerEU: 22
; AccumOffset: 24
; Occupancy: 8
; WaveLimiterHint : 1
; COMPUTE_PGM_RSRC2:SCRATCH_EN: 0
; COMPUTE_PGM_RSRC2:USER_SGPR: 6
; COMPUTE_PGM_RSRC2:TRAP_HANDLER: 0
; COMPUTE_PGM_RSRC2:TGID_X_EN: 1
; COMPUTE_PGM_RSRC2:TGID_Y_EN: 0
; COMPUTE_PGM_RSRC2:TGID_Z_EN: 0
; COMPUTE_PGM_RSRC2:TIDIG_COMP_CNT: 0
; COMPUTE_PGM_RSRC3_GFX90A:ACCUM_OFFSET: 5
; COMPUTE_PGM_RSRC3_GFX90A:TG_SPLIT: 0
	.section	.text._ZN2at6native27unrolled_elementwise_kernelIZZZNS0_12_GLOBAL__N_139_amp_non_finite_check_and_unscale_cuda_ERNS_6TensorES4_RKS3_ENKUlvE_clEvENKUlvE_clEvEUldE_St5arrayIPcLm2EELi4E23TrivialOffsetCalculatorILi1EjESE_NS0_6memory15LoadWithoutCastENSF_16StoreWithoutCastEEEviT_T0_T2_T3_T4_T5_,"axG",@progbits,_ZN2at6native27unrolled_elementwise_kernelIZZZNS0_12_GLOBAL__N_139_amp_non_finite_check_and_unscale_cuda_ERNS_6TensorES4_RKS3_ENKUlvE_clEvENKUlvE_clEvEUldE_St5arrayIPcLm2EELi4E23TrivialOffsetCalculatorILi1EjESE_NS0_6memory15LoadWithoutCastENSF_16StoreWithoutCastEEEviT_T0_T2_T3_T4_T5_,comdat
	.globl	_ZN2at6native27unrolled_elementwise_kernelIZZZNS0_12_GLOBAL__N_139_amp_non_finite_check_and_unscale_cuda_ERNS_6TensorES4_RKS3_ENKUlvE_clEvENKUlvE_clEvEUldE_St5arrayIPcLm2EELi4E23TrivialOffsetCalculatorILi1EjESE_NS0_6memory15LoadWithoutCastENSF_16StoreWithoutCastEEEviT_T0_T2_T3_T4_T5_ ; -- Begin function _ZN2at6native27unrolled_elementwise_kernelIZZZNS0_12_GLOBAL__N_139_amp_non_finite_check_and_unscale_cuda_ERNS_6TensorES4_RKS3_ENKUlvE_clEvENKUlvE_clEvEUldE_St5arrayIPcLm2EELi4E23TrivialOffsetCalculatorILi1EjESE_NS0_6memory15LoadWithoutCastENSF_16StoreWithoutCastEEEviT_T0_T2_T3_T4_T5_
	.p2align	8
	.type	_ZN2at6native27unrolled_elementwise_kernelIZZZNS0_12_GLOBAL__N_139_amp_non_finite_check_and_unscale_cuda_ERNS_6TensorES4_RKS3_ENKUlvE_clEvENKUlvE_clEvEUldE_St5arrayIPcLm2EELi4E23TrivialOffsetCalculatorILi1EjESE_NS0_6memory15LoadWithoutCastENSF_16StoreWithoutCastEEEviT_T0_T2_T3_T4_T5_,@function
_ZN2at6native27unrolled_elementwise_kernelIZZZNS0_12_GLOBAL__N_139_amp_non_finite_check_and_unscale_cuda_ERNS_6TensorES4_RKS3_ENKUlvE_clEvENKUlvE_clEvEUldE_St5arrayIPcLm2EELi4E23TrivialOffsetCalculatorILi1EjESE_NS0_6memory15LoadWithoutCastENSF_16StoreWithoutCastEEEviT_T0_T2_T3_T4_T5_: ; @_ZN2at6native27unrolled_elementwise_kernelIZZZNS0_12_GLOBAL__N_139_amp_non_finite_check_and_unscale_cuda_ERNS_6TensorES4_RKS3_ENKUlvE_clEvENKUlvE_clEvEUldE_St5arrayIPcLm2EELi4E23TrivialOffsetCalculatorILi1EjESE_NS0_6memory15LoadWithoutCastENSF_16StoreWithoutCastEEEviT_T0_T2_T3_T4_T5_
; %bb.0:
	s_load_dword s0, s[4:5], 0x0
	s_load_dwordx8 s[8:15], s[4:5], 0x8
	s_lshl_b32 s4, s6, 10
	v_pk_mov_b32 v[14:15], 0, 0
	v_or_b32_e32 v10, s4, v0
	s_waitcnt lgkmcnt(0)
	s_sub_i32 s5, s0, s4
	v_cmp_gt_i32_e32 vcc, s5, v0
	v_pk_mov_b32 v[18:19], v[14:15], v[14:15] op_sel:[0,1]
	v_mov_b32_e32 v1, v0
	s_and_saveexec_b64 s[2:3], vcc
	s_cbranch_execz .LBB5_2
; %bb.1:
	v_mov_b32_e32 v11, 0
	v_lshlrev_b64 v[2:3], 3, v[10:11]
	v_mov_b32_e32 v1, s15
	v_add_co_u32_e64 v2, s[0:1], s14, v2
	v_addc_co_u32_e64 v3, s[0:1], v1, v3, s[0:1]
	global_load_dwordx2 v[18:19], v[2:3], off
	v_or_b32_e32 v1, 0x100, v0
.LBB5_2:
	s_or_b64 exec, exec, s[2:3]
	v_cmp_gt_i32_e64 s[0:1], s5, v1
	s_and_saveexec_b64 s[2:3], s[0:1]
	s_cbranch_execz .LBB5_4
; %bb.3:
	v_add_u32_e32 v2, s4, v1
	v_mov_b32_e32 v3, 0
	v_lshlrev_b64 v[2:3], 3, v[2:3]
	v_mov_b32_e32 v4, s15
	v_add_co_u32_e64 v2, s[0:1], s14, v2
	v_addc_co_u32_e64 v3, s[0:1], v4, v3, s[0:1]
	global_load_dwordx2 v[14:15], v[2:3], off
	v_add_u32_e32 v1, 0x100, v1
.LBB5_4:
	s_or_b64 exec, exec, s[2:3]
	v_pk_mov_b32 v[12:13], 0, 0
	v_cmp_gt_i32_e64 s[0:1], s5, v1
	v_pk_mov_b32 v[16:17], v[12:13], v[12:13] op_sel:[0,1]
	s_and_saveexec_b64 s[2:3], s[0:1]
	s_cbranch_execnz .LBB5_7
; %bb.5:
	s_or_b64 exec, exec, s[2:3]
	v_cmp_gt_i32_e64 s[0:1], s5, v1
	s_and_saveexec_b64 s[2:3], s[0:1]
	s_cbranch_execnz .LBB5_8
.LBB5_6:
	s_or_b64 exec, exec, s[2:3]
                                        ; implicit-def: $vgpr2_vgpr3_vgpr4_vgpr5_vgpr6_vgpr7_vgpr8_vgpr9
	s_and_saveexec_b64 s[2:3], vcc
	s_cbranch_execnz .LBB5_9
	s_branch .LBB5_12
.LBB5_7:
	v_add_u32_e32 v2, s4, v1
	v_mov_b32_e32 v3, 0
	v_lshlrev_b64 v[2:3], 3, v[2:3]
	v_mov_b32_e32 v4, s15
	v_add_co_u32_e64 v2, s[0:1], s14, v2
	v_addc_co_u32_e64 v3, s[0:1], v4, v3, s[0:1]
	global_load_dwordx2 v[16:17], v[2:3], off
	v_add_u32_e32 v1, 0x100, v1
	s_or_b64 exec, exec, s[2:3]
	v_cmp_gt_i32_e64 s[0:1], s5, v1
	s_and_saveexec_b64 s[2:3], s[0:1]
	s_cbranch_execz .LBB5_6
.LBB5_8:
	v_add_u32_e32 v2, s4, v1
	v_mov_b32_e32 v3, 0
	v_lshlrev_b64 v[2:3], 3, v[2:3]
	v_mov_b32_e32 v1, s15
	v_add_co_u32_e64 v2, s[0:1], s14, v2
	v_addc_co_u32_e64 v3, s[0:1], v1, v3, s[0:1]
	global_load_dwordx2 v[12:13], v[2:3], off
	s_or_b64 exec, exec, s[2:3]
                                        ; implicit-def: $vgpr2_vgpr3_vgpr4_vgpr5_vgpr6_vgpr7_vgpr8_vgpr9
	s_and_saveexec_b64 s[2:3], vcc
	s_cbranch_execz .LBB5_12
.LBB5_9:
	s_waitcnt vmcnt(0)
	v_cvt_f32_f64_e32 v1, v[18:19]
	s_mov_b32 s0, 0x7f800000
	v_cmp_nlg_f32_e64 s[6:7], |v1|, s0
	s_and_saveexec_b64 s[0:1], s[6:7]
	s_cbranch_execz .LBB5_11
; %bb.10:
	v_mov_b32_e32 v1, 0
	v_mov_b32_e32 v2, 1.0
	global_store_dword v1, v2, s[8:9]
.LBB5_11:
	s_or_b64 exec, exec, s[0:1]
	v_mov_b32_e32 v1, 0
	global_load_dword v1, v1, s[10:11]
	s_waitcnt vmcnt(0)
	v_cvt_f64_f32_e32 v[2:3], v1
	v_mul_f64 v[2:3], v[18:19], v[2:3]
	v_cmp_eq_f32_e64 s[0:1], 1.0, v1
	v_cndmask_b32_e64 v3, v3, v19, s[0:1]
	v_cndmask_b32_e64 v2, v2, v18, s[0:1]
.LBB5_12:
	s_or_b64 exec, exec, s[2:3]
	v_or_b32_e32 v1, 0x100, v0
	v_cmp_gt_i32_e64 s[0:1], s5, v1
	s_and_saveexec_b64 s[2:3], s[0:1]
	s_cbranch_execz .LBB5_16
; %bb.13:
	s_waitcnt vmcnt(0)
	v_cvt_f32_f64_e32 v4, v[14:15]
	s_mov_b32 s0, 0x7f800000
	v_cmp_nlg_f32_e64 s[6:7], |v4|, s0
	s_and_saveexec_b64 s[0:1], s[6:7]
	s_cbranch_execz .LBB5_15
; %bb.14:
	v_mov_b32_e32 v4, 0
	v_mov_b32_e32 v5, 1.0
	global_store_dword v4, v5, s[8:9]
.LBB5_15:
	s_or_b64 exec, exec, s[0:1]
	v_mov_b32_e32 v4, 0
	global_load_dword v11, v4, s[10:11]
	s_waitcnt vmcnt(0)
	v_cvt_f64_f32_e32 v[4:5], v11
	v_mul_f64 v[4:5], v[14:15], v[4:5]
	v_cmp_eq_f32_e64 s[0:1], 1.0, v11
	v_cndmask_b32_e64 v5, v5, v15, s[0:1]
	v_cndmask_b32_e64 v4, v4, v14, s[0:1]
.LBB5_16:
	s_or_b64 exec, exec, s[2:3]
	v_or_b32_e32 v11, 0x200, v0
	v_cmp_gt_i32_e64 s[0:1], s5, v11
	s_and_saveexec_b64 s[2:3], s[0:1]
	s_cbranch_execz .LBB5_20
; %bb.17:
	s_waitcnt vmcnt(0)
	v_cvt_f32_f64_e32 v6, v[16:17]
	s_mov_b32 s0, 0x7f800000
	v_cmp_nlg_f32_e64 s[6:7], |v6|, s0
	s_and_saveexec_b64 s[0:1], s[6:7]
	s_cbranch_execz .LBB5_19
; %bb.18:
	v_mov_b32_e32 v6, 0
	v_mov_b32_e32 v7, 1.0
	global_store_dword v6, v7, s[8:9]
.LBB5_19:
	s_or_b64 exec, exec, s[0:1]
	v_mov_b32_e32 v6, 0
	global_load_dword v11, v6, s[10:11]
	s_waitcnt vmcnt(0)
	v_cvt_f64_f32_e32 v[6:7], v11
	v_mul_f64 v[6:7], v[16:17], v[6:7]
	v_cmp_eq_f32_e64 s[0:1], 1.0, v11
	v_cndmask_b32_e64 v7, v7, v17, s[0:1]
	v_cndmask_b32_e64 v6, v6, v16, s[0:1]
.LBB5_20:
	s_or_b64 exec, exec, s[2:3]
	v_or_b32_e32 v11, 0x300, v0
	v_cmp_gt_i32_e64 s[0:1], s5, v11
	s_and_saveexec_b64 s[2:3], s[0:1]
	s_cbranch_execnz .LBB5_26
; %bb.21:
	s_or_b64 exec, exec, s[2:3]
	s_and_saveexec_b64 s[0:1], vcc
	s_xor_b64 s[0:1], exec, s[0:1]
	s_cbranch_execnz .LBB5_29
.LBB5_22:
	s_or_b64 exec, exec, s[0:1]
	v_cmp_gt_i32_e32 vcc, s5, v0
	s_and_saveexec_b64 s[0:1], vcc
	s_cbranch_execnz .LBB5_30
.LBB5_23:
	s_or_b64 exec, exec, s[0:1]
	v_cmp_gt_i32_e32 vcc, s5, v0
	s_and_saveexec_b64 s[0:1], vcc
	s_cbranch_execnz .LBB5_31
.LBB5_24:
	s_or_b64 exec, exec, s[0:1]
	v_cmp_gt_i32_e32 vcc, s5, v0
	s_and_saveexec_b64 s[0:1], vcc
	s_cbranch_execnz .LBB5_32
.LBB5_25:
	s_endpgm
.LBB5_26:
	s_waitcnt vmcnt(0)
	v_cvt_f32_f64_e32 v8, v[12:13]
	s_mov_b32 s0, 0x7f800000
	v_cmp_nlg_f32_e64 s[6:7], |v8|, s0
	s_and_saveexec_b64 s[0:1], s[6:7]
	s_cbranch_execz .LBB5_28
; %bb.27:
	v_mov_b32_e32 v8, 0
	v_mov_b32_e32 v9, 1.0
	global_store_dword v8, v9, s[8:9]
.LBB5_28:
	s_or_b64 exec, exec, s[0:1]
	v_mov_b32_e32 v8, 0
	global_load_dword v11, v8, s[10:11]
	s_waitcnt vmcnt(0)
	v_cvt_f64_f32_e32 v[8:9], v11
	v_mul_f64 v[8:9], v[12:13], v[8:9]
	v_cmp_eq_f32_e64 s[0:1], 1.0, v11
	v_cndmask_b32_e64 v9, v9, v13, s[0:1]
	v_cndmask_b32_e64 v8, v8, v12, s[0:1]
	s_or_b64 exec, exec, s[2:3]
	s_and_saveexec_b64 s[0:1], vcc
	s_xor_b64 s[0:1], exec, s[0:1]
	s_cbranch_execz .LBB5_22
.LBB5_29:
	v_mov_b32_e32 v11, 0
	v_lshlrev_b64 v[10:11], 3, v[10:11]
	v_mov_b32_e32 v0, s13
	v_add_co_u32_e32 v10, vcc, s12, v10
	v_addc_co_u32_e32 v11, vcc, v0, v11, vcc
	v_mov_b32_e32 v0, v1
	global_store_dwordx2 v[10:11], v[2:3], off
	s_or_b64 exec, exec, s[0:1]
	v_cmp_gt_i32_e32 vcc, s5, v0
	s_and_saveexec_b64 s[0:1], vcc
	s_cbranch_execz .LBB5_23
.LBB5_30:
	v_add_u32_e32 v2, 0x100, v0
	v_add_u32_e32 v0, s4, v0
	v_mov_b32_e32 v1, 0
	v_lshlrev_b64 v[0:1], 3, v[0:1]
	v_mov_b32_e32 v3, s13
	v_add_co_u32_e32 v0, vcc, s12, v0
	v_addc_co_u32_e32 v1, vcc, v3, v1, vcc
	global_store_dwordx2 v[0:1], v[4:5], off
	v_mov_b32_e32 v0, v2
	s_or_b64 exec, exec, s[0:1]
	v_cmp_gt_i32_e32 vcc, s5, v0
	s_and_saveexec_b64 s[0:1], vcc
	s_cbranch_execz .LBB5_24
.LBB5_31:
	v_add_u32_e32 v2, 0x100, v0
	v_add_u32_e32 v0, s4, v0
	v_mov_b32_e32 v1, 0
	v_lshlrev_b64 v[0:1], 3, v[0:1]
	v_mov_b32_e32 v3, s13
	v_add_co_u32_e32 v0, vcc, s12, v0
	v_addc_co_u32_e32 v1, vcc, v3, v1, vcc
	global_store_dwordx2 v[0:1], v[6:7], off
	v_mov_b32_e32 v0, v2
	s_or_b64 exec, exec, s[0:1]
	v_cmp_gt_i32_e32 vcc, s5, v0
	s_and_saveexec_b64 s[0:1], vcc
	s_cbranch_execz .LBB5_25
.LBB5_32:
	v_add_u32_e32 v0, s4, v0
	v_mov_b32_e32 v1, 0
	v_lshlrev_b64 v[0:1], 3, v[0:1]
	v_mov_b32_e32 v2, s13
	v_add_co_u32_e32 v0, vcc, s12, v0
	v_addc_co_u32_e32 v1, vcc, v2, v1, vcc
	global_store_dwordx2 v[0:1], v[8:9], off
	s_endpgm
	.section	.rodata,"a",@progbits
	.p2align	6, 0x0
	.amdhsa_kernel _ZN2at6native27unrolled_elementwise_kernelIZZZNS0_12_GLOBAL__N_139_amp_non_finite_check_and_unscale_cuda_ERNS_6TensorES4_RKS3_ENKUlvE_clEvENKUlvE_clEvEUldE_St5arrayIPcLm2EELi4E23TrivialOffsetCalculatorILi1EjESE_NS0_6memory15LoadWithoutCastENSF_16StoreWithoutCastEEEviT_T0_T2_T3_T4_T5_
		.amdhsa_group_segment_fixed_size 0
		.amdhsa_private_segment_fixed_size 0
		.amdhsa_kernarg_size 44
		.amdhsa_user_sgpr_count 6
		.amdhsa_user_sgpr_private_segment_buffer 1
		.amdhsa_user_sgpr_dispatch_ptr 0
		.amdhsa_user_sgpr_queue_ptr 0
		.amdhsa_user_sgpr_kernarg_segment_ptr 1
		.amdhsa_user_sgpr_dispatch_id 0
		.amdhsa_user_sgpr_flat_scratch_init 0
		.amdhsa_user_sgpr_kernarg_preload_length 0
		.amdhsa_user_sgpr_kernarg_preload_offset 0
		.amdhsa_user_sgpr_private_segment_size 0
		.amdhsa_uses_dynamic_stack 0
		.amdhsa_system_sgpr_private_segment_wavefront_offset 0
		.amdhsa_system_sgpr_workgroup_id_x 1
		.amdhsa_system_sgpr_workgroup_id_y 0
		.amdhsa_system_sgpr_workgroup_id_z 0
		.amdhsa_system_sgpr_workgroup_info 0
		.amdhsa_system_vgpr_workitem_id 0
		.amdhsa_next_free_vgpr 20
		.amdhsa_next_free_sgpr 16
		.amdhsa_accum_offset 20
		.amdhsa_reserve_vcc 1
		.amdhsa_reserve_flat_scratch 0
		.amdhsa_float_round_mode_32 0
		.amdhsa_float_round_mode_16_64 0
		.amdhsa_float_denorm_mode_32 3
		.amdhsa_float_denorm_mode_16_64 3
		.amdhsa_dx10_clamp 1
		.amdhsa_ieee_mode 1
		.amdhsa_fp16_overflow 0
		.amdhsa_tg_split 0
		.amdhsa_exception_fp_ieee_invalid_op 0
		.amdhsa_exception_fp_denorm_src 0
		.amdhsa_exception_fp_ieee_div_zero 0
		.amdhsa_exception_fp_ieee_overflow 0
		.amdhsa_exception_fp_ieee_underflow 0
		.amdhsa_exception_fp_ieee_inexact 0
		.amdhsa_exception_int_div_zero 0
	.end_amdhsa_kernel
	.section	.text._ZN2at6native27unrolled_elementwise_kernelIZZZNS0_12_GLOBAL__N_139_amp_non_finite_check_and_unscale_cuda_ERNS_6TensorES4_RKS3_ENKUlvE_clEvENKUlvE_clEvEUldE_St5arrayIPcLm2EELi4E23TrivialOffsetCalculatorILi1EjESE_NS0_6memory15LoadWithoutCastENSF_16StoreWithoutCastEEEviT_T0_T2_T3_T4_T5_,"axG",@progbits,_ZN2at6native27unrolled_elementwise_kernelIZZZNS0_12_GLOBAL__N_139_amp_non_finite_check_and_unscale_cuda_ERNS_6TensorES4_RKS3_ENKUlvE_clEvENKUlvE_clEvEUldE_St5arrayIPcLm2EELi4E23TrivialOffsetCalculatorILi1EjESE_NS0_6memory15LoadWithoutCastENSF_16StoreWithoutCastEEEviT_T0_T2_T3_T4_T5_,comdat
.Lfunc_end5:
	.size	_ZN2at6native27unrolled_elementwise_kernelIZZZNS0_12_GLOBAL__N_139_amp_non_finite_check_and_unscale_cuda_ERNS_6TensorES4_RKS3_ENKUlvE_clEvENKUlvE_clEvEUldE_St5arrayIPcLm2EELi4E23TrivialOffsetCalculatorILi1EjESE_NS0_6memory15LoadWithoutCastENSF_16StoreWithoutCastEEEviT_T0_T2_T3_T4_T5_, .Lfunc_end5-_ZN2at6native27unrolled_elementwise_kernelIZZZNS0_12_GLOBAL__N_139_amp_non_finite_check_and_unscale_cuda_ERNS_6TensorES4_RKS3_ENKUlvE_clEvENKUlvE_clEvEUldE_St5arrayIPcLm2EELi4E23TrivialOffsetCalculatorILi1EjESE_NS0_6memory15LoadWithoutCastENSF_16StoreWithoutCastEEEviT_T0_T2_T3_T4_T5_
                                        ; -- End function
	.section	.AMDGPU.csdata,"",@progbits
; Kernel info:
; codeLenInByte = 1188
; NumSgprs: 20
; NumVgprs: 20
; NumAgprs: 0
; TotalNumVgprs: 20
; ScratchSize: 0
; MemoryBound: 0
; FloatMode: 240
; IeeeMode: 1
; LDSByteSize: 0 bytes/workgroup (compile time only)
; SGPRBlocks: 2
; VGPRBlocks: 2
; NumSGPRsForWavesPerEU: 20
; NumVGPRsForWavesPerEU: 20
; AccumOffset: 20
; Occupancy: 8
; WaveLimiterHint : 0
; COMPUTE_PGM_RSRC2:SCRATCH_EN: 0
; COMPUTE_PGM_RSRC2:USER_SGPR: 6
; COMPUTE_PGM_RSRC2:TRAP_HANDLER: 0
; COMPUTE_PGM_RSRC2:TGID_X_EN: 1
; COMPUTE_PGM_RSRC2:TGID_Y_EN: 0
; COMPUTE_PGM_RSRC2:TGID_Z_EN: 0
; COMPUTE_PGM_RSRC2:TIDIG_COMP_CNT: 0
; COMPUTE_PGM_RSRC3_GFX90A:ACCUM_OFFSET: 4
; COMPUTE_PGM_RSRC3_GFX90A:TG_SPLIT: 0
	.section	.text._ZN2at6native32elementwise_kernel_manual_unrollILi128ELi4EZNS0_22gpu_kernel_impl_nocastIZZZNS0_12_GLOBAL__N_139_amp_non_finite_check_and_unscale_cuda_ERNS_6TensorES5_RKS4_ENKUlvE_clEvENKUlvE_clEvEUldE_EEvRNS_18TensorIteratorBaseERKT_EUlibE_EEviT1_,"axG",@progbits,_ZN2at6native32elementwise_kernel_manual_unrollILi128ELi4EZNS0_22gpu_kernel_impl_nocastIZZZNS0_12_GLOBAL__N_139_amp_non_finite_check_and_unscale_cuda_ERNS_6TensorES5_RKS4_ENKUlvE_clEvENKUlvE_clEvEUldE_EEvRNS_18TensorIteratorBaseERKT_EUlibE_EEviT1_,comdat
	.globl	_ZN2at6native32elementwise_kernel_manual_unrollILi128ELi4EZNS0_22gpu_kernel_impl_nocastIZZZNS0_12_GLOBAL__N_139_amp_non_finite_check_and_unscale_cuda_ERNS_6TensorES5_RKS4_ENKUlvE_clEvENKUlvE_clEvEUldE_EEvRNS_18TensorIteratorBaseERKT_EUlibE_EEviT1_ ; -- Begin function _ZN2at6native32elementwise_kernel_manual_unrollILi128ELi4EZNS0_22gpu_kernel_impl_nocastIZZZNS0_12_GLOBAL__N_139_amp_non_finite_check_and_unscale_cuda_ERNS_6TensorES5_RKS4_ENKUlvE_clEvENKUlvE_clEvEUldE_EEvRNS_18TensorIteratorBaseERKT_EUlibE_EEviT1_
	.p2align	8
	.type	_ZN2at6native32elementwise_kernel_manual_unrollILi128ELi4EZNS0_22gpu_kernel_impl_nocastIZZZNS0_12_GLOBAL__N_139_amp_non_finite_check_and_unscale_cuda_ERNS_6TensorES5_RKS4_ENKUlvE_clEvENKUlvE_clEvEUldE_EEvRNS_18TensorIteratorBaseERKT_EUlibE_EEviT1_,@function
_ZN2at6native32elementwise_kernel_manual_unrollILi128ELi4EZNS0_22gpu_kernel_impl_nocastIZZZNS0_12_GLOBAL__N_139_amp_non_finite_check_and_unscale_cuda_ERNS_6TensorES5_RKS4_ENKUlvE_clEvENKUlvE_clEvEUldE_EEvRNS_18TensorIteratorBaseERKT_EUlibE_EEviT1_: ; @_ZN2at6native32elementwise_kernel_manual_unrollILi128ELi4EZNS0_22gpu_kernel_impl_nocastIZZZNS0_12_GLOBAL__N_139_amp_non_finite_check_and_unscale_cuda_ERNS_6TensorES5_RKS4_ENKUlvE_clEvENKUlvE_clEvEUldE_EEvRNS_18TensorIteratorBaseERKT_EUlibE_EEviT1_
; %bb.0:
	s_load_dword s61, s[4:5], 0x0
	s_load_dword s33, s[4:5], 0x8
	s_or_b32 s4, s4, 8
	v_lshl_or_b32 v8, s6, 9, v0
	v_or_b32_e32 v15, 0x180, v8
	s_waitcnt lgkmcnt(0)
	v_cmp_le_i32_e32 vcc, s61, v15
	s_add_i32 s60, s33, -1
	s_cmp_gt_u32 s60, 1
	s_cselect_b64 s[6:7], -1, 0
	s_and_saveexec_b64 s[0:1], vcc
	s_xor_b64 s[34:35], exec, s[0:1]
	s_cbranch_execz .LBB6_8
; %bb.1:
	s_load_dwordx4 s[36:39], s[4:5], 0x4
	s_load_dwordx2 s[44:45], s[4:5], 0x14
	s_load_dwordx4 s[0:3], s[4:5], 0xc4
	s_load_dwordx8 s[8:15], s[4:5], 0x148
	s_cmp_lg_u32 s33, 0
	s_cselect_b64 s[50:51], -1, 0
	s_add_u32 s48, s4, 0xc4
	s_addc_u32 s49, s5, 0
	s_min_u32 s62, s60, 15
	s_cmp_gt_u32 s33, 1
	s_cselect_b64 s[46:47], -1, 0
	v_cmp_gt_i32_e32 vcc, s61, v8
	s_and_saveexec_b64 s[52:53], vcc
	s_cbranch_execz .LBB6_16
; %bb.2:
	s_andn2_b64 vcc, exec, s[6:7]
	s_cbranch_vccnz .LBB6_24
; %bb.3:
	s_mov_b32 s54, 0
	s_andn2_b64 vcc, exec, s[50:51]
	v_mov_b32_e32 v2, 0
	v_mov_b32_e32 v0, 0
	s_cbranch_vccnz .LBB6_88
; %bb.4:
	s_add_i32 s63, s62, 1
	s_cmp_eq_u32 s60, 2
	s_cbranch_scc1 .LBB6_83
; %bb.5:
	s_and_b32 s54, s63, 28
	s_mov_b32 s55, 0
	v_mov_b32_e32 v0, 0
	s_mov_b64 s[56:57], s[4:5]
	s_mov_b64 s[58:59], s[48:49]
	v_mov_b32_e32 v3, v8
	v_mov_b32_e32 v2, 0
.LBB6_6:                                ; =>This Inner Loop Header: Depth=1
	s_load_dwordx8 s[24:31], s[56:57], 0x4
	s_load_dwordx4 s[40:43], s[56:57], 0x24
	s_load_dwordx8 s[16:23], s[58:59], 0x0
	s_add_u32 s56, s56, 48
	s_addc_u32 s57, s57, 0
	s_waitcnt lgkmcnt(0)
	v_mul_hi_u32 v1, s25, v3
	v_add_u32_e32 v1, v3, v1
	v_lshrrev_b32_e32 v1, s26, v1
	v_mul_lo_u32 v4, v1, s24
	v_mul_hi_u32 v5, s28, v1
	v_sub_u32_e32 v3, v3, v4
	v_add_u32_e32 v4, v1, v5
	v_lshrrev_b32_e32 v4, s29, v4
	v_mul_lo_u32 v6, v4, s27
	v_mul_hi_u32 v7, s31, v4
	v_sub_u32_e32 v1, v1, v6
	v_add_u32_e32 v6, v4, v7
	v_mul_lo_u32 v5, v3, s17
	v_mul_lo_u32 v3, v3, s16
	;; [unrolled: 1-line block ×4, first 2 shown]
	v_lshrrev_b32_e32 v6, s40, v6
	v_add3_u32 v0, v3, v0, v1
	v_mul_hi_u32 v3, s42, v6
	v_add_u32_e32 v3, v6, v3
	v_lshrrev_b32_e32 v3, s43, v3
	s_add_i32 s55, s55, 4
	v_add3_u32 v1, v5, v2, v7
	v_mul_lo_u32 v2, v6, s30
	v_mul_lo_u32 v5, v3, s41
	s_add_u32 s58, s58, 32
	v_sub_u32_e32 v2, v4, v2
	v_sub_u32_e32 v5, v6, v5
	s_addc_u32 s59, s59, 0
	v_mul_lo_u32 v4, v2, s20
	v_mul_lo_u32 v2, v2, s21
	;; [unrolled: 1-line block ×4, first 2 shown]
	s_cmp_lg_u32 s54, s55
	v_add3_u32 v2, v2, v1, v5
	v_add3_u32 v0, v4, v0, v6
	s_cbranch_scc1 .LBB6_6
; %bb.7:
	v_mov_b32_e32 v1, v2
	s_branch .LBB6_84
.LBB6_8:
	s_andn2_saveexec_b64 s[0:1], s[34:35]
	s_cbranch_execz .LBB6_115
.LBB6_9:
	v_cndmask_b32_e64 v0, 0, 1, s[6:7]
	v_cmp_ne_u32_e64 s[0:1], 1, v0
	s_andn2_b64 vcc, exec, s[6:7]
	s_cbranch_vccnz .LBB6_23
; %bb.10:
	s_mov_b32 s2, 0
	s_cmp_lg_u32 s33, 0
	v_mov_b32_e32 v2, 0
	v_mov_b32_e32 v0, 0
	s_cbranch_scc0 .LBB6_15
; %bb.11:
	s_min_u32 s30, s60, 15
	s_add_i32 s30, s30, 1
	s_cmp_eq_u32 s60, 2
	s_cbranch_scc1 .LBB6_26
; %bb.12:
	s_add_u32 s6, s4, 0xc4
	s_addc_u32 s7, s5, 0
	s_and_b32 s2, s30, 28
	s_mov_b32 s3, 0
	v_mov_b32_e32 v0, 0
	s_mov_b64 s[28:29], s[4:5]
	v_mov_b32_e32 v3, v8
	v_mov_b32_e32 v2, 0
.LBB6_13:                               ; =>This Inner Loop Header: Depth=1
	s_load_dwordx8 s[16:23], s[28:29], 0x4
	s_load_dwordx4 s[24:27], s[28:29], 0x24
	s_load_dwordx8 s[8:15], s[6:7], 0x0
	s_add_u32 s28, s28, 48
	s_addc_u32 s29, s29, 0
	s_waitcnt lgkmcnt(0)
	v_mul_hi_u32 v1, s17, v3
	v_add_u32_e32 v1, v3, v1
	v_lshrrev_b32_e32 v1, s18, v1
	v_mul_lo_u32 v4, v1, s16
	v_mul_hi_u32 v5, s20, v1
	v_sub_u32_e32 v3, v3, v4
	v_add_u32_e32 v4, v1, v5
	v_lshrrev_b32_e32 v4, s21, v4
	v_mul_lo_u32 v6, v4, s19
	v_mul_hi_u32 v7, s23, v4
	v_sub_u32_e32 v1, v1, v6
	v_add_u32_e32 v6, v4, v7
	v_mul_lo_u32 v5, v3, s9
	v_mul_lo_u32 v3, v3, s8
	;; [unrolled: 1-line block ×4, first 2 shown]
	v_lshrrev_b32_e32 v6, s24, v6
	v_add3_u32 v0, v3, v0, v1
	v_mul_hi_u32 v3, s26, v6
	v_add_u32_e32 v3, v6, v3
	v_lshrrev_b32_e32 v3, s27, v3
	s_add_i32 s3, s3, 4
	v_add3_u32 v1, v5, v2, v7
	v_mul_lo_u32 v2, v6, s22
	v_mul_lo_u32 v5, v3, s25
	s_add_u32 s6, s6, 32
	v_sub_u32_e32 v2, v4, v2
	v_sub_u32_e32 v5, v6, v5
	s_addc_u32 s7, s7, 0
	v_mul_lo_u32 v4, v2, s12
	v_mul_lo_u32 v2, v2, s13
	;; [unrolled: 1-line block ×4, first 2 shown]
	s_cmp_lg_u32 s2, s3
	v_add3_u32 v2, v2, v1, v5
	v_add3_u32 v0, v4, v0, v6
	s_cbranch_scc1 .LBB6_13
; %bb.14:
	v_mov_b32_e32 v1, v2
	s_and_b32 s8, s30, 3
	s_cmp_eq_u32 s8, 0
	s_cbranch_scc0 .LBB6_27
.LBB6_15:
	s_cbranch_execz .LBB6_30
	s_branch .LBB6_32
.LBB6_16:
	s_or_b64 exec, exec, s[52:53]
	v_cmp_gt_i32_e32 vcc, s61, v8
	s_and_saveexec_b64 s[52:53], vcc
	s_cbranch_execz .LBB6_94
.LBB6_17:
	s_andn2_b64 vcc, exec, s[6:7]
	s_cbranch_vccnz .LBB6_25
; %bb.18:
	s_mov_b32 s54, 0
	s_andn2_b64 vcc, exec, s[50:51]
	v_mov_b32_e32 v2, 0
	v_mov_b32_e32 v0, 0
	s_cbranch_vccnz .LBB6_107
; %bb.19:
	s_add_i32 s63, s62, 1
	s_cmp_eq_u32 s60, 2
	s_cbranch_scc1 .LBB6_102
; %bb.20:
	s_and_b32 s54, s63, 28
	s_mov_b32 s55, 0
	v_mov_b32_e32 v0, 0
	s_mov_b64 s[56:57], s[4:5]
	s_mov_b64 s[58:59], s[48:49]
	v_mov_b32_e32 v3, v8
	v_mov_b32_e32 v2, 0
.LBB6_21:                               ; =>This Inner Loop Header: Depth=1
	s_load_dwordx8 s[24:31], s[56:57], 0x4
	s_load_dwordx4 s[40:43], s[56:57], 0x24
	s_load_dwordx8 s[16:23], s[58:59], 0x0
	s_add_u32 s56, s56, 48
	s_addc_u32 s57, s57, 0
	s_waitcnt lgkmcnt(0)
	v_mul_hi_u32 v1, s25, v3
	v_add_u32_e32 v1, v3, v1
	v_lshrrev_b32_e32 v1, s26, v1
	v_mul_lo_u32 v4, v1, s24
	v_mul_hi_u32 v5, s28, v1
	v_sub_u32_e32 v3, v3, v4
	v_add_u32_e32 v4, v1, v5
	v_lshrrev_b32_e32 v4, s29, v4
	v_mul_lo_u32 v6, v4, s27
	v_mul_hi_u32 v7, s31, v4
	v_sub_u32_e32 v1, v1, v6
	v_add_u32_e32 v6, v4, v7
	v_mul_lo_u32 v5, v3, s17
	v_mul_lo_u32 v3, v3, s16
	v_mul_lo_u32 v7, v1, s19
	v_mul_lo_u32 v1, v1, s18
	v_lshrrev_b32_e32 v6, s40, v6
	v_add3_u32 v0, v3, v0, v1
	v_mul_hi_u32 v3, s42, v6
	v_add_u32_e32 v3, v6, v3
	v_lshrrev_b32_e32 v3, s43, v3
	s_add_i32 s55, s55, 4
	v_add3_u32 v1, v5, v2, v7
	v_mul_lo_u32 v2, v6, s30
	v_mul_lo_u32 v5, v3, s41
	s_add_u32 s58, s58, 32
	v_sub_u32_e32 v2, v4, v2
	v_sub_u32_e32 v5, v6, v5
	s_addc_u32 s59, s59, 0
	v_mul_lo_u32 v4, v2, s20
	v_mul_lo_u32 v2, v2, s21
	v_mul_lo_u32 v6, v5, s22
	v_mul_lo_u32 v5, v5, s23
	s_cmp_eq_u32 s54, s55
	v_add3_u32 v2, v2, v1, v5
	v_add3_u32 v0, v4, v0, v6
	s_cbranch_scc0 .LBB6_21
; %bb.22:
	v_mov_b32_e32 v1, v2
	s_branch .LBB6_103
.LBB6_23:
                                        ; implicit-def: $vgpr2
                                        ; implicit-def: $vgpr0
	s_branch .LBB6_30
.LBB6_24:
                                        ; implicit-def: $vgpr2
                                        ; implicit-def: $vgpr0
	s_branch .LBB6_89
.LBB6_25:
                                        ; implicit-def: $vgpr2
                                        ; implicit-def: $vgpr0
	s_branch .LBB6_108
.LBB6_26:
	s_mov_b32 s3, s2
	v_pk_mov_b32 v[0:1], s[2:3], s[2:3] op_sel:[0,1]
                                        ; implicit-def: $vgpr2
	v_mov_b32_e32 v3, v8
	s_and_b32 s8, s30, 3
	s_cmp_eq_u32 s8, 0
	s_cbranch_scc1 .LBB6_15
.LBB6_27:
	s_lshl_b32 s3, s2, 3
	s_add_u32 s3, s3, s4
	s_addc_u32 s7, 0, s5
	s_add_u32 s6, s3, 0xc4
	s_addc_u32 s7, s7, 0
	s_mul_i32 s2, s2, 12
	s_add_u32 s2, s4, s2
	s_addc_u32 s3, 0, s5
.LBB6_28:                               ; =>This Inner Loop Header: Depth=1
	s_load_dwordx2 s[10:11], s[2:3], 0x4
	s_load_dword s9, s[2:3], 0xc
	s_load_dwordx2 s[12:13], s[6:7], 0x0
	v_mov_b32_e32 v2, v1
	s_add_u32 s2, s2, 12
	s_waitcnt lgkmcnt(0)
	v_mul_hi_u32 v1, s11, v3
	v_add_u32_e32 v1, v3, v1
	v_lshrrev_b32_e32 v1, s9, v1
	s_addc_u32 s3, s3, 0
	v_mul_lo_u32 v4, v1, s10
	s_add_u32 s6, s6, 8
	v_sub_u32_e32 v6, v3, v4
	v_mov_b32_e32 v3, v1
	s_addc_u32 s7, s7, 0
	s_add_i32 s8, s8, -1
	v_mad_u64_u32 v[4:5], s[10:11], v6, s13, v[2:3]
	v_mad_u64_u32 v[0:1], s[10:11], v6, s12, v[0:1]
	s_cmp_lg_u32 s8, 0
	v_mov_b32_e32 v1, v4
	s_cbranch_scc1 .LBB6_28
; %bb.29:
	v_mov_b32_e32 v2, v1
	s_cbranch_execnz .LBB6_32
.LBB6_30:
	s_load_dwordx4 s[8:11], s[4:5], 0x4
	s_load_dwordx2 s[2:3], s[4:5], 0xc4
	s_cmp_lt_u32 s33, 2
	s_waitcnt lgkmcnt(0)
	v_mul_hi_u32 v0, s9, v8
	v_add_u32_e32 v0, v8, v0
	v_lshrrev_b32_e32 v1, s10, v0
	v_mul_lo_u32 v0, v1, s8
	v_sub_u32_e32 v0, v8, v0
	v_mul_lo_u32 v2, v0, s3
	v_mul_lo_u32 v0, v0, s2
	s_cbranch_scc1 .LBB6_32
; %bb.31:
	s_load_dwordx4 s[8:11], s[4:5], 0x10
	s_load_dwordx2 s[2:3], s[4:5], 0xcc
	s_waitcnt lgkmcnt(0)
	v_mul_hi_u32 v3, s9, v1
	v_add_u32_e32 v3, v1, v3
	v_lshrrev_b32_e32 v3, s10, v3
	v_mul_lo_u32 v3, v3, s8
	v_sub_u32_e32 v3, v1, v3
	v_mad_u64_u32 v[0:1], s[6:7], v3, s2, v[0:1]
	v_mad_u64_u32 v[2:3], s[2:3], v3, s3, v[2:3]
.LBB6_32:
	s_and_b64 vcc, exec, s[0:1]
	v_add_u32_e32 v1, 0x80, v8
	s_cbranch_vccnz .LBB6_39
; %bb.33:
	s_mov_b32 s2, 0
	s_cmp_lg_u32 s33, 0
	v_mov_b32_e32 v6, 0
	v_mov_b32_e32 v4, 0
	s_cbranch_scc0 .LBB6_38
; %bb.34:
	s_min_u32 s30, s60, 15
	s_add_i32 s30, s30, 1
	s_cmp_eq_u32 s60, 2
	s_cbranch_scc1 .LBB6_40
; %bb.35:
	s_add_u32 s6, s4, 0xc4
	s_addc_u32 s7, s5, 0
	s_and_b32 s2, s30, 28
	s_mov_b32 s3, 0
	v_mov_b32_e32 v4, 0
	s_mov_b64 s[28:29], s[4:5]
	v_mov_b32_e32 v3, v1
	v_mov_b32_e32 v6, 0
.LBB6_36:                               ; =>This Inner Loop Header: Depth=1
	s_load_dwordx8 s[16:23], s[28:29], 0x4
	s_load_dwordx4 s[24:27], s[28:29], 0x24
	s_load_dwordx8 s[8:15], s[6:7], 0x0
	s_add_u32 s28, s28, 48
	s_addc_u32 s29, s29, 0
	s_waitcnt lgkmcnt(0)
	v_mul_hi_u32 v5, s17, v3
	v_add_u32_e32 v5, v3, v5
	v_lshrrev_b32_e32 v5, s18, v5
	v_mul_lo_u32 v7, v5, s16
	v_mul_hi_u32 v9, s20, v5
	v_sub_u32_e32 v3, v3, v7
	v_add_u32_e32 v7, v5, v9
	v_lshrrev_b32_e32 v7, s21, v7
	v_mul_lo_u32 v10, v7, s19
	v_mul_hi_u32 v11, s23, v7
	v_sub_u32_e32 v5, v5, v10
	v_add_u32_e32 v10, v7, v11
	v_mul_lo_u32 v9, v3, s9
	v_mul_lo_u32 v3, v3, s8
	;; [unrolled: 1-line block ×4, first 2 shown]
	v_lshrrev_b32_e32 v10, s24, v10
	v_add3_u32 v4, v3, v4, v5
	v_add3_u32 v5, v9, v6, v11
	v_mul_lo_u32 v3, v10, s22
	v_mul_hi_u32 v6, s26, v10
	v_sub_u32_e32 v3, v7, v3
	v_add_u32_e32 v6, v10, v6
	v_mul_lo_u32 v7, v3, s12
	v_mul_lo_u32 v9, v3, s13
	v_lshrrev_b32_e32 v3, s27, v6
	s_add_i32 s3, s3, 4
	v_mul_lo_u32 v6, v3, s25
	s_add_u32 s6, s6, 32
	v_sub_u32_e32 v6, v10, v6
	s_addc_u32 s7, s7, 0
	v_mul_lo_u32 v10, v6, s14
	v_mul_lo_u32 v6, v6, s15
	s_cmp_lg_u32 s2, s3
	v_add3_u32 v6, v9, v5, v6
	v_add3_u32 v4, v7, v4, v10
	s_cbranch_scc1 .LBB6_36
; %bb.37:
	v_mov_b32_e32 v5, v6
	s_and_b32 s8, s30, 3
	s_cmp_eq_u32 s8, 0
	s_cbranch_scc0 .LBB6_41
.LBB6_38:
	s_cbranch_execz .LBB6_44
	s_branch .LBB6_46
.LBB6_39:
                                        ; implicit-def: $vgpr6
                                        ; implicit-def: $vgpr4
	s_branch .LBB6_44
.LBB6_40:
	s_mov_b32 s3, s2
	v_pk_mov_b32 v[4:5], s[2:3], s[2:3] op_sel:[0,1]
                                        ; implicit-def: $vgpr6
	v_mov_b32_e32 v3, v1
	s_and_b32 s8, s30, 3
	s_cmp_eq_u32 s8, 0
	s_cbranch_scc1 .LBB6_38
.LBB6_41:
	s_lshl_b32 s3, s2, 3
	s_add_u32 s3, s3, s4
	s_addc_u32 s7, 0, s5
	s_add_u32 s6, s3, 0xc4
	s_addc_u32 s7, s7, 0
	s_mul_i32 s2, s2, 12
	s_add_u32 s2, s4, s2
	s_addc_u32 s3, 0, s5
.LBB6_42:                               ; =>This Inner Loop Header: Depth=1
	s_load_dwordx2 s[10:11], s[2:3], 0x4
	s_load_dword s9, s[2:3], 0xc
	s_load_dwordx2 s[12:13], s[6:7], 0x0
	v_mov_b32_e32 v6, v5
	s_add_u32 s2, s2, 12
	s_waitcnt lgkmcnt(0)
	v_mul_hi_u32 v5, s11, v3
	v_add_u32_e32 v5, v3, v5
	v_lshrrev_b32_e32 v5, s9, v5
	s_addc_u32 s3, s3, 0
	v_mul_lo_u32 v7, v5, s10
	s_add_u32 s6, s6, 8
	v_sub_u32_e32 v9, v3, v7
	s_addc_u32 s7, s7, 0
	s_add_i32 s8, s8, -1
	v_mov_b32_e32 v3, v5
	v_mad_u64_u32 v[6:7], s[10:11], v9, s13, v[6:7]
	v_mad_u64_u32 v[4:5], s[10:11], v9, s12, v[4:5]
	s_cmp_lg_u32 s8, 0
	v_mov_b32_e32 v5, v6
	s_cbranch_scc1 .LBB6_42
; %bb.43:
	v_mov_b32_e32 v6, v5
	s_cbranch_execnz .LBB6_46
.LBB6_44:
	s_load_dwordx4 s[8:11], s[4:5], 0x4
	s_load_dwordx2 s[2:3], s[4:5], 0xc4
	s_cmp_lt_u32 s33, 2
	s_waitcnt lgkmcnt(0)
	v_mul_hi_u32 v3, s9, v1
	v_add_u32_e32 v3, v1, v3
	v_lshrrev_b32_e32 v3, s10, v3
	v_mul_lo_u32 v4, v3, s8
	v_sub_u32_e32 v1, v1, v4
	v_mul_lo_u32 v6, v1, s3
	v_mul_lo_u32 v4, v1, s2
	s_cbranch_scc1 .LBB6_46
; %bb.45:
	s_load_dwordx4 s[8:11], s[4:5], 0x10
	s_load_dwordx2 s[2:3], s[4:5], 0xcc
	s_waitcnt lgkmcnt(0)
	v_mul_hi_u32 v1, s9, v3
	v_add_u32_e32 v1, v3, v1
	v_lshrrev_b32_e32 v1, s10, v1
	v_mul_lo_u32 v1, v1, s8
	v_sub_u32_e32 v1, v3, v1
	v_mad_u64_u32 v[4:5], s[6:7], v1, s2, v[4:5]
	v_mad_u64_u32 v[6:7], s[2:3], v1, s3, v[6:7]
.LBB6_46:
	s_and_b64 vcc, exec, s[0:1]
	v_add_u32_e32 v1, 0x100, v8
	s_cbranch_vccnz .LBB6_53
; %bb.47:
	s_mov_b32 s2, 0
	s_cmp_lg_u32 s33, 0
	v_mov_b32_e32 v10, 0
	v_mov_b32_e32 v8, 0
	s_cbranch_scc0 .LBB6_52
; %bb.48:
	s_min_u32 s30, s60, 15
	s_add_i32 s30, s30, 1
	s_cmp_eq_u32 s60, 2
	s_cbranch_scc1 .LBB6_54
; %bb.49:
	s_add_u32 s6, s4, 0xc4
	s_addc_u32 s7, s5, 0
	s_and_b32 s2, s30, 28
	s_mov_b32 s3, 0
	v_mov_b32_e32 v8, 0
	s_mov_b64 s[28:29], s[4:5]
	v_mov_b32_e32 v3, v1
	v_mov_b32_e32 v10, 0
.LBB6_50:                               ; =>This Inner Loop Header: Depth=1
	s_load_dwordx8 s[16:23], s[28:29], 0x4
	s_load_dwordx4 s[24:27], s[28:29], 0x24
	s_load_dwordx8 s[8:15], s[6:7], 0x0
	s_add_u32 s28, s28, 48
	s_addc_u32 s29, s29, 0
	s_waitcnt lgkmcnt(0)
	v_mul_hi_u32 v5, s17, v3
	v_add_u32_e32 v5, v3, v5
	v_lshrrev_b32_e32 v5, s18, v5
	v_mul_lo_u32 v7, v5, s16
	v_mul_hi_u32 v9, s20, v5
	v_sub_u32_e32 v3, v3, v7
	v_add_u32_e32 v7, v5, v9
	v_lshrrev_b32_e32 v7, s21, v7
	v_mul_lo_u32 v11, v7, s19
	v_mul_hi_u32 v12, s23, v7
	v_sub_u32_e32 v5, v5, v11
	v_add_u32_e32 v11, v7, v12
	v_mul_lo_u32 v9, v3, s9
	v_mul_lo_u32 v3, v3, s8
	;; [unrolled: 1-line block ×4, first 2 shown]
	v_lshrrev_b32_e32 v11, s24, v11
	v_add3_u32 v5, v3, v8, v5
	v_add3_u32 v8, v9, v10, v12
	v_mul_lo_u32 v3, v11, s22
	v_mul_hi_u32 v9, s26, v11
	v_sub_u32_e32 v3, v7, v3
	v_add_u32_e32 v7, v11, v9
	v_mul_lo_u32 v9, v3, s12
	v_mul_lo_u32 v10, v3, s13
	v_lshrrev_b32_e32 v3, s27, v7
	s_add_i32 s3, s3, 4
	v_mul_lo_u32 v7, v3, s25
	s_add_u32 s6, s6, 32
	v_sub_u32_e32 v7, v11, v7
	s_addc_u32 s7, s7, 0
	v_mul_lo_u32 v11, v7, s14
	v_mul_lo_u32 v7, v7, s15
	s_cmp_lg_u32 s2, s3
	v_add3_u32 v10, v10, v8, v7
	v_add3_u32 v8, v9, v5, v11
	s_cbranch_scc1 .LBB6_50
; %bb.51:
	v_mov_b32_e32 v9, v10
	s_and_b32 s8, s30, 3
	s_cmp_eq_u32 s8, 0
	s_cbranch_scc0 .LBB6_55
.LBB6_52:
	s_cbranch_execz .LBB6_58
	s_branch .LBB6_60
.LBB6_53:
                                        ; implicit-def: $vgpr10
                                        ; implicit-def: $vgpr8
	s_branch .LBB6_58
.LBB6_54:
	s_mov_b32 s3, s2
	v_pk_mov_b32 v[8:9], s[2:3], s[2:3] op_sel:[0,1]
                                        ; implicit-def: $vgpr10
	v_mov_b32_e32 v3, v1
	s_and_b32 s8, s30, 3
	s_cmp_eq_u32 s8, 0
	s_cbranch_scc1 .LBB6_52
.LBB6_55:
	s_lshl_b32 s3, s2, 3
	s_add_u32 s3, s3, s4
	s_addc_u32 s7, 0, s5
	s_add_u32 s6, s3, 0xc4
	s_addc_u32 s7, s7, 0
	s_mul_i32 s2, s2, 12
	s_add_u32 s2, s4, s2
	s_addc_u32 s3, 0, s5
.LBB6_56:                               ; =>This Inner Loop Header: Depth=1
	s_load_dwordx2 s[10:11], s[2:3], 0x4
	s_load_dword s9, s[2:3], 0xc
	s_load_dwordx2 s[12:13], s[6:7], 0x0
	s_add_u32 s2, s2, 12
	s_addc_u32 s3, s3, 0
	s_waitcnt lgkmcnt(0)
	v_mul_hi_u32 v5, s11, v3
	v_add_u32_e32 v5, v3, v5
	v_lshrrev_b32_e32 v5, s9, v5
	v_mul_lo_u32 v7, v5, s10
	v_mov_b32_e32 v10, v9
	s_add_u32 s6, s6, 8
	v_sub_u32_e32 v7, v3, v7
	s_addc_u32 s7, s7, 0
	s_add_i32 s8, s8, -1
	v_mad_u64_u32 v[10:11], s[10:11], v7, s13, v[10:11]
	v_mad_u64_u32 v[8:9], s[10:11], v7, s12, v[8:9]
	s_cmp_lg_u32 s8, 0
	v_mov_b32_e32 v3, v5
	v_mov_b32_e32 v9, v10
	s_cbranch_scc1 .LBB6_56
; %bb.57:
	v_mov_b32_e32 v10, v9
	s_cbranch_execnz .LBB6_60
.LBB6_58:
	s_load_dwordx4 s[8:11], s[4:5], 0x4
	s_load_dwordx2 s[2:3], s[4:5], 0xc4
	s_cmp_lt_u32 s33, 2
	s_waitcnt lgkmcnt(0)
	v_mul_hi_u32 v3, s9, v1
	v_add_u32_e32 v3, v1, v3
	v_lshrrev_b32_e32 v3, s10, v3
	v_mul_lo_u32 v5, v3, s8
	v_sub_u32_e32 v1, v1, v5
	v_mul_lo_u32 v10, v1, s3
	v_mul_lo_u32 v8, v1, s2
	s_cbranch_scc1 .LBB6_60
; %bb.59:
	s_load_dwordx4 s[8:11], s[4:5], 0x10
	s_load_dwordx2 s[2:3], s[4:5], 0xcc
	s_waitcnt lgkmcnt(0)
	v_mul_hi_u32 v1, s9, v3
	v_add_u32_e32 v1, v3, v1
	v_lshrrev_b32_e32 v1, s10, v1
	v_mul_lo_u32 v1, v1, s8
	v_sub_u32_e32 v1, v3, v1
	v_mad_u64_u32 v[8:9], s[6:7], v1, s2, v[8:9]
	v_mad_u64_u32 v[10:11], s[2:3], v1, s3, v[10:11]
.LBB6_60:
	s_and_b64 vcc, exec, s[0:1]
	s_cbranch_vccnz .LBB6_67
; %bb.61:
	s_mov_b32 s6, 0
	s_cmp_lg_u32 s33, 0
	v_mov_b32_e32 v14, 0
	v_mov_b32_e32 v12, 0
	s_cbranch_scc0 .LBB6_66
; %bb.62:
	s_min_u32 s28, s60, 15
	s_add_i32 s28, s28, 1
	s_cmp_eq_u32 s60, 2
	s_cbranch_scc1 .LBB6_68
; %bb.63:
	s_add_u32 s24, s4, 0xc4
	s_addc_u32 s25, s5, 0
	s_and_b32 s6, s28, 28
	s_mov_b32 s7, 0
	v_mov_b32_e32 v12, 0
	s_mov_b64 s[26:27], s[4:5]
	v_mov_b32_e32 v1, v15
	v_mov_b32_e32 v14, 0
.LBB6_64:                               ; =>This Inner Loop Header: Depth=1
	s_load_dwordx8 s[16:23], s[26:27], 0x4
	s_load_dwordx4 s[0:3], s[26:27], 0x24
	s_load_dwordx8 s[8:15], s[24:25], 0x0
	s_add_u32 s26, s26, 48
	s_addc_u32 s27, s27, 0
	s_waitcnt lgkmcnt(0)
	v_mul_hi_u32 v3, s17, v1
	v_add_u32_e32 v3, v1, v3
	v_lshrrev_b32_e32 v3, s18, v3
	v_mul_lo_u32 v5, v3, s16
	v_mul_hi_u32 v7, s20, v3
	v_sub_u32_e32 v1, v1, v5
	v_add_u32_e32 v5, v3, v7
	v_lshrrev_b32_e32 v5, s21, v5
	v_mul_lo_u32 v9, v5, s19
	v_mul_hi_u32 v11, s23, v5
	v_sub_u32_e32 v3, v3, v9
	v_add_u32_e32 v9, v5, v11
	v_mul_lo_u32 v7, v1, s9
	v_mul_lo_u32 v1, v1, s8
	;; [unrolled: 1-line block ×4, first 2 shown]
	v_lshrrev_b32_e32 v9, s0, v9
	v_add3_u32 v3, v1, v12, v3
	v_add3_u32 v7, v7, v14, v11
	v_mul_lo_u32 v1, v9, s22
	v_mul_hi_u32 v11, s2, v9
	v_sub_u32_e32 v1, v5, v1
	v_add_u32_e32 v5, v9, v11
	v_mul_lo_u32 v11, v1, s12
	v_mul_lo_u32 v12, v1, s13
	v_lshrrev_b32_e32 v1, s3, v5
	s_add_i32 s7, s7, 4
	v_mul_lo_u32 v5, v1, s1
	s_add_u32 s24, s24, 32
	v_sub_u32_e32 v5, v9, v5
	s_addc_u32 s25, s25, 0
	v_mul_lo_u32 v9, v5, s14
	v_mul_lo_u32 v5, v5, s15
	s_cmp_lg_u32 s6, s7
	v_add3_u32 v14, v12, v7, v5
	v_add3_u32 v12, v11, v3, v9
	s_cbranch_scc1 .LBB6_64
; %bb.65:
	v_mov_b32_e32 v13, v14
	s_and_b32 s7, s28, 3
	s_cmp_eq_u32 s7, 0
	s_cbranch_scc0 .LBB6_69
.LBB6_66:
	s_cbranch_execz .LBB6_72
	s_branch .LBB6_74
.LBB6_67:
                                        ; implicit-def: $vgpr14
                                        ; implicit-def: $vgpr12
	s_branch .LBB6_72
.LBB6_68:
	s_mov_b32 s7, s6
	v_pk_mov_b32 v[12:13], s[6:7], s[6:7] op_sel:[0,1]
                                        ; implicit-def: $vgpr14
	v_mov_b32_e32 v1, v15
	s_and_b32 s7, s28, 3
	s_cmp_eq_u32 s7, 0
	s_cbranch_scc1 .LBB6_66
.LBB6_69:
	s_lshl_b32 s0, s6, 3
	s_add_u32 s0, s0, s4
	s_addc_u32 s1, 0, s5
	s_add_u32 s0, s0, 0xc4
	s_addc_u32 s1, s1, 0
	s_mul_i32 s2, s6, 12
	s_add_u32 s2, s4, s2
	s_addc_u32 s3, 0, s5
.LBB6_70:                               ; =>This Inner Loop Header: Depth=1
	s_load_dwordx2 s[8:9], s[2:3], 0x4
	s_load_dword s6, s[2:3], 0xc
	s_load_dwordx2 s[10:11], s[0:1], 0x0
	s_add_u32 s2, s2, 12
	s_addc_u32 s3, s3, 0
	s_waitcnt lgkmcnt(0)
	v_mul_hi_u32 v3, s9, v1
	v_add_u32_e32 v3, v1, v3
	v_lshrrev_b32_e32 v3, s6, v3
	v_mul_lo_u32 v5, v3, s8
	v_mov_b32_e32 v14, v13
	s_add_u32 s0, s0, 8
	v_sub_u32_e32 v5, v1, v5
	s_addc_u32 s1, s1, 0
	s_add_i32 s7, s7, -1
	v_mad_u64_u32 v[16:17], s[8:9], v5, s11, v[14:15]
	v_mad_u64_u32 v[12:13], s[8:9], v5, s10, v[12:13]
	s_cmp_lg_u32 s7, 0
	v_mov_b32_e32 v1, v3
	v_mov_b32_e32 v13, v16
	s_cbranch_scc1 .LBB6_70
; %bb.71:
	v_mov_b32_e32 v14, v13
	s_cbranch_execnz .LBB6_74
.LBB6_72:
	s_load_dwordx4 s[0:3], s[4:5], 0x4
	s_load_dwordx2 s[6:7], s[4:5], 0xc4
	s_cmp_lt_u32 s33, 2
	s_waitcnt lgkmcnt(0)
	v_mul_hi_u32 v1, s1, v15
	v_add_u32_e32 v1, v15, v1
	v_lshrrev_b32_e32 v1, s2, v1
	v_mul_lo_u32 v3, v1, s0
	v_sub_u32_e32 v3, v15, v3
	v_mul_lo_u32 v14, v3, s7
	v_mul_lo_u32 v12, v3, s6
	s_cbranch_scc1 .LBB6_74
; %bb.73:
	s_load_dwordx4 s[0:3], s[4:5], 0x10
	s_load_dwordx2 s[6:7], s[4:5], 0xcc
	s_waitcnt lgkmcnt(0)
	v_mul_hi_u32 v3, s1, v1
	v_add_u32_e32 v3, v1, v3
	v_lshrrev_b32_e32 v3, s2, v3
	v_mul_lo_u32 v3, v3, s0
	v_sub_u32_e32 v1, v1, v3
	v_mad_u64_u32 v[12:13], s[0:1], v1, s6, v[12:13]
	v_mad_u64_u32 v[14:15], s[0:1], v1, s7, v[14:15]
.LBB6_74:
	s_load_dwordx4 s[0:3], s[4:5], 0x148
	s_load_dwordx2 s[6:7], s[4:5], 0x160
	s_mov_b32 s10, 0x7f800000
	s_waitcnt lgkmcnt(0)
	global_load_dwordx2 v[2:3], v2, s[2:3]
	s_waitcnt vmcnt(0)
	v_cvt_f32_f64_e32 v1, v[2:3]
	v_cmp_nlg_f32_e64 s[12:13], |v1|, s10
	s_and_saveexec_b64 s[8:9], s[12:13]
	s_cbranch_execz .LBB6_76
; %bb.75:
	s_load_dwordx2 s[12:13], s[4:5], 0x158
	v_mov_b32_e32 v1, 0
	v_mov_b32_e32 v5, 1.0
	s_waitcnt lgkmcnt(0)
	global_store_dword v1, v5, s[12:13]
.LBB6_76:
	s_or_b64 exec, exec, s[8:9]
	v_mov_b32_e32 v9, 0
	global_load_dwordx2 v[16:17], v6, s[2:3]
	global_load_dword v1, v9, s[6:7]
	s_waitcnt vmcnt(1)
	v_cvt_f32_f64_e32 v5, v[16:17]
	s_waitcnt vmcnt(0)
	v_cvt_f64_f32_e32 v[6:7], v1
	v_cmp_nlg_f32_e64 s[10:11], |v5|, s10
	v_pk_mov_b32 v[18:19], v[6:7], v[6:7] op_sel:[0,1]
	v_mov_b32_e32 v5, v1
	s_and_saveexec_b64 s[8:9], s[10:11]
	s_cbranch_execz .LBB6_78
; %bb.77:
	s_load_dwordx2 s[10:11], s[4:5], 0x158
	v_mov_b32_e32 v5, 1.0
	s_waitcnt lgkmcnt(0)
	global_store_dword v9, v5, s[10:11]
	global_load_dword v5, v9, s[6:7]
	s_waitcnt vmcnt(0)
	v_cvt_f64_f32_e32 v[18:19], v5
.LBB6_78:
	s_or_b64 exec, exec, s[8:9]
	global_load_dwordx2 v[10:11], v10, s[2:3]
	s_mov_b32 s10, 0x7f800000
	v_pk_mov_b32 v[20:21], v[18:19], v[18:19] op_sel:[0,1]
	s_waitcnt vmcnt(0)
	v_cvt_f32_f64_e32 v9, v[10:11]
	v_cmp_nlg_f32_e64 s[12:13], |v9|, s10
	v_mov_b32_e32 v9, v5
	s_and_saveexec_b64 s[8:9], s[12:13]
	s_cbranch_execz .LBB6_80
; %bb.79:
	s_load_dwordx2 s[12:13], s[4:5], 0x158
	v_mov_b32_e32 v9, 0
	v_mov_b32_e32 v13, 1.0
	s_waitcnt lgkmcnt(0)
	global_store_dword v9, v13, s[12:13]
	global_load_dword v9, v9, s[6:7]
	s_waitcnt vmcnt(0)
	v_cvt_f64_f32_e32 v[20:21], v9
.LBB6_80:
	s_or_b64 exec, exec, s[8:9]
	global_load_dwordx2 v[14:15], v14, s[2:3]
	v_pk_mov_b32 v[22:23], v[20:21], v[20:21] op_sel:[0,1]
	s_waitcnt vmcnt(0)
	v_cvt_f32_f64_e32 v13, v[14:15]
	v_cmp_nlg_f32_e64 s[8:9], |v13|, s10
	v_mov_b32_e32 v13, v9
	s_and_saveexec_b64 s[2:3], s[8:9]
	s_cbranch_execz .LBB6_82
; %bb.81:
	s_load_dwordx2 s[4:5], s[4:5], 0x158
	v_mov_b32_e32 v13, 0
	v_mov_b32_e32 v22, 1.0
	s_waitcnt lgkmcnt(0)
	global_store_dword v13, v22, s[4:5]
	global_load_dword v13, v13, s[6:7]
	s_waitcnt vmcnt(0)
	v_cvt_f64_f32_e32 v[22:23], v13
.LBB6_82:
	s_or_b64 exec, exec, s[2:3]
	v_mul_f64 v[20:21], v[10:11], v[20:21]
	v_cmp_eq_f32_e32 vcc, 1.0, v9
	v_cndmask_b32_e32 v11, v21, v11, vcc
	v_cndmask_b32_e32 v10, v20, v10, vcc
	v_mul_f64 v[18:19], v[16:17], v[18:19]
	v_cmp_eq_f32_e32 vcc, 1.0, v5
	v_cndmask_b32_e32 v17, v19, v17, vcc
	v_cndmask_b32_e32 v16, v18, v16, vcc
	;; [unrolled: 4-line block ×4, first 2 shown]
	global_store_dwordx2 v0, v[2:3], s[0:1]
	global_store_dwordx2 v4, v[16:17], s[0:1]
	;; [unrolled: 1-line block ×4, first 2 shown]
	s_endpgm
.LBB6_83:
	s_mov_b32 s55, s54
	v_pk_mov_b32 v[0:1], s[54:55], s[54:55] op_sel:[0,1]
                                        ; implicit-def: $vgpr2
	v_mov_b32_e32 v3, v8
.LBB6_84:
	s_and_b32 s20, s63, 3
	s_cmp_eq_u32 s20, 0
	s_cbranch_scc1 .LBB6_88
; %bb.85:
	s_lshl_b32 s16, s54, 3
	s_add_u32 s16, s16, s4
	s_addc_u32 s17, s5, 0
	s_add_u32 s16, s16, 0xc4
	s_addc_u32 s17, s17, 0
	s_mul_i32 s18, s54, 12
	s_add_u32 s18, s4, s18
	s_addc_u32 s19, s5, 0
.LBB6_86:                               ; =>This Inner Loop Header: Depth=1
	s_load_dwordx2 s[22:23], s[18:19], 0x4
	s_load_dword s21, s[18:19], 0xc
	s_load_dwordx2 s[24:25], s[16:17], 0x0
	v_mov_b32_e32 v2, v1
	s_add_u32 s18, s18, 12
	s_waitcnt lgkmcnt(0)
	v_mul_hi_u32 v1, s23, v3
	v_add_u32_e32 v1, v3, v1
	v_lshrrev_b32_e32 v1, s21, v1
	s_addc_u32 s19, s19, 0
	v_mul_lo_u32 v4, v1, s22
	s_add_u32 s16, s16, 8
	v_sub_u32_e32 v6, v3, v4
	v_mov_b32_e32 v3, v1
	s_addc_u32 s17, s17, 0
	s_add_i32 s20, s20, -1
	v_mad_u64_u32 v[4:5], s[22:23], v6, s25, v[2:3]
	v_mad_u64_u32 v[0:1], s[22:23], v6, s24, v[0:1]
	s_cmp_lg_u32 s20, 0
	v_mov_b32_e32 v1, v4
	s_cbranch_scc1 .LBB6_86
; %bb.87:
	v_mov_b32_e32 v2, v1
.LBB6_88:
	s_cbranch_execnz .LBB6_91
.LBB6_89:
	s_waitcnt lgkmcnt(0)
	v_mul_hi_u32 v0, s37, v8
	v_add_u32_e32 v0, v8, v0
	v_lshrrev_b32_e32 v1, s38, v0
	v_mul_lo_u32 v0, v1, s36
	v_sub_u32_e32 v0, v8, v0
	v_mul_lo_u32 v2, v0, s1
	s_andn2_b64 vcc, exec, s[46:47]
	v_mul_lo_u32 v0, v0, s0
	s_cbranch_vccnz .LBB6_91
; %bb.90:
	v_mul_hi_u32 v3, s44, v1
	v_add_u32_e32 v3, v1, v3
	v_lshrrev_b32_e32 v3, s45, v3
	v_mul_lo_u32 v3, v3, s39
	v_sub_u32_e32 v3, v1, v3
	v_mad_u64_u32 v[0:1], s[16:17], v3, s2, v[0:1]
	v_mad_u64_u32 v[2:3], s[16:17], v3, s3, v[2:3]
.LBB6_91:
	s_waitcnt lgkmcnt(0)
	global_load_dwordx2 v[2:3], v2, s[10:11]
	s_mov_b32 s16, 0x7f800000
	s_waitcnt vmcnt(0)
	v_cvt_f32_f64_e32 v1, v[2:3]
	v_cmp_nlg_f32_e64 s[18:19], |v1|, s16
	s_and_saveexec_b64 s[16:17], s[18:19]
	s_cbranch_execz .LBB6_93
; %bb.92:
	v_mov_b32_e32 v1, 0
	v_mov_b32_e32 v4, 1.0
	global_store_dword v1, v4, s[12:13]
.LBB6_93:
	s_or_b64 exec, exec, s[16:17]
	v_mov_b32_e32 v1, 0
	global_load_dword v1, v1, s[14:15]
	v_add_u32_e32 v8, 0x80, v8
	s_waitcnt vmcnt(0)
	v_cvt_f64_f32_e32 v[4:5], v1
	v_mul_f64 v[4:5], v[2:3], v[4:5]
	v_cmp_eq_f32_e32 vcc, 1.0, v1
	v_cndmask_b32_e32 v3, v5, v3, vcc
	v_cndmask_b32_e32 v2, v4, v2, vcc
	global_store_dwordx2 v0, v[2:3], s[8:9]
	s_or_b64 exec, exec, s[52:53]
	v_cmp_gt_i32_e32 vcc, s61, v8
	s_and_saveexec_b64 s[52:53], vcc
	s_cbranch_execnz .LBB6_17
.LBB6_94:
	s_or_b64 exec, exec, s[52:53]
	v_cmp_gt_i32_e32 vcc, s61, v8
	s_and_saveexec_b64 s[52:53], vcc
	s_cbranch_execz .LBB6_113
.LBB6_95:
	s_andn2_b64 vcc, exec, s[6:7]
	s_cbranch_vccnz .LBB6_101
; %bb.96:
	s_mov_b32 s54, 0
	s_andn2_b64 vcc, exec, s[50:51]
	v_mov_b32_e32 v2, 0
	v_mov_b32_e32 v0, 0
	s_cbranch_vccnz .LBB6_121
; %bb.97:
	s_add_i32 s63, s62, 1
	s_cmp_eq_u32 s60, 2
	s_cbranch_scc1 .LBB6_116
; %bb.98:
	s_and_b32 s54, s63, 28
	s_mov_b32 s55, 0
	v_mov_b32_e32 v0, 0
	s_mov_b64 s[56:57], s[4:5]
	s_mov_b64 s[58:59], s[48:49]
	v_mov_b32_e32 v3, v8
	v_mov_b32_e32 v2, 0
.LBB6_99:                               ; =>This Inner Loop Header: Depth=1
	s_load_dwordx8 s[24:31], s[56:57], 0x4
	s_load_dwordx4 s[40:43], s[56:57], 0x24
	s_load_dwordx8 s[16:23], s[58:59], 0x0
	s_add_u32 s56, s56, 48
	s_addc_u32 s57, s57, 0
	s_waitcnt lgkmcnt(0)
	v_mul_hi_u32 v1, s25, v3
	v_add_u32_e32 v1, v3, v1
	v_lshrrev_b32_e32 v1, s26, v1
	v_mul_lo_u32 v4, v1, s24
	v_mul_hi_u32 v5, s28, v1
	v_sub_u32_e32 v3, v3, v4
	v_add_u32_e32 v4, v1, v5
	v_lshrrev_b32_e32 v4, s29, v4
	v_mul_lo_u32 v6, v4, s27
	v_mul_hi_u32 v7, s31, v4
	v_sub_u32_e32 v1, v1, v6
	v_add_u32_e32 v6, v4, v7
	v_mul_lo_u32 v5, v3, s17
	v_mul_lo_u32 v3, v3, s16
	;; [unrolled: 1-line block ×4, first 2 shown]
	v_lshrrev_b32_e32 v6, s40, v6
	v_add3_u32 v0, v3, v0, v1
	v_mul_hi_u32 v3, s42, v6
	v_add_u32_e32 v3, v6, v3
	v_lshrrev_b32_e32 v3, s43, v3
	s_add_i32 s55, s55, 4
	v_add3_u32 v1, v5, v2, v7
	v_mul_lo_u32 v2, v6, s30
	v_mul_lo_u32 v5, v3, s41
	s_add_u32 s58, s58, 32
	v_sub_u32_e32 v2, v4, v2
	v_sub_u32_e32 v5, v6, v5
	s_addc_u32 s59, s59, 0
	v_mul_lo_u32 v4, v2, s20
	v_mul_lo_u32 v2, v2, s21
	;; [unrolled: 1-line block ×4, first 2 shown]
	s_cmp_eq_u32 s54, s55
	v_add3_u32 v2, v2, v1, v5
	v_add3_u32 v0, v4, v0, v6
	s_cbranch_scc0 .LBB6_99
; %bb.100:
	v_mov_b32_e32 v1, v2
	s_branch .LBB6_117
.LBB6_101:
                                        ; implicit-def: $vgpr2
                                        ; implicit-def: $vgpr0
	s_branch .LBB6_122
.LBB6_102:
	s_mov_b32 s55, s54
	v_pk_mov_b32 v[0:1], s[54:55], s[54:55] op_sel:[0,1]
                                        ; implicit-def: $vgpr2
	v_mov_b32_e32 v3, v8
.LBB6_103:
	s_and_b32 s20, s63, 3
	s_cmp_eq_u32 s20, 0
	s_cbranch_scc1 .LBB6_107
; %bb.104:
	s_lshl_b32 s16, s54, 3
	s_add_u32 s16, s16, s4
	s_addc_u32 s17, s5, 0
	s_add_u32 s16, s16, 0xc4
	s_addc_u32 s17, s17, 0
	s_mul_i32 s18, s54, 12
	s_add_u32 s18, s4, s18
	s_addc_u32 s19, s5, 0
.LBB6_105:                              ; =>This Inner Loop Header: Depth=1
	s_load_dwordx2 s[22:23], s[18:19], 0x4
	s_load_dword s21, s[18:19], 0xc
	s_load_dwordx2 s[24:25], s[16:17], 0x0
	v_mov_b32_e32 v2, v1
	s_add_u32 s18, s18, 12
	s_waitcnt lgkmcnt(0)
	v_mul_hi_u32 v1, s23, v3
	v_add_u32_e32 v1, v3, v1
	v_lshrrev_b32_e32 v1, s21, v1
	s_addc_u32 s19, s19, 0
	v_mul_lo_u32 v4, v1, s22
	s_add_u32 s16, s16, 8
	v_sub_u32_e32 v6, v3, v4
	v_mov_b32_e32 v3, v1
	s_addc_u32 s17, s17, 0
	s_add_i32 s20, s20, -1
	v_mad_u64_u32 v[4:5], s[22:23], v6, s25, v[2:3]
	v_mad_u64_u32 v[0:1], s[22:23], v6, s24, v[0:1]
	s_cmp_lg_u32 s20, 0
	v_mov_b32_e32 v1, v4
	s_cbranch_scc1 .LBB6_105
; %bb.106:
	v_mov_b32_e32 v2, v1
.LBB6_107:
	s_cbranch_execnz .LBB6_110
.LBB6_108:
	s_waitcnt lgkmcnt(0)
	v_mul_hi_u32 v0, s37, v8
	v_add_u32_e32 v0, v8, v0
	v_lshrrev_b32_e32 v1, s38, v0
	v_mul_lo_u32 v0, v1, s36
	v_sub_u32_e32 v0, v8, v0
	v_mul_lo_u32 v2, v0, s1
	s_andn2_b64 vcc, exec, s[46:47]
	v_mul_lo_u32 v0, v0, s0
	s_cbranch_vccnz .LBB6_110
; %bb.109:
	v_mul_hi_u32 v3, s44, v1
	v_add_u32_e32 v3, v1, v3
	v_lshrrev_b32_e32 v3, s45, v3
	v_mul_lo_u32 v3, v3, s39
	v_sub_u32_e32 v3, v1, v3
	v_mad_u64_u32 v[0:1], s[16:17], v3, s2, v[0:1]
	v_mad_u64_u32 v[2:3], s[16:17], v3, s3, v[2:3]
.LBB6_110:
	s_waitcnt lgkmcnt(0)
	global_load_dwordx2 v[2:3], v2, s[10:11]
	s_mov_b32 s16, 0x7f800000
	s_waitcnt vmcnt(0)
	v_cvt_f32_f64_e32 v1, v[2:3]
	v_cmp_nlg_f32_e64 s[18:19], |v1|, s16
	s_and_saveexec_b64 s[16:17], s[18:19]
	s_cbranch_execz .LBB6_112
; %bb.111:
	v_mov_b32_e32 v1, 0
	v_mov_b32_e32 v4, 1.0
	global_store_dword v1, v4, s[12:13]
.LBB6_112:
	s_or_b64 exec, exec, s[16:17]
	v_mov_b32_e32 v1, 0
	global_load_dword v1, v1, s[14:15]
	v_add_u32_e32 v8, 0x80, v8
	s_waitcnt vmcnt(0)
	v_cvt_f64_f32_e32 v[4:5], v1
	v_mul_f64 v[4:5], v[2:3], v[4:5]
	v_cmp_eq_f32_e32 vcc, 1.0, v1
	v_cndmask_b32_e32 v3, v5, v3, vcc
	v_cndmask_b32_e32 v2, v4, v2, vcc
	global_store_dwordx2 v0, v[2:3], s[8:9]
	s_or_b64 exec, exec, s[52:53]
	v_cmp_gt_i32_e32 vcc, s61, v8
	s_and_saveexec_b64 s[52:53], vcc
	s_cbranch_execnz .LBB6_95
.LBB6_113:
	s_or_b64 exec, exec, s[52:53]
	v_cmp_gt_i32_e32 vcc, s61, v8
	s_and_saveexec_b64 s[52:53], vcc
	s_cbranch_execnz .LBB6_127
.LBB6_114:
	s_or_b64 exec, exec, s[52:53]
                                        ; implicit-def: $vgpr15
                                        ; implicit-def: $vgpr8
	s_waitcnt lgkmcnt(0)
	s_andn2_saveexec_b64 s[0:1], s[34:35]
	s_cbranch_execnz .LBB6_9
.LBB6_115:
	s_endpgm
.LBB6_116:
	s_mov_b32 s55, s54
	v_pk_mov_b32 v[0:1], s[54:55], s[54:55] op_sel:[0,1]
                                        ; implicit-def: $vgpr2
	v_mov_b32_e32 v3, v8
.LBB6_117:
	s_and_b32 s20, s63, 3
	s_cmp_eq_u32 s20, 0
	s_cbranch_scc1 .LBB6_121
; %bb.118:
	s_lshl_b32 s16, s54, 3
	s_add_u32 s16, s16, s4
	s_addc_u32 s17, s5, 0
	s_add_u32 s16, s16, 0xc4
	s_addc_u32 s17, s17, 0
	s_mul_i32 s18, s54, 12
	s_add_u32 s18, s4, s18
	s_addc_u32 s19, s5, 0
.LBB6_119:                              ; =>This Inner Loop Header: Depth=1
	s_load_dwordx2 s[22:23], s[18:19], 0x4
	s_load_dword s21, s[18:19], 0xc
	s_load_dwordx2 s[24:25], s[16:17], 0x0
	v_mov_b32_e32 v2, v1
	s_add_u32 s18, s18, 12
	s_waitcnt lgkmcnt(0)
	v_mul_hi_u32 v1, s23, v3
	v_add_u32_e32 v1, v3, v1
	v_lshrrev_b32_e32 v1, s21, v1
	s_addc_u32 s19, s19, 0
	v_mul_lo_u32 v4, v1, s22
	s_add_u32 s16, s16, 8
	v_sub_u32_e32 v6, v3, v4
	v_mov_b32_e32 v3, v1
	s_addc_u32 s17, s17, 0
	s_add_i32 s20, s20, -1
	v_mad_u64_u32 v[4:5], s[22:23], v6, s25, v[2:3]
	v_mad_u64_u32 v[0:1], s[22:23], v6, s24, v[0:1]
	s_cmp_lg_u32 s20, 0
	v_mov_b32_e32 v1, v4
	s_cbranch_scc1 .LBB6_119
; %bb.120:
	v_mov_b32_e32 v2, v1
.LBB6_121:
	s_cbranch_execnz .LBB6_124
.LBB6_122:
	s_waitcnt lgkmcnt(0)
	v_mul_hi_u32 v0, s37, v8
	v_add_u32_e32 v0, v8, v0
	v_lshrrev_b32_e32 v1, s38, v0
	v_mul_lo_u32 v0, v1, s36
	v_sub_u32_e32 v0, v8, v0
	v_mul_lo_u32 v2, v0, s1
	s_andn2_b64 vcc, exec, s[46:47]
	v_mul_lo_u32 v0, v0, s0
	s_cbranch_vccnz .LBB6_124
; %bb.123:
	v_mul_hi_u32 v3, s44, v1
	v_add_u32_e32 v3, v1, v3
	v_lshrrev_b32_e32 v3, s45, v3
	v_mul_lo_u32 v3, v3, s39
	v_sub_u32_e32 v3, v1, v3
	v_mad_u64_u32 v[0:1], s[16:17], v3, s2, v[0:1]
	v_mad_u64_u32 v[2:3], s[16:17], v3, s3, v[2:3]
.LBB6_124:
	s_waitcnt lgkmcnt(0)
	global_load_dwordx2 v[2:3], v2, s[10:11]
	s_mov_b32 s16, 0x7f800000
	s_waitcnt vmcnt(0)
	v_cvt_f32_f64_e32 v1, v[2:3]
	v_cmp_nlg_f32_e64 s[18:19], |v1|, s16
	s_and_saveexec_b64 s[16:17], s[18:19]
	s_cbranch_execz .LBB6_126
; %bb.125:
	v_mov_b32_e32 v1, 0
	v_mov_b32_e32 v4, 1.0
	global_store_dword v1, v4, s[12:13]
.LBB6_126:
	s_or_b64 exec, exec, s[16:17]
	v_mov_b32_e32 v1, 0
	global_load_dword v1, v1, s[14:15]
	v_add_u32_e32 v8, 0x80, v8
	s_waitcnt vmcnt(0)
	v_cvt_f64_f32_e32 v[4:5], v1
	v_mul_f64 v[4:5], v[2:3], v[4:5]
	v_cmp_eq_f32_e32 vcc, 1.0, v1
	v_cndmask_b32_e32 v3, v5, v3, vcc
	v_cndmask_b32_e32 v2, v4, v2, vcc
	global_store_dwordx2 v0, v[2:3], s[8:9]
	s_or_b64 exec, exec, s[52:53]
	v_cmp_gt_i32_e32 vcc, s61, v8
	s_and_saveexec_b64 s[52:53], vcc
	s_cbranch_execz .LBB6_114
.LBB6_127:
	s_andn2_b64 vcc, exec, s[6:7]
	s_cbranch_vccnz .LBB6_133
; %bb.128:
	s_mov_b32 s54, 0
	s_andn2_b64 vcc, exec, s[50:51]
	v_mov_b32_e32 v2, 0
	v_mov_b32_e32 v0, 0
	s_cbranch_vccnz .LBB6_139
; %bb.129:
	s_add_i32 s62, s62, 1
	s_cmp_eq_u32 s60, 2
	s_cbranch_scc1 .LBB6_134
; %bb.130:
	s_and_b32 s54, s62, 28
	s_mov_b32 s55, 0
	v_mov_b32_e32 v0, 0
	s_mov_b64 s[50:51], s[4:5]
	v_mov_b32_e32 v3, v8
	v_mov_b32_e32 v2, 0
.LBB6_131:                              ; =>This Inner Loop Header: Depth=1
	s_load_dwordx8 s[24:31], s[50:51], 0x4
	s_load_dwordx4 s[40:43], s[50:51], 0x24
	s_load_dwordx8 s[16:23], s[48:49], 0x0
	s_add_u32 s50, s50, 48
	s_addc_u32 s51, s51, 0
	s_waitcnt lgkmcnt(0)
	v_mul_hi_u32 v1, s25, v3
	v_add_u32_e32 v1, v3, v1
	v_lshrrev_b32_e32 v1, s26, v1
	v_mul_lo_u32 v4, v1, s24
	v_mul_hi_u32 v5, s28, v1
	v_sub_u32_e32 v3, v3, v4
	v_add_u32_e32 v4, v1, v5
	v_lshrrev_b32_e32 v4, s29, v4
	v_mul_lo_u32 v6, v4, s27
	v_mul_hi_u32 v7, s31, v4
	v_sub_u32_e32 v1, v1, v6
	v_add_u32_e32 v6, v4, v7
	v_mul_lo_u32 v5, v3, s17
	v_mul_lo_u32 v3, v3, s16
	;; [unrolled: 1-line block ×4, first 2 shown]
	v_lshrrev_b32_e32 v6, s40, v6
	v_add3_u32 v0, v3, v0, v1
	v_mul_hi_u32 v3, s42, v6
	v_add_u32_e32 v3, v6, v3
	v_lshrrev_b32_e32 v3, s43, v3
	s_add_i32 s55, s55, 4
	v_add3_u32 v1, v5, v2, v7
	v_mul_lo_u32 v2, v6, s30
	v_mul_lo_u32 v5, v3, s41
	s_add_u32 s48, s48, 32
	v_sub_u32_e32 v2, v4, v2
	v_sub_u32_e32 v5, v6, v5
	s_addc_u32 s49, s49, 0
	v_mul_lo_u32 v4, v2, s20
	v_mul_lo_u32 v2, v2, s21
	;; [unrolled: 1-line block ×4, first 2 shown]
	s_cmp_eq_u32 s54, s55
	v_add3_u32 v2, v2, v1, v5
	v_add3_u32 v0, v4, v0, v6
	s_cbranch_scc0 .LBB6_131
; %bb.132:
	v_mov_b32_e32 v1, v2
	s_branch .LBB6_135
.LBB6_133:
                                        ; implicit-def: $vgpr2
                                        ; implicit-def: $vgpr0
	s_branch .LBB6_140
.LBB6_134:
	s_mov_b32 s55, s54
	v_pk_mov_b32 v[0:1], s[54:55], s[54:55] op_sel:[0,1]
                                        ; implicit-def: $vgpr2
	v_mov_b32_e32 v3, v8
.LBB6_135:
	s_and_b32 s20, s62, 3
	s_cmp_eq_u32 s20, 0
	s_cbranch_scc1 .LBB6_139
; %bb.136:
	s_lshl_b32 s16, s54, 3
	s_add_u32 s16, s16, s4
	s_addc_u32 s17, s5, 0
	s_add_u32 s16, s16, 0xc4
	s_addc_u32 s17, s17, 0
	s_mul_i32 s18, s54, 12
	s_add_u32 s18, s4, s18
	s_addc_u32 s19, s5, 0
.LBB6_137:                              ; =>This Inner Loop Header: Depth=1
	s_load_dwordx2 s[22:23], s[18:19], 0x4
	s_load_dword s21, s[18:19], 0xc
	s_load_dwordx2 s[24:25], s[16:17], 0x0
	v_mov_b32_e32 v2, v1
	s_add_u32 s18, s18, 12
	s_waitcnt lgkmcnt(0)
	v_mul_hi_u32 v1, s23, v3
	v_add_u32_e32 v1, v3, v1
	v_lshrrev_b32_e32 v1, s21, v1
	s_addc_u32 s19, s19, 0
	v_mul_lo_u32 v4, v1, s22
	s_add_u32 s16, s16, 8
	v_sub_u32_e32 v6, v3, v4
	v_mov_b32_e32 v3, v1
	s_addc_u32 s17, s17, 0
	s_add_i32 s20, s20, -1
	v_mad_u64_u32 v[4:5], s[22:23], v6, s25, v[2:3]
	v_mad_u64_u32 v[0:1], s[22:23], v6, s24, v[0:1]
	s_cmp_lg_u32 s20, 0
	v_mov_b32_e32 v1, v4
	s_cbranch_scc1 .LBB6_137
; %bb.138:
	v_mov_b32_e32 v2, v1
.LBB6_139:
	s_cbranch_execnz .LBB6_142
.LBB6_140:
	s_waitcnt lgkmcnt(0)
	v_mul_hi_u32 v0, s37, v8
	v_add_u32_e32 v0, v8, v0
	v_lshrrev_b32_e32 v1, s38, v0
	v_mul_lo_u32 v0, v1, s36
	v_sub_u32_e32 v0, v8, v0
	v_mul_lo_u32 v2, v0, s1
	s_andn2_b64 vcc, exec, s[46:47]
	v_mul_lo_u32 v0, v0, s0
	s_cbranch_vccnz .LBB6_142
; %bb.141:
	v_mul_hi_u32 v3, s44, v1
	v_add_u32_e32 v3, v1, v3
	v_lshrrev_b32_e32 v3, s45, v3
	v_mul_lo_u32 v3, v3, s39
	v_sub_u32_e32 v3, v1, v3
	v_mad_u64_u32 v[0:1], s[0:1], v3, s2, v[0:1]
	v_mad_u64_u32 v[2:3], s[0:1], v3, s3, v[2:3]
.LBB6_142:
	s_waitcnt lgkmcnt(0)
	global_load_dwordx2 v[2:3], v2, s[10:11]
	s_mov_b32 s0, 0x7f800000
	s_waitcnt vmcnt(0)
	v_cvt_f32_f64_e32 v1, v[2:3]
	v_cmp_nlg_f32_e64 s[2:3], |v1|, s0
	s_and_saveexec_b64 s[0:1], s[2:3]
	s_cbranch_execz .LBB6_144
; %bb.143:
	v_mov_b32_e32 v1, 0
	v_mov_b32_e32 v4, 1.0
	global_store_dword v1, v4, s[12:13]
.LBB6_144:
	s_or_b64 exec, exec, s[0:1]
	v_mov_b32_e32 v1, 0
	global_load_dword v1, v1, s[14:15]
	s_waitcnt vmcnt(0)
	v_cvt_f64_f32_e32 v[4:5], v1
	v_mul_f64 v[4:5], v[2:3], v[4:5]
	v_cmp_eq_f32_e32 vcc, 1.0, v1
	v_cndmask_b32_e32 v3, v5, v3, vcc
	v_cndmask_b32_e32 v2, v4, v2, vcc
	global_store_dwordx2 v0, v[2:3], s[8:9]
	s_or_b64 exec, exec, s[52:53]
                                        ; implicit-def: $vgpr15
                                        ; implicit-def: $vgpr8
	s_andn2_saveexec_b64 s[0:1], s[34:35]
	s_cbranch_execz .LBB6_115
	s_branch .LBB6_9
	.section	.rodata,"a",@progbits
	.p2align	6, 0x0
	.amdhsa_kernel _ZN2at6native32elementwise_kernel_manual_unrollILi128ELi4EZNS0_22gpu_kernel_impl_nocastIZZZNS0_12_GLOBAL__N_139_amp_non_finite_check_and_unscale_cuda_ERNS_6TensorES5_RKS4_ENKUlvE_clEvENKUlvE_clEvEUldE_EEvRNS_18TensorIteratorBaseERKT_EUlibE_EEviT1_
		.amdhsa_group_segment_fixed_size 0
		.amdhsa_private_segment_fixed_size 0
		.amdhsa_kernarg_size 368
		.amdhsa_user_sgpr_count 6
		.amdhsa_user_sgpr_private_segment_buffer 1
		.amdhsa_user_sgpr_dispatch_ptr 0
		.amdhsa_user_sgpr_queue_ptr 0
		.amdhsa_user_sgpr_kernarg_segment_ptr 1
		.amdhsa_user_sgpr_dispatch_id 0
		.amdhsa_user_sgpr_flat_scratch_init 0
		.amdhsa_user_sgpr_kernarg_preload_length 0
		.amdhsa_user_sgpr_kernarg_preload_offset 0
		.amdhsa_user_sgpr_private_segment_size 0
		.amdhsa_uses_dynamic_stack 0
		.amdhsa_system_sgpr_private_segment_wavefront_offset 0
		.amdhsa_system_sgpr_workgroup_id_x 1
		.amdhsa_system_sgpr_workgroup_id_y 0
		.amdhsa_system_sgpr_workgroup_id_z 0
		.amdhsa_system_sgpr_workgroup_info 0
		.amdhsa_system_vgpr_workitem_id 0
		.amdhsa_next_free_vgpr 24
		.amdhsa_next_free_sgpr 64
		.amdhsa_accum_offset 24
		.amdhsa_reserve_vcc 1
		.amdhsa_reserve_flat_scratch 0
		.amdhsa_float_round_mode_32 0
		.amdhsa_float_round_mode_16_64 0
		.amdhsa_float_denorm_mode_32 3
		.amdhsa_float_denorm_mode_16_64 3
		.amdhsa_dx10_clamp 1
		.amdhsa_ieee_mode 1
		.amdhsa_fp16_overflow 0
		.amdhsa_tg_split 0
		.amdhsa_exception_fp_ieee_invalid_op 0
		.amdhsa_exception_fp_denorm_src 0
		.amdhsa_exception_fp_ieee_div_zero 0
		.amdhsa_exception_fp_ieee_overflow 0
		.amdhsa_exception_fp_ieee_underflow 0
		.amdhsa_exception_fp_ieee_inexact 0
		.amdhsa_exception_int_div_zero 0
	.end_amdhsa_kernel
	.section	.text._ZN2at6native32elementwise_kernel_manual_unrollILi128ELi4EZNS0_22gpu_kernel_impl_nocastIZZZNS0_12_GLOBAL__N_139_amp_non_finite_check_and_unscale_cuda_ERNS_6TensorES5_RKS4_ENKUlvE_clEvENKUlvE_clEvEUldE_EEvRNS_18TensorIteratorBaseERKT_EUlibE_EEviT1_,"axG",@progbits,_ZN2at6native32elementwise_kernel_manual_unrollILi128ELi4EZNS0_22gpu_kernel_impl_nocastIZZZNS0_12_GLOBAL__N_139_amp_non_finite_check_and_unscale_cuda_ERNS_6TensorES5_RKS4_ENKUlvE_clEvENKUlvE_clEvEUldE_EEvRNS_18TensorIteratorBaseERKT_EUlibE_EEviT1_,comdat
.Lfunc_end6:
	.size	_ZN2at6native32elementwise_kernel_manual_unrollILi128ELi4EZNS0_22gpu_kernel_impl_nocastIZZZNS0_12_GLOBAL__N_139_amp_non_finite_check_and_unscale_cuda_ERNS_6TensorES5_RKS4_ENKUlvE_clEvENKUlvE_clEvEUldE_EEvRNS_18TensorIteratorBaseERKT_EUlibE_EEviT1_, .Lfunc_end6-_ZN2at6native32elementwise_kernel_manual_unrollILi128ELi4EZNS0_22gpu_kernel_impl_nocastIZZZNS0_12_GLOBAL__N_139_amp_non_finite_check_and_unscale_cuda_ERNS_6TensorES5_RKS4_ENKUlvE_clEvENKUlvE_clEvEUldE_EEvRNS_18TensorIteratorBaseERKT_EUlibE_EEviT1_
                                        ; -- End function
	.section	.AMDGPU.csdata,"",@progbits
; Kernel info:
; codeLenInByte = 6572
; NumSgprs: 68
; NumVgprs: 24
; NumAgprs: 0
; TotalNumVgprs: 24
; ScratchSize: 0
; MemoryBound: 0
; FloatMode: 240
; IeeeMode: 1
; LDSByteSize: 0 bytes/workgroup (compile time only)
; SGPRBlocks: 8
; VGPRBlocks: 2
; NumSGPRsForWavesPerEU: 68
; NumVGPRsForWavesPerEU: 24
; AccumOffset: 24
; Occupancy: 8
; WaveLimiterHint : 1
; COMPUTE_PGM_RSRC2:SCRATCH_EN: 0
; COMPUTE_PGM_RSRC2:USER_SGPR: 6
; COMPUTE_PGM_RSRC2:TRAP_HANDLER: 0
; COMPUTE_PGM_RSRC2:TGID_X_EN: 1
; COMPUTE_PGM_RSRC2:TGID_Y_EN: 0
; COMPUTE_PGM_RSRC2:TGID_Z_EN: 0
; COMPUTE_PGM_RSRC2:TIDIG_COMP_CNT: 0
; COMPUTE_PGM_RSRC3_GFX90A:ACCUM_OFFSET: 5
; COMPUTE_PGM_RSRC3_GFX90A:TG_SPLIT: 0
	.section	.text._ZN2at6native32elementwise_kernel_manual_unrollILi128ELi4EZNS0_15gpu_kernel_implIZZZNS0_12_GLOBAL__N_139_amp_non_finite_check_and_unscale_cuda_ERNS_6TensorES5_RKS4_ENKUlvE_clEvENKUlvE_clEvEUldE_EEvRNS_18TensorIteratorBaseERKT_EUlibE_EEviT1_,"axG",@progbits,_ZN2at6native32elementwise_kernel_manual_unrollILi128ELi4EZNS0_15gpu_kernel_implIZZZNS0_12_GLOBAL__N_139_amp_non_finite_check_and_unscale_cuda_ERNS_6TensorES5_RKS4_ENKUlvE_clEvENKUlvE_clEvEUldE_EEvRNS_18TensorIteratorBaseERKT_EUlibE_EEviT1_,comdat
	.globl	_ZN2at6native32elementwise_kernel_manual_unrollILi128ELi4EZNS0_15gpu_kernel_implIZZZNS0_12_GLOBAL__N_139_amp_non_finite_check_and_unscale_cuda_ERNS_6TensorES5_RKS4_ENKUlvE_clEvENKUlvE_clEvEUldE_EEvRNS_18TensorIteratorBaseERKT_EUlibE_EEviT1_ ; -- Begin function _ZN2at6native32elementwise_kernel_manual_unrollILi128ELi4EZNS0_15gpu_kernel_implIZZZNS0_12_GLOBAL__N_139_amp_non_finite_check_and_unscale_cuda_ERNS_6TensorES5_RKS4_ENKUlvE_clEvENKUlvE_clEvEUldE_EEvRNS_18TensorIteratorBaseERKT_EUlibE_EEviT1_
	.p2align	8
	.type	_ZN2at6native32elementwise_kernel_manual_unrollILi128ELi4EZNS0_15gpu_kernel_implIZZZNS0_12_GLOBAL__N_139_amp_non_finite_check_and_unscale_cuda_ERNS_6TensorES5_RKS4_ENKUlvE_clEvENKUlvE_clEvEUldE_EEvRNS_18TensorIteratorBaseERKT_EUlibE_EEviT1_,@function
_ZN2at6native32elementwise_kernel_manual_unrollILi128ELi4EZNS0_15gpu_kernel_implIZZZNS0_12_GLOBAL__N_139_amp_non_finite_check_and_unscale_cuda_ERNS_6TensorES5_RKS4_ENKUlvE_clEvENKUlvE_clEvEUldE_EEvRNS_18TensorIteratorBaseERKT_EUlibE_EEviT1_: ; @_ZN2at6native32elementwise_kernel_manual_unrollILi128ELi4EZNS0_15gpu_kernel_implIZZZNS0_12_GLOBAL__N_139_amp_non_finite_check_and_unscale_cuda_ERNS_6TensorES5_RKS4_ENKUlvE_clEvENKUlvE_clEvEUldE_EEvRNS_18TensorIteratorBaseERKT_EUlibE_EEviT1_
; %bb.0:
	s_load_dword s33, s[4:5], 0x30
	s_load_dword s42, s[4:5], 0x0
	s_load_dwordx4 s[8:11], s[4:5], 0x8
	s_load_dwordx2 s[2:3], s[4:5], 0x18
	s_load_dwordx4 s[12:15], s[4:5], 0x20
	v_lshl_or_b32 v16, s6, 9, v0
	v_or_b32_e32 v0, 0x180, v16
	s_waitcnt lgkmcnt(0)
	v_lshrrev_b16_e64 v17, 8, s33
	v_cmp_le_i32_e32 vcc, s42, v0
	s_mov_b64 s[4:5], 0
	s_mov_b64 s[16:17], 0
	s_and_saveexec_b64 s[0:1], vcc
	s_xor_b64 s[6:7], exec, s[0:1]
	s_cbranch_execz .LBB7_1035
; %bb.1:
	v_cmp_gt_i32_e32 vcc, s42, v16
	s_mov_b64 s[22:23], -1
	s_mov_b64 s[24:25], 0
	s_mov_b64 s[18:19], 0
	s_and_saveexec_b64 s[20:21], vcc
	s_cbranch_execz .LBB7_254
; %bb.2:
	v_mul_lo_u32 v0, v16, s3
	v_ashrrev_i32_e32 v1, 31, v0
	v_mov_b32_e32 v2, s11
	v_add_co_u32_e32 v0, vcc, s10, v0
	v_addc_co_u32_e32 v1, vcc, v2, v1, vcc
	v_cmp_gt_i16_e32 vcc, 11, v17
	s_cbranch_vccnz .LBB7_9
; %bb.3:
	v_cmp_lt_i16_e32 vcc, 25, v17
	s_cbranch_vccz .LBB7_20
; %bb.4:
	v_cmp_lt_i16_e32 vcc, 28, v17
	s_cbranch_vccz .LBB7_24
	;; [unrolled: 3-line block ×4, first 2 shown]
; %bb.7:
	v_cmp_eq_u16_e32 vcc, 46, v17
	s_cbranch_vccz .LBB7_30
; %bb.8:
	global_load_dword v2, v[0:1], off
	s_mov_b64 s[0:1], -1
	s_waitcnt vmcnt(0)
	v_lshlrev_b32_e32 v2, 16, v2
	v_cvt_f64_f32_e32 v[2:3], v2
	s_branch .LBB7_32
.LBB7_9:
                                        ; implicit-def: $vgpr2_vgpr3
	s_mov_b64 s[0:1], 0
	s_cbranch_execnz .LBB7_205
.LBB7_10:
	s_andn2_b64 vcc, exec, s[0:1]
	s_cbranch_vccnz .LBB7_252
.LBB7_11:
	s_waitcnt vmcnt(0)
	v_cvt_f32_f64_e32 v0, v[2:3]
	s_mov_b32 s0, 0x7f800000
	v_cmp_nlg_f32_e64 s[16:17], |v0|, s0
	s_and_saveexec_b64 s[0:1], s[16:17]
	s_cbranch_execz .LBB7_13
; %bb.12:
	v_mov_b32_e32 v0, 0
	v_mov_b32_e32 v1, 1.0
	global_store_dword v0, v1, s[12:13]
.LBB7_13:
	s_or_b64 exec, exec, s[0:1]
	v_mov_b32_e32 v0, 0
	global_load_dword v6, v0, s[14:15]
	v_mul_lo_u32 v0, v16, s2
	v_mov_b32_e32 v4, 11
	v_mov_b32_e32 v1, s9
	v_ashrrev_i32_e32 v5, 31, v0
	v_cmp_lt_i16_sdwa s[0:1], s33, v4 src0_sel:BYTE_0 src1_sel:DWORD
	v_add_co_u32_e32 v4, vcc, s8, v0
	v_addc_co_u32_e32 v5, vcc, v1, v5, vcc
	s_and_b64 vcc, exec, s[0:1]
	s_waitcnt vmcnt(0)
	v_cvt_f64_f32_e32 v[0:1], v6
	v_mul_f64 v[0:1], v[2:3], v[0:1]
	v_cmp_eq_f32_e64 s[0:1], 1.0, v6
	v_cndmask_b32_e64 v1, v1, v3, s[0:1]
	v_cndmask_b32_e64 v0, v0, v2, s[0:1]
	s_cbranch_vccnz .LBB7_21
; %bb.14:
	v_mov_b32_e32 v2, 25
	v_cmp_gt_i16_sdwa s[0:1], s33, v2 src0_sel:BYTE_0 src1_sel:DWORD
	s_and_b64 vcc, exec, s[0:1]
	s_cbranch_vccz .LBB7_25
; %bb.15:
	v_mov_b32_e32 v2, 28
	v_cmp_gt_i16_sdwa s[0:1], s33, v2 src0_sel:BYTE_0 src1_sel:DWORD
	s_and_b64 vcc, exec, s[0:1]
	s_cbranch_vccz .LBB7_27
	;; [unrolled: 5-line block ×4, first 2 shown]
; %bb.18:
	v_mov_b32_e32 v2, 46
	v_cmp_eq_u16_sdwa s[16:17], s33, v2 src0_sel:BYTE_0 src1_sel:DWORD
	s_mov_b64 s[22:23], 0
	s_mov_b64 s[0:1], -1
	s_and_b64 vcc, exec, s[16:17]
	s_mov_b64 s[16:17], 0
	s_cbranch_vccz .LBB7_36
; %bb.19:
	v_cvt_f32_f64_e32 v2, v[0:1]
	v_bfe_u32 v3, v2, 16, 1
	s_movk_i32 s0, 0x7fff
	v_add3_u32 v3, v2, v3, s0
	v_lshrrev_b32_e32 v3, 16, v3
	v_mov_b32_e32 v6, 0x7fc0
	v_cmp_o_f32_e32 vcc, v2, v2
	v_cndmask_b32_e32 v2, v6, v3, vcc
	global_store_dword v[4:5], v2, off
	s_mov_b64 s[16:17], -1
	s_mov_b64 s[0:1], 0
	s_branch .LBB7_36
.LBB7_20:
	s_mov_b64 s[0:1], 0
                                        ; implicit-def: $vgpr2_vgpr3
	s_cbranch_execnz .LBB7_170
	s_branch .LBB7_204
.LBB7_21:
	s_mov_b64 s[0:1], 0
	s_mov_b64 s[16:17], 0
	s_cbranch_execnz .LBB7_105
.LBB7_22:
	s_andn2_b64 vcc, exec, s[16:17]
	s_cbranch_vccnz .LBB7_143
.LBB7_23:
	v_add_u32_e32 v16, 0x80, v16
	s_mov_b64 s[22:23], -1
	s_branch .LBB7_253
.LBB7_24:
	s_mov_b64 s[16:17], -1
	s_mov_b64 s[0:1], 0
                                        ; implicit-def: $vgpr2_vgpr3
	s_branch .LBB7_151
.LBB7_25:
	s_mov_b64 s[22:23], -1
	s_mov_b64 s[0:1], 0
	s_mov_b64 s[16:17], 0
	s_branch .LBB7_63
.LBB7_26:
	s_mov_b64 s[16:17], -1
	s_mov_b64 s[0:1], 0
                                        ; implicit-def: $vgpr2_vgpr3
	s_branch .LBB7_146
.LBB7_27:
	s_mov_b64 s[22:23], -1
	s_mov_b64 s[0:1], 0
	s_mov_b64 s[16:17], 0
	s_branch .LBB7_46
.LBB7_28:
	s_mov_b64 s[16:17], -1
	s_branch .LBB7_31
.LBB7_29:
	s_mov_b64 s[22:23], -1
	s_mov_b64 s[0:1], 0
	s_mov_b64 s[16:17], 0
	s_branch .LBB7_42
.LBB7_30:
	s_mov_b64 s[18:19], -1
.LBB7_31:
	s_mov_b64 s[0:1], 0
                                        ; implicit-def: $vgpr2_vgpr3
.LBB7_32:
	s_and_b64 vcc, exec, s[16:17]
	s_cbranch_vccz .LBB7_145
; %bb.33:
	v_cmp_eq_u16_e32 vcc, 44, v17
	s_cbranch_vccz .LBB7_144
; %bb.34:
	global_load_ubyte v4, v[0:1], off
	s_movk_i32 s16, 0xff
	v_bfrev_b32_e32 v5, 4
	v_mov_b32_e32 v6, 0x7ff80000
	v_bfrev_b32_e32 v7, 28
	s_mov_b64 s[0:1], -1
	s_mov_b64 s[18:19], 0
	s_waitcnt vmcnt(0)
	v_lshlrev_b32_e32 v2, 23, v4
	v_cvt_f64_f32_e32 v[2:3], v2
	v_cmp_ne_u32_e32 vcc, s16, v4
	v_cndmask_b32_e32 v2, v5, v2, vcc
	v_cndmask_b32_e32 v3, v6, v3, vcc
	v_cmp_ne_u32_e32 vcc, 0, v4
	v_cndmask_b32_e32 v3, v7, v3, vcc
	v_cndmask_b32_e32 v2, 0, v2, vcc
	s_branch .LBB7_145
.LBB7_35:
	s_mov_b64 s[22:23], -1
	s_mov_b64 s[0:1], 0
	s_mov_b64 s[16:17], 0
.LBB7_36:
	s_and_b64 vcc, exec, s[22:23]
	s_cbranch_vccz .LBB7_41
; %bb.37:
	v_mov_b32_e32 v2, 44
	v_cmp_eq_u16_sdwa s[22:23], s33, v2 src0_sel:BYTE_0 src1_sel:DWORD
	s_mov_b64 s[0:1], -1
	s_and_b64 vcc, exec, s[22:23]
	s_cbranch_vccz .LBB7_41
; %bb.38:
	v_cvt_f32_f64_e32 v2, v[0:1]
	v_bfe_u32 v3, v2, 23, 8
	s_movk_i32 s0, 0xff
	v_cmp_ne_u32_e32 vcc, s0, v3
	v_mov_b32_e32 v6, 0xff
	s_and_saveexec_b64 s[16:17], vcc
; %bb.39:
	s_mov_b32 s0, 0x3fffff
	v_lshrrev_b32_e32 v6, 23, v2
	v_and_b32_e32 v7, 0x400000, v2
	v_and_or_b32 v2, v2, s0, v3
	v_cmp_ne_u32_e32 vcc, 0, v7
	v_cmp_ne_u32_e64 s[0:1], 0, v2
	s_and_b64 s[0:1], vcc, s[0:1]
	v_cndmask_b32_e64 v2, 0, 1, s[0:1]
	v_add_u32_e32 v6, v6, v2
; %bb.40:
	s_or_b64 exec, exec, s[16:17]
	s_mov_b64 s[16:17], -1
	s_mov_b64 s[0:1], 0
	global_store_byte v[4:5], v6, off
.LBB7_41:
	s_mov_b64 s[22:23], 0
.LBB7_42:
	s_and_b64 vcc, exec, s[22:23]
	s_cbranch_vccz .LBB7_45
; %bb.43:
	v_mov_b32_e32 v2, 29
	v_cmp_eq_u16_sdwa s[22:23], s33, v2 src0_sel:BYTE_0 src1_sel:DWORD
	s_mov_b64 s[0:1], -1
	s_and_b64 vcc, exec, s[22:23]
	s_cbranch_vccz .LBB7_45
; %bb.44:
	v_trunc_f64_e32 v[2:3], v[0:1]
	s_movk_i32 s0, 0xffe0
	v_ldexp_f64 v[6:7], v[2:3], s0
	v_floor_f64_e32 v[6:7], v[6:7]
	v_fmac_f64_e32 v[2:3], 0xc1f00000, v[6:7]
	v_cvt_u32_f64_e32 v9, v[6:7]
	v_cvt_u32_f64_e32 v8, v[2:3]
	global_store_dwordx2 v[4:5], v[8:9], off
	s_mov_b64 s[16:17], -1
	s_mov_b64 s[0:1], 0
.LBB7_45:
	s_mov_b64 s[22:23], 0
.LBB7_46:
	s_and_b64 vcc, exec, s[22:23]
	s_cbranch_vccz .LBB7_62
; %bb.47:
	v_mov_b32_e32 v2, 27
	v_cmp_lt_i16_sdwa s[22:23], s33, v2 src0_sel:BYTE_0 src1_sel:DWORD
	s_mov_b64 s[16:17], -1
	s_and_b64 vcc, exec, s[22:23]
	s_cbranch_vccnz .LBB7_53
; %bb.48:
	v_cmp_gt_i16_sdwa s[22:23], s33, v2 src0_sel:BYTE_0 src1_sel:DWORD
	s_and_b64 vcc, exec, s[22:23]
	v_cvt_u32_f64_e32 v2, v[0:1]
	s_cbranch_vccz .LBB7_50
; %bb.49:
	s_mov_b64 s[16:17], 0
	global_store_dword v[4:5], v2, off
.LBB7_50:
	s_andn2_b64 vcc, exec, s[16:17]
	s_cbranch_vccnz .LBB7_52
; %bb.51:
	global_store_short v[4:5], v2, off
.LBB7_52:
	s_mov_b64 s[16:17], 0
.LBB7_53:
	s_andn2_b64 vcc, exec, s[16:17]
	s_cbranch_vccnz .LBB7_61
; %bb.54:
	v_cvt_f32_f64_e32 v2, v[0:1]
	v_and_b32_e32 v3, 0x7fffffff, v2
	s_mov_b32 s16, 0x43800000
	v_cmp_gt_u32_e32 vcc, s16, v3
	v_mov_b32_e32 v6, 0x80
	s_and_saveexec_b64 s[16:17], vcc
	s_cbranch_execz .LBB7_60
; %bb.55:
	s_mov_b32 s22, 0x3bffffff
	v_cmp_lt_u32_e32 vcc, s22, v3
	s_mov_b64 s[22:23], 0
                                        ; implicit-def: $vgpr3
	s_and_saveexec_b64 s[26:27], vcc
	s_xor_b64 s[26:27], exec, s[26:27]
	s_cbranch_execz .LBB7_283
; %bb.56:
	v_bfe_u32 v3, v2, 20, 1
	s_mov_b32 s28, 0x487ffff
	v_add3_u32 v3, v2, v3, s28
	s_mov_b64 s[22:23], exec
	v_lshrrev_b32_e32 v3, 20, v3
	s_or_saveexec_b64 s[26:27], s[26:27]
                                        ; implicit-def: $sgpr28
	s_xor_b64 exec, exec, s[26:27]
	s_cbranch_execnz .LBB7_284
.LBB7_57:
	s_or_b64 exec, exec, s[26:27]
	v_mov_b32_e32 v6, s28
	s_and_saveexec_b64 s[26:27], s[22:23]
.LBB7_58:
	v_lshrrev_b32_e32 v2, 24, v2
	s_movk_i32 s22, 0x80
	v_and_or_b32 v6, v2, s22, v3
.LBB7_59:
	s_or_b64 exec, exec, s[26:27]
.LBB7_60:
	s_or_b64 exec, exec, s[16:17]
	global_store_byte v[4:5], v6, off
.LBB7_61:
	s_mov_b64 s[16:17], -1
.LBB7_62:
	s_mov_b64 s[22:23], 0
.LBB7_63:
	s_and_b64 vcc, exec, s[22:23]
	s_cbranch_vccz .LBB7_104
; %bb.64:
	v_mov_b32_e32 v2, 22
	v_cmp_gt_i16_sdwa s[26:27], s33, v2 src0_sel:BYTE_0 src1_sel:DWORD
	s_mov_b64 s[22:23], -1
	s_and_b64 vcc, exec, s[26:27]
	s_cbranch_vccz .LBB7_96
; %bb.65:
	v_mov_b32_e32 v2, 24
	v_cmp_lt_i16_sdwa s[22:23], s33, v2 src0_sel:BYTE_0 src1_sel:DWORD
	s_mov_b64 s[16:17], -1
	s_and_b64 vcc, exec, s[22:23]
	s_cbranch_vccnz .LBB7_85
; %bb.66:
	v_cmp_gt_i16_sdwa s[22:23], s33, v2 src0_sel:BYTE_0 src1_sel:DWORD
	s_and_b64 vcc, exec, s[22:23]
	s_cbranch_vccz .LBB7_74
; %bb.67:
	v_cvt_f32_f64_e32 v2, v[0:1]
	v_and_b32_e32 v3, 0x7fffffff, v2
	s_mov_b32 s16, 0x47800000
	v_cmp_gt_u32_e32 vcc, s16, v3
	v_mov_b32_e32 v6, 0x80
	s_and_saveexec_b64 s[16:17], vcc
	s_cbranch_execz .LBB7_73
; %bb.68:
	s_mov_b32 s22, 0x37ffffff
	v_cmp_lt_u32_e32 vcc, s22, v3
	s_mov_b64 s[22:23], 0
                                        ; implicit-def: $vgpr3
	s_and_saveexec_b64 s[26:27], vcc
	s_xor_b64 s[26:27], exec, s[26:27]
	s_cbranch_execz .LBB7_287
; %bb.69:
	v_bfe_u32 v3, v2, 21, 1
	s_mov_b32 s28, 0x88fffff
	v_add3_u32 v3, v2, v3, s28
	s_mov_b64 s[22:23], exec
	v_lshrrev_b32_e32 v3, 21, v3
	s_or_saveexec_b64 s[26:27], s[26:27]
                                        ; implicit-def: $sgpr28
	s_xor_b64 exec, exec, s[26:27]
	s_cbranch_execnz .LBB7_288
.LBB7_70:
	s_or_b64 exec, exec, s[26:27]
	v_mov_b32_e32 v6, s28
	s_and_saveexec_b64 s[26:27], s[22:23]
.LBB7_71:
	v_lshrrev_b32_e32 v2, 24, v2
	s_movk_i32 s22, 0x80
	v_and_or_b32 v6, v2, s22, v3
.LBB7_72:
	s_or_b64 exec, exec, s[26:27]
.LBB7_73:
	s_or_b64 exec, exec, s[16:17]
	s_mov_b64 s[16:17], 0
	global_store_byte v[4:5], v6, off
.LBB7_74:
	s_and_b64 vcc, exec, s[16:17]
	s_cbranch_vccz .LBB7_84
; %bb.75:
	v_cvt_f32_f64_e32 v2, v[0:1]
	v_and_b32_e32 v6, 0x7fffffff, v2
	s_mov_b32 s16, 0x43f00000
	v_cmp_gt_u32_e32 vcc, s16, v6
                                        ; implicit-def: $vgpr3
	s_and_saveexec_b64 s[16:17], vcc
	s_xor_b64 s[16:17], exec, s[16:17]
	s_cbranch_execz .LBB7_81
; %bb.76:
	s_mov_b32 s22, 0x3c7fffff
	v_cmp_lt_u32_e32 vcc, s22, v6
                                        ; implicit-def: $vgpr3
	s_and_saveexec_b64 s[22:23], vcc
	s_xor_b64 s[22:23], exec, s[22:23]
; %bb.77:
	v_bfe_u32 v3, v2, 20, 1
	s_mov_b32 s26, 0x407ffff
	v_add3_u32 v3, v2, v3, s26
	v_lshrrev_b32_e32 v6, 20, v3
	v_and_b32_e32 v3, 0xff00000, v3
	s_mov_b32 s26, 0x7f00000
	v_mov_b32_e32 v7, 0x7e
	v_cmp_ne_u32_e32 vcc, s26, v3
	v_cndmask_b32_e32 v3, v7, v6, vcc
; %bb.78:
	s_andn2_saveexec_b64 s[22:23], s[22:23]
; %bb.79:
	s_mov_b32 s26, 0x46800000
	v_add_f32_e64 v3, |v2|, s26
; %bb.80:
	s_or_b64 exec, exec, s[22:23]
                                        ; implicit-def: $vgpr6
.LBB7_81:
	s_andn2_saveexec_b64 s[16:17], s[16:17]
; %bb.82:
	s_mov_b32 s22, 0x7f800000
	v_mov_b32_e32 v3, 0x7e
	v_mov_b32_e32 v7, 0x7f
	v_cmp_lt_u32_e32 vcc, s22, v6
	v_cndmask_b32_e32 v3, v3, v7, vcc
; %bb.83:
	s_or_b64 exec, exec, s[16:17]
	v_lshrrev_b32_e32 v2, 24, v2
	s_movk_i32 s16, 0x80
	v_and_or_b32 v2, v2, s16, v3
	global_store_byte v[4:5], v2, off
.LBB7_84:
	s_mov_b64 s[16:17], 0
.LBB7_85:
	s_andn2_b64 vcc, exec, s[16:17]
	s_cbranch_vccnz .LBB7_95
; %bb.86:
	v_cvt_f32_f64_e32 v2, v[0:1]
	v_and_b32_e32 v6, 0x7fffffff, v2
	s_mov_b32 s16, 0x47800000
	v_cmp_gt_u32_e32 vcc, s16, v6
                                        ; implicit-def: $vgpr3
	s_and_saveexec_b64 s[16:17], vcc
	s_xor_b64 s[16:17], exec, s[16:17]
	s_cbranch_execz .LBB7_92
; %bb.87:
	s_mov_b32 s22, 0x387fffff
	v_cmp_lt_u32_e32 vcc, s22, v6
                                        ; implicit-def: $vgpr3
	s_and_saveexec_b64 s[22:23], vcc
	s_xor_b64 s[22:23], exec, s[22:23]
; %bb.88:
	v_bfe_u32 v3, v2, 21, 1
	s_mov_b32 s26, 0x80fffff
	v_add3_u32 v3, v2, v3, s26
	v_lshrrev_b32_e32 v3, 21, v3
; %bb.89:
	s_andn2_saveexec_b64 s[22:23], s[22:23]
; %bb.90:
	s_mov_b32 s26, 0x43000000
	v_add_f32_e64 v3, |v2|, s26
; %bb.91:
	s_or_b64 exec, exec, s[22:23]
                                        ; implicit-def: $vgpr6
.LBB7_92:
	s_andn2_saveexec_b64 s[16:17], s[16:17]
; %bb.93:
	s_mov_b32 s22, 0x7f800000
	v_mov_b32_e32 v3, 0x7c
	v_mov_b32_e32 v7, 0x7f
	v_cmp_lt_u32_e32 vcc, s22, v6
	v_cndmask_b32_e32 v3, v3, v7, vcc
; %bb.94:
	s_or_b64 exec, exec, s[16:17]
	v_lshrrev_b32_e32 v2, 24, v2
	s_movk_i32 s16, 0x80
	v_and_or_b32 v2, v2, s16, v3
	global_store_byte v[4:5], v2, off
.LBB7_95:
	s_mov_b64 s[22:23], 0
	s_mov_b64 s[16:17], -1
.LBB7_96:
	s_andn2_b64 vcc, exec, s[22:23]
	s_cbranch_vccnz .LBB7_104
; %bb.97:
	v_mov_b32_e32 v2, 14
	v_cmp_gt_i16_sdwa s[26:27], s33, v2 src0_sel:BYTE_0 src1_sel:DWORD
	s_mov_b64 s[22:23], -1
	s_and_b64 vcc, exec, s[26:27]
	s_cbranch_vccz .LBB7_101
; %bb.98:
	v_mov_b32_e32 v2, 15
	v_cmp_eq_u16_sdwa s[22:23], s33, v2 src0_sel:BYTE_0 src1_sel:DWORD
	s_mov_b64 s[0:1], -1
	s_and_b64 vcc, exec, s[22:23]
	s_cbranch_vccz .LBB7_100
; %bb.99:
	v_cvt_f32_f64_e32 v2, v[0:1]
	v_bfe_u32 v3, v2, 16, 1
	s_movk_i32 s0, 0x7fff
	v_add3_u32 v3, v2, v3, s0
	v_lshrrev_b32_e32 v3, 16, v3
	v_mov_b32_e32 v6, 0x7fc0
	v_cmp_o_f32_e32 vcc, v2, v2
	v_cndmask_b32_e32 v2, v6, v3, vcc
	global_store_short v[4:5], v2, off
	s_mov_b64 s[16:17], -1
	s_mov_b64 s[0:1], 0
.LBB7_100:
	s_mov_b64 s[22:23], 0
.LBB7_101:
	s_and_b64 vcc, exec, s[22:23]
	s_cbranch_vccz .LBB7_104
; %bb.102:
	v_mov_b32_e32 v2, 11
	v_cmp_eq_u16_sdwa s[22:23], s33, v2 src0_sel:BYTE_0 src1_sel:DWORD
	s_mov_b64 s[0:1], -1
	s_and_b64 vcc, exec, s[22:23]
	s_cbranch_vccz .LBB7_104
; %bb.103:
	v_cmp_neq_f64_e32 vcc, 0, v[0:1]
	s_mov_b64 s[0:1], 0
	v_cndmask_b32_e64 v2, 0, 1, vcc
	s_mov_b64 s[16:17], -1
	global_store_byte v[4:5], v2, off
.LBB7_104:
	s_branch .LBB7_22
.LBB7_105:
	v_mov_b32_e32 v2, 5
	v_cmp_lt_i16_sdwa s[22:23], s33, v2 src0_sel:BYTE_0 src1_sel:DWORD
	s_mov_b64 s[16:17], -1
	s_and_b64 vcc, exec, s[22:23]
	s_cbranch_vccnz .LBB7_126
; %bb.106:
	v_mov_b32_e32 v2, 8
	v_cmp_lt_i16_sdwa s[22:23], s33, v2 src0_sel:BYTE_0 src1_sel:DWORD
	s_and_b64 vcc, exec, s[22:23]
	s_cbranch_vccnz .LBB7_116
; %bb.107:
	v_mov_b32_e32 v2, 9
	v_cmp_lt_i16_sdwa s[22:23], s33, v2 src0_sel:BYTE_0 src1_sel:DWORD
	s_and_b64 vcc, exec, s[22:23]
	s_cbranch_vccnz .LBB7_113
; %bb.108:
	v_cmp_gt_i16_sdwa s[22:23], s33, v2 src0_sel:BYTE_0 src1_sel:DWORD
	s_and_b64 vcc, exec, s[22:23]
	s_cbranch_vccz .LBB7_110
; %bb.109:
	v_mov_b32_e32 v2, 0
	v_mov_b32_e32 v3, v2
	global_store_dwordx4 v[4:5], v[0:3], off
	s_mov_b64 s[16:17], 0
.LBB7_110:
	s_andn2_b64 vcc, exec, s[16:17]
	s_cbranch_vccnz .LBB7_112
; %bb.111:
	v_cvt_f32_f64_e32 v2, v[0:1]
	v_mov_b32_e32 v3, 0
	global_store_dwordx2 v[4:5], v[2:3], off
.LBB7_112:
	s_mov_b64 s[16:17], 0
.LBB7_113:
	s_andn2_b64 vcc, exec, s[16:17]
	s_cbranch_vccnz .LBB7_115
; %bb.114:
	v_cvt_f32_f64_e32 v2, v[0:1]
	v_cvt_f16_f32_e32 v2, v2
	global_store_dword v[4:5], v2, off
.LBB7_115:
	s_mov_b64 s[16:17], 0
.LBB7_116:
	s_andn2_b64 vcc, exec, s[16:17]
	s_cbranch_vccnz .LBB7_125
; %bb.117:
	v_mov_b32_e32 v2, 6
	v_cmp_lt_i16_sdwa s[22:23], s33, v2 src0_sel:BYTE_0 src1_sel:DWORD
	s_mov_b64 s[16:17], -1
	s_and_b64 vcc, exec, s[22:23]
	s_cbranch_vccnz .LBB7_123
; %bb.118:
	v_cmp_gt_i16_sdwa s[22:23], s33, v2 src0_sel:BYTE_0 src1_sel:DWORD
	s_and_b64 vcc, exec, s[22:23]
	s_cbranch_vccz .LBB7_120
; %bb.119:
	global_store_dwordx2 v[4:5], v[0:1], off
	s_mov_b64 s[16:17], 0
.LBB7_120:
	s_andn2_b64 vcc, exec, s[16:17]
	s_cbranch_vccnz .LBB7_122
; %bb.121:
	v_cvt_f32_f64_e32 v2, v[0:1]
	global_store_dword v[4:5], v2, off
.LBB7_122:
	s_mov_b64 s[16:17], 0
.LBB7_123:
	s_andn2_b64 vcc, exec, s[16:17]
	s_cbranch_vccnz .LBB7_125
; %bb.124:
	v_cvt_f32_f64_e32 v2, v[0:1]
	v_cvt_f16_f32_e32 v2, v2
	global_store_short v[4:5], v2, off
.LBB7_125:
	s_mov_b64 s[16:17], 0
.LBB7_126:
	s_andn2_b64 vcc, exec, s[16:17]
	s_cbranch_vccnz .LBB7_142
; %bb.127:
	v_mov_b32_e32 v2, 2
	v_cmp_lt_i16_sdwa s[22:23], s33, v2 src0_sel:BYTE_0 src1_sel:DWORD
	s_mov_b64 s[16:17], -1
	s_and_b64 vcc, exec, s[22:23]
	s_cbranch_vccnz .LBB7_137
; %bb.128:
	v_mov_b32_e32 v2, 3
	v_cmp_lt_i16_sdwa s[22:23], s33, v2 src0_sel:BYTE_0 src1_sel:DWORD
	s_and_b64 vcc, exec, s[22:23]
	s_cbranch_vccnz .LBB7_134
; %bb.129:
	v_cmp_gt_i16_sdwa s[22:23], s33, v2 src0_sel:BYTE_0 src1_sel:DWORD
	s_and_b64 vcc, exec, s[22:23]
	s_cbranch_vccz .LBB7_131
; %bb.130:
	v_trunc_f64_e32 v[2:3], v[0:1]
	s_movk_i32 s16, 0xffe0
	v_ldexp_f64 v[6:7], v[2:3], s16
	v_floor_f64_e32 v[6:7], v[6:7]
	v_fmac_f64_e32 v[2:3], 0xc1f00000, v[6:7]
	v_cvt_i32_f64_e32 v9, v[6:7]
	v_cvt_u32_f64_e32 v8, v[2:3]
	global_store_dwordx2 v[4:5], v[8:9], off
	s_mov_b64 s[16:17], 0
.LBB7_131:
	s_andn2_b64 vcc, exec, s[16:17]
	s_cbranch_vccnz .LBB7_133
; %bb.132:
	v_cvt_i32_f64_e32 v2, v[0:1]
	global_store_dword v[4:5], v2, off
.LBB7_133:
	s_mov_b64 s[16:17], 0
.LBB7_134:
	s_andn2_b64 vcc, exec, s[16:17]
	s_cbranch_vccnz .LBB7_136
; %bb.135:
	v_cvt_i32_f64_e32 v2, v[0:1]
	global_store_short v[4:5], v2, off
.LBB7_136:
	s_mov_b64 s[16:17], 0
.LBB7_137:
	s_andn2_b64 vcc, exec, s[16:17]
	s_cbranch_vccnz .LBB7_142
; %bb.138:
	v_mov_b32_e32 v2, 0
	v_cmp_gt_i16_sdwa s[22:23], s33, v2 src0_sel:BYTE_0 src1_sel:DWORD
	s_mov_b64 s[16:17], -1
	s_and_b64 vcc, exec, s[22:23]
	s_cbranch_vccz .LBB7_140
; %bb.139:
	v_cvt_i32_f64_e32 v2, v[0:1]
	global_store_byte v[4:5], v2, off
	s_mov_b64 s[16:17], 0
.LBB7_140:
	s_andn2_b64 vcc, exec, s[16:17]
	s_cbranch_vccnz .LBB7_142
; %bb.141:
	v_trunc_f64_e32 v[0:1], v[0:1]
	s_movk_i32 s16, 0xffe0
	v_ldexp_f64 v[2:3], v[0:1], s16
	v_floor_f64_e32 v[2:3], v[2:3]
	v_fmac_f64_e32 v[0:1], 0xc1f00000, v[2:3]
	v_cvt_u32_f64_e32 v0, v[0:1]
	global_store_byte v[4:5], v0, off
.LBB7_142:
	s_branch .LBB7_23
.LBB7_143:
	s_mov_b64 s[22:23], 0
                                        ; implicit-def: $vgpr16
	s_branch .LBB7_253
.LBB7_144:
	s_mov_b64 s[18:19], -1
                                        ; implicit-def: $vgpr2_vgpr3
.LBB7_145:
	s_mov_b64 s[16:17], 0
.LBB7_146:
	s_and_b64 vcc, exec, s[16:17]
	s_cbranch_vccz .LBB7_150
; %bb.147:
	v_cmp_eq_u16_e32 vcc, 29, v17
	s_cbranch_vccz .LBB7_149
; %bb.148:
	global_load_dwordx2 v[2:3], v[0:1], off
	s_mov_b64 s[0:1], -1
	s_mov_b64 s[18:19], 0
	s_mov_b64 s[16:17], 0
	s_waitcnt vmcnt(0)
	v_cvt_f64_u32_e32 v[4:5], v3
	v_cvt_f64_u32_e32 v[2:3], v2
	v_ldexp_f64 v[4:5], v[4:5], 32
	v_add_f64 v[2:3], v[4:5], v[2:3]
	s_branch .LBB7_151
.LBB7_149:
	s_mov_b64 s[18:19], -1
                                        ; implicit-def: $vgpr2_vgpr3
.LBB7_150:
	s_mov_b64 s[16:17], 0
.LBB7_151:
	s_and_b64 vcc, exec, s[16:17]
	s_cbranch_vccz .LBB7_169
; %bb.152:
	v_cmp_gt_i16_e32 vcc, 27, v17
	s_cbranch_vccnz .LBB7_155
; %bb.153:
	v_cmp_lt_i16_e32 vcc, 27, v17
	s_cbranch_vccz .LBB7_156
; %bb.154:
	global_load_dword v2, v[0:1], off
	s_mov_b64 s[0:1], 0
	s_waitcnt vmcnt(0)
	v_cvt_f64_u32_e32 v[2:3], v2
	s_branch .LBB7_157
.LBB7_155:
	s_mov_b64 s[0:1], -1
                                        ; implicit-def: $vgpr2_vgpr3
	s_branch .LBB7_160
.LBB7_156:
	s_mov_b64 s[0:1], -1
                                        ; implicit-def: $vgpr2_vgpr3
.LBB7_157:
	s_andn2_b64 vcc, exec, s[0:1]
	s_cbranch_vccnz .LBB7_159
; %bb.158:
	global_load_ushort v2, v[0:1], off
	s_waitcnt vmcnt(0)
	v_cvt_f64_u32_e32 v[2:3], v2
.LBB7_159:
	s_mov_b64 s[0:1], 0
.LBB7_160:
	s_andn2_b64 vcc, exec, s[0:1]
	s_cbranch_vccnz .LBB7_168
; %bb.161:
	global_load_ubyte v4, v[0:1], off
	s_movk_i32 s0, 0x7f
                                        ; implicit-def: $sgpr16_sgpr17
	s_waitcnt vmcnt(0)
	v_cmp_lt_i16_e32 vcc, s0, v4
	s_mov_b64 s[0:1], 0
	s_and_saveexec_b64 s[22:23], vcc
	s_xor_b64 s[22:23], exec, s[22:23]
	s_cbranch_execz .LBB7_181
; %bb.162:
	s_movk_i32 s0, 0x80
	v_cmp_eq_u16_e32 vcc, s0, v4
	s_mov_b64 s[26:27], -1
                                        ; implicit-def: $sgpr16_sgpr17
	s_and_saveexec_b64 s[0:1], vcc
; %bb.163:
	s_mov_b32 s17, 0x7ff80000
	s_brev_b32 s16, 4
	s_xor_b64 s[26:27], exec, -1
; %bb.164:
	s_or_b64 exec, exec, s[0:1]
	s_and_b64 s[0:1], s[26:27], exec
	s_or_saveexec_b64 s[22:23], s[22:23]
	v_pk_mov_b32 v[2:3], s[16:17], s[16:17] op_sel:[0,1]
	s_xor_b64 exec, exec, s[22:23]
	s_cbranch_execnz .LBB7_182
.LBB7_165:
	s_or_b64 exec, exec, s[22:23]
	s_and_saveexec_b64 s[16:17], s[0:1]
	s_cbranch_execz .LBB7_167
.LBB7_166:
	v_and_b32_e32 v3, 0xffff, v4
	v_lshlrev_b32_e32 v2, 24, v4
	v_and_b32_e32 v4, 7, v3
	v_ffbh_u32_e32 v6, v4
	v_min_u32_e32 v6, 32, v6
	v_subrev_u32_e32 v7, 28, v6
	v_bfe_u32 v5, v3, 3, 4
	v_lshlrev_b32_e32 v3, v7, v3
	v_sub_u32_e32 v6, 29, v6
	v_and_b32_e32 v3, 7, v3
	v_cmp_eq_u32_e32 vcc, 0, v5
	v_cndmask_b32_e32 v5, v5, v6, vcc
	v_cndmask_b32_e32 v3, v4, v3, vcc
	v_mov_b32_e32 v4, 0x3b800000
	v_lshlrev_b32_e32 v3, 20, v3
	v_and_b32_e32 v2, 0x80000000, v2
	v_lshl_add_u32 v4, v5, 23, v4
	v_or3_b32 v2, v2, v4, v3
	v_cvt_f64_f32_e32 v[2:3], v2
.LBB7_167:
	s_or_b64 exec, exec, s[16:17]
.LBB7_168:
	s_mov_b64 s[0:1], -1
.LBB7_169:
	s_branch .LBB7_204
.LBB7_170:
	v_cmp_lt_i16_e32 vcc, 22, v17
	s_cbranch_vccz .LBB7_180
; %bb.171:
	v_cmp_gt_i16_e32 vcc, 24, v17
	s_cbranch_vccnz .LBB7_183
; %bb.172:
	v_cmp_lt_i16_e32 vcc, 24, v17
	s_cbranch_vccz .LBB7_184
; %bb.173:
	global_load_ubyte v4, v[0:1], off
	s_movk_i32 s0, 0x7f
                                        ; implicit-def: $sgpr16_sgpr17
	s_waitcnt vmcnt(0)
	v_cmp_lt_i16_e32 vcc, s0, v4
	s_mov_b64 s[0:1], 0
	s_and_saveexec_b64 s[22:23], vcc
	s_xor_b64 s[22:23], exec, s[22:23]
	s_cbranch_execz .LBB7_196
; %bb.174:
	s_movk_i32 s0, 0x80
	v_cmp_eq_u16_e32 vcc, s0, v4
	s_mov_b64 s[26:27], -1
                                        ; implicit-def: $sgpr16_sgpr17
	s_and_saveexec_b64 s[0:1], vcc
; %bb.175:
	s_mov_b32 s17, 0x7ff80000
	s_brev_b32 s16, 4
	s_xor_b64 s[26:27], exec, -1
; %bb.176:
	s_or_b64 exec, exec, s[0:1]
	s_and_b64 s[0:1], s[26:27], exec
	s_or_saveexec_b64 s[22:23], s[22:23]
	v_pk_mov_b32 v[2:3], s[16:17], s[16:17] op_sel:[0,1]
	s_xor_b64 exec, exec, s[22:23]
	s_cbranch_execnz .LBB7_197
.LBB7_177:
	s_or_b64 exec, exec, s[22:23]
	s_and_saveexec_b64 s[16:17], s[0:1]
	s_cbranch_execz .LBB7_179
.LBB7_178:
	v_and_b32_e32 v3, 0xffff, v4
	v_lshlrev_b32_e32 v2, 24, v4
	v_and_b32_e32 v4, 3, v3
	v_ffbh_u32_e32 v6, v4
	v_min_u32_e32 v6, 32, v6
	v_subrev_u32_e32 v7, 29, v6
	v_bfe_u32 v5, v3, 2, 5
	v_lshlrev_b32_e32 v3, v7, v3
	v_sub_u32_e32 v6, 30, v6
	v_and_b32_e32 v3, 3, v3
	v_cmp_eq_u32_e32 vcc, 0, v5
	v_cndmask_b32_e32 v5, v5, v6, vcc
	v_cndmask_b32_e32 v3, v4, v3, vcc
	v_mov_b32_e32 v4, 0x37800000
	v_lshlrev_b32_e32 v3, 21, v3
	v_and_b32_e32 v2, 0x80000000, v2
	v_lshl_add_u32 v4, v5, 23, v4
	v_or3_b32 v2, v2, v4, v3
	v_cvt_f64_f32_e32 v[2:3], v2
.LBB7_179:
	s_or_b64 exec, exec, s[16:17]
	s_mov_b64 s[0:1], 0
	s_branch .LBB7_185
.LBB7_180:
	s_mov_b64 s[16:17], -1
                                        ; implicit-def: $vgpr2_vgpr3
	s_branch .LBB7_191
.LBB7_181:
	s_or_saveexec_b64 s[22:23], s[22:23]
	v_pk_mov_b32 v[2:3], s[16:17], s[16:17] op_sel:[0,1]
	s_xor_b64 exec, exec, s[22:23]
	s_cbranch_execz .LBB7_165
.LBB7_182:
	v_cmp_ne_u16_e32 vcc, 0, v4
	s_andn2_b64 s[0:1], s[0:1], exec
	s_and_b64 s[16:17], vcc, exec
	v_pk_mov_b32 v[2:3], 0, 0
	s_or_b64 s[0:1], s[0:1], s[16:17]
	s_or_b64 exec, exec, s[22:23]
	s_and_saveexec_b64 s[16:17], s[0:1]
	s_cbranch_execnz .LBB7_166
	s_branch .LBB7_167
.LBB7_183:
	s_mov_b64 s[0:1], -1
                                        ; implicit-def: $vgpr2_vgpr3
	s_branch .LBB7_188
.LBB7_184:
	s_mov_b64 s[0:1], -1
                                        ; implicit-def: $vgpr2_vgpr3
.LBB7_185:
	s_and_b64 vcc, exec, s[0:1]
	s_cbranch_vccz .LBB7_187
; %bb.186:
	global_load_ubyte v2, v[0:1], off
	s_mov_b32 s0, 0x7f800000
	s_waitcnt vmcnt(0)
	v_lshlrev_b32_e32 v2, 24, v2
	v_and_b32_e32 v3, 0x7f000000, v2
	v_ffbh_u32_e32 v4, v3
	v_min_u32_e32 v4, 32, v4
	v_sub_u32_e64 v4, v4, 4 clamp
	v_lshlrev_b32_e32 v6, v4, v3
	v_lshlrev_b32_e32 v4, 23, v4
	v_lshrrev_b32_e32 v6, 4, v6
	v_add_u32_e32 v5, 0x1000000, v3
	v_sub_u32_e32 v4, v6, v4
	v_ashrrev_i32_e32 v5, 8, v5
	v_add_u32_e32 v4, 0x3c000000, v4
	v_and_or_b32 v4, v5, s0, v4
	v_cmp_ne_u32_e32 vcc, 0, v3
	v_cndmask_b32_e32 v3, 0, v4, vcc
	s_brev_b32 s0, 1
	v_and_or_b32 v2, v2, s0, v3
	v_cvt_f64_f32_e32 v[2:3], v2
.LBB7_187:
	s_mov_b64 s[0:1], 0
.LBB7_188:
	s_andn2_b64 vcc, exec, s[0:1]
	s_cbranch_vccnz .LBB7_190
; %bb.189:
	global_load_ubyte v2, v[0:1], off
	s_movk_i32 s0, 0x7f00
	s_brev_b32 s1, 16
	s_waitcnt vmcnt(0)
	v_lshlrev_b16_e32 v3, 8, v2
	v_lshlrev_b32_e32 v2, 25, v2
	v_lshrrev_b32_e32 v4, 4, v2
	v_and_or_b32 v5, v3, s0, 0.5
	v_or_b32_e32 v4, 0x70000000, v4
	v_add_f32_e32 v5, -0.5, v5
	v_mul_f32_e32 v4, 0x7800000, v4
	v_cmp_gt_u32_e32 vcc, s1, v2
	v_bfe_i32 v3, v3, 0, 16
	v_cndmask_b32_e32 v2, v4, v5, vcc
	s_brev_b32 s0, 1
	v_and_or_b32 v2, v3, s0, v2
	v_cvt_f64_f32_e32 v[2:3], v2
.LBB7_190:
	s_mov_b64 s[16:17], 0
	s_mov_b64 s[0:1], -1
.LBB7_191:
	s_andn2_b64 vcc, exec, s[16:17]
	s_cbranch_vccnz .LBB7_204
; %bb.192:
	v_cmp_lt_i16_e32 vcc, 14, v17
	s_cbranch_vccz .LBB7_195
; %bb.193:
	v_cmp_eq_u16_e32 vcc, 15, v17
	s_cbranch_vccz .LBB7_198
; %bb.194:
	global_load_ushort v2, v[0:1], off
	s_mov_b64 s[0:1], -1
	s_mov_b64 s[18:19], 0
	s_waitcnt vmcnt(0)
	v_lshlrev_b32_e32 v2, 16, v2
	v_cvt_f64_f32_e32 v[2:3], v2
	s_branch .LBB7_199
.LBB7_195:
	s_mov_b64 s[16:17], -1
                                        ; implicit-def: $vgpr2_vgpr3
	s_branch .LBB7_200
.LBB7_196:
	s_or_saveexec_b64 s[22:23], s[22:23]
	v_pk_mov_b32 v[2:3], s[16:17], s[16:17] op_sel:[0,1]
	s_xor_b64 exec, exec, s[22:23]
	s_cbranch_execz .LBB7_177
.LBB7_197:
	v_cmp_ne_u16_e32 vcc, 0, v4
	s_andn2_b64 s[0:1], s[0:1], exec
	s_and_b64 s[16:17], vcc, exec
	v_pk_mov_b32 v[2:3], 0, 0
	s_or_b64 s[0:1], s[0:1], s[16:17]
	s_or_b64 exec, exec, s[22:23]
	s_and_saveexec_b64 s[16:17], s[0:1]
	s_cbranch_execnz .LBB7_178
	s_branch .LBB7_179
.LBB7_198:
	s_mov_b64 s[18:19], -1
                                        ; implicit-def: $vgpr2_vgpr3
.LBB7_199:
	s_mov_b64 s[16:17], 0
.LBB7_200:
	s_and_b64 vcc, exec, s[16:17]
	s_cbranch_vccz .LBB7_204
; %bb.201:
	v_cmp_eq_u16_e32 vcc, 11, v17
	s_cbranch_vccz .LBB7_203
; %bb.202:
	global_load_ubyte v3, v[0:1], off
	v_mov_b32_e32 v4, 0x3ff00000
	v_mov_b32_e32 v2, 0
	s_mov_b64 s[0:1], -1
	s_mov_b64 s[18:19], 0
	s_waitcnt vmcnt(0)
	v_cmp_ne_u16_e32 vcc, 0, v3
	v_cndmask_b32_e32 v3, 0, v4, vcc
	s_branch .LBB7_204
.LBB7_203:
	s_mov_b64 s[18:19], -1
                                        ; implicit-def: $vgpr2_vgpr3
.LBB7_204:
	s_branch .LBB7_10
.LBB7_205:
	v_cmp_gt_i16_e32 vcc, 5, v17
	s_cbranch_vccnz .LBB7_210
; %bb.206:
	v_cmp_gt_i16_e32 vcc, 8, v17
	s_cbranch_vccnz .LBB7_211
; %bb.207:
	;; [unrolled: 3-line block ×3, first 2 shown]
	v_cmp_lt_i16_e32 vcc, 9, v17
	s_cbranch_vccz .LBB7_213
; %bb.209:
	global_load_dwordx2 v[2:3], v[0:1], off
	s_mov_b64 s[0:1], 0
	s_branch .LBB7_214
.LBB7_210:
                                        ; implicit-def: $vgpr2_vgpr3
	s_branch .LBB7_232
.LBB7_211:
	s_mov_b64 s[0:1], -1
                                        ; implicit-def: $vgpr2_vgpr3
	s_branch .LBB7_220
.LBB7_212:
	s_mov_b64 s[0:1], -1
                                        ; implicit-def: $vgpr2_vgpr3
	s_branch .LBB7_217
.LBB7_213:
	s_mov_b64 s[0:1], -1
                                        ; implicit-def: $vgpr2_vgpr3
.LBB7_214:
	s_andn2_b64 vcc, exec, s[0:1]
	s_cbranch_vccnz .LBB7_216
; %bb.215:
	global_load_dword v2, v[0:1], off
	s_waitcnt vmcnt(0)
	v_cvt_f64_f32_e32 v[2:3], v2
.LBB7_216:
	s_mov_b64 s[0:1], 0
.LBB7_217:
	s_andn2_b64 vcc, exec, s[0:1]
	s_cbranch_vccnz .LBB7_219
; %bb.218:
	global_load_dword v2, v[0:1], off
	s_waitcnt vmcnt(0)
	v_cvt_f32_f16_e32 v2, v2
	v_cvt_f64_f32_e32 v[2:3], v2
.LBB7_219:
	s_mov_b64 s[0:1], 0
.LBB7_220:
	s_andn2_b64 vcc, exec, s[0:1]
	s_cbranch_vccnz .LBB7_231
; %bb.221:
	v_cmp_gt_i16_e32 vcc, 6, v17
	s_cbranch_vccnz .LBB7_224
; %bb.222:
	v_cmp_lt_i16_e32 vcc, 6, v17
	s_cbranch_vccz .LBB7_225
; %bb.223:
	global_load_dwordx2 v[2:3], v[0:1], off
	s_mov_b64 s[0:1], 0
	s_branch .LBB7_226
.LBB7_224:
	s_mov_b64 s[0:1], -1
                                        ; implicit-def: $vgpr2_vgpr3
	s_branch .LBB7_229
.LBB7_225:
	s_mov_b64 s[0:1], -1
                                        ; implicit-def: $vgpr2_vgpr3
.LBB7_226:
	s_andn2_b64 vcc, exec, s[0:1]
	s_cbranch_vccnz .LBB7_228
; %bb.227:
	global_load_dword v2, v[0:1], off
	s_waitcnt vmcnt(0)
	v_cvt_f64_f32_e32 v[2:3], v2
.LBB7_228:
	s_mov_b64 s[0:1], 0
.LBB7_229:
	s_andn2_b64 vcc, exec, s[0:1]
	s_cbranch_vccnz .LBB7_231
; %bb.230:
	global_load_ushort v2, v[0:1], off
	s_waitcnt vmcnt(0)
	v_cvt_f32_f16_e32 v2, v2
	v_cvt_f64_f32_e32 v[2:3], v2
.LBB7_231:
	s_cbranch_execnz .LBB7_251
.LBB7_232:
	v_cmp_gt_i16_e32 vcc, 2, v17
	s_cbranch_vccnz .LBB7_236
; %bb.233:
	v_cmp_gt_i16_e32 vcc, 3, v17
	s_cbranch_vccnz .LBB7_237
; %bb.234:
	v_cmp_lt_i16_e32 vcc, 3, v17
	s_cbranch_vccz .LBB7_238
; %bb.235:
	global_load_dwordx2 v[2:3], v[0:1], off
	s_mov_b64 s[0:1], 0
	s_waitcnt vmcnt(0)
	v_cvt_f64_i32_e32 v[4:5], v3
	v_cvt_f64_u32_e32 v[2:3], v2
	v_ldexp_f64 v[4:5], v[4:5], 32
	v_add_f64 v[2:3], v[4:5], v[2:3]
	s_branch .LBB7_239
.LBB7_236:
	s_mov_b64 s[0:1], -1
                                        ; implicit-def: $vgpr2_vgpr3
	s_branch .LBB7_245
.LBB7_237:
	s_mov_b64 s[0:1], -1
                                        ; implicit-def: $vgpr2_vgpr3
	s_branch .LBB7_242
.LBB7_238:
	s_mov_b64 s[0:1], -1
                                        ; implicit-def: $vgpr2_vgpr3
.LBB7_239:
	s_andn2_b64 vcc, exec, s[0:1]
	s_cbranch_vccnz .LBB7_241
; %bb.240:
	global_load_dword v2, v[0:1], off
	s_waitcnt vmcnt(0)
	v_cvt_f64_i32_e32 v[2:3], v2
.LBB7_241:
	s_mov_b64 s[0:1], 0
.LBB7_242:
	s_andn2_b64 vcc, exec, s[0:1]
	s_cbranch_vccnz .LBB7_244
; %bb.243:
	global_load_sshort v2, v[0:1], off
	s_waitcnt vmcnt(0)
	v_cvt_f64_i32_e32 v[2:3], v2
.LBB7_244:
	s_mov_b64 s[0:1], 0
.LBB7_245:
	s_andn2_b64 vcc, exec, s[0:1]
	s_cbranch_vccnz .LBB7_251
; %bb.246:
	v_cmp_lt_i16_e32 vcc, 0, v17
	s_cbranch_vccz .LBB7_248
; %bb.247:
	global_load_sbyte v2, v[0:1], off
	s_mov_b64 s[0:1], 0
	s_waitcnt vmcnt(0)
	v_cvt_f64_i32_e32 v[2:3], v2
	s_branch .LBB7_249
.LBB7_248:
	s_mov_b64 s[0:1], -1
                                        ; implicit-def: $vgpr2_vgpr3
.LBB7_249:
	s_andn2_b64 vcc, exec, s[0:1]
	s_cbranch_vccnz .LBB7_251
; %bb.250:
	global_load_ubyte v0, v[0:1], off
	s_waitcnt vmcnt(0)
	v_cvt_f64_u32_e32 v[2:3], v0
.LBB7_251:
	s_branch .LBB7_11
.LBB7_252:
	s_mov_b64 s[0:1], 0
                                        ; implicit-def: $vgpr16
	s_mov_b64 s[22:23], 0
.LBB7_253:
	s_and_b64 s[16:17], s[0:1], exec
	s_and_b64 s[18:19], s[18:19], exec
	s_orn2_b64 s[22:23], s[22:23], exec
.LBB7_254:
	s_or_b64 exec, exec, s[20:21]
	s_mov_b64 s[26:27], 0
	s_mov_b64 s[0:1], 0
                                        ; implicit-def: $vgpr0_vgpr1
                                        ; implicit-def: $vgpr2_vgpr3
	s_and_saveexec_b64 s[20:21], s[22:23]
	s_cbranch_execz .LBB7_263
; %bb.255:
	v_cmp_gt_i32_e32 vcc, s42, v16
	s_mov_b64 s[0:1], -1
	s_mov_b64 s[22:23], s[18:19]
	s_mov_b64 s[24:25], s[16:17]
	s_and_saveexec_b64 s[26:27], vcc
	s_cbranch_execz .LBB7_517
; %bb.256:
	v_mul_lo_u32 v0, v16, s3
	v_ashrrev_i32_e32 v1, 31, v0
	s_waitcnt vmcnt(0)
	v_mov_b32_e32 v2, s11
	v_add_co_u32_e32 v0, vcc, s10, v0
	v_addc_co_u32_e32 v1, vcc, v2, v1, vcc
	v_cmp_gt_i16_e32 vcc, 11, v17
	s_cbranch_vccnz .LBB7_266
; %bb.257:
	v_cmp_lt_i16_e32 vcc, 25, v17
	s_cbranch_vccz .LBB7_277
; %bb.258:
	v_cmp_lt_i16_e32 vcc, 28, v17
	s_cbranch_vccz .LBB7_279
; %bb.259:
	v_cmp_lt_i16_e32 vcc, 43, v17
	s_cbranch_vccz .LBB7_281
; %bb.260:
	v_cmp_lt_i16_e32 vcc, 45, v17
	s_cbranch_vccz .LBB7_285
; %bb.261:
	v_cmp_eq_u16_e32 vcc, 46, v17
	s_mov_b64 s[24:25], 0
	s_cbranch_vccz .LBB7_289
; %bb.262:
	global_load_dword v2, v[0:1], off
	s_mov_b64 s[22:23], 0
	s_waitcnt vmcnt(0)
	v_lshlrev_b32_e32 v2, 16, v2
	v_cvt_f64_f32_e32 v[2:3], v2
	s_branch .LBB7_290
.LBB7_263:
	s_or_b64 exec, exec, s[20:21]
	s_mov_b64 s[20:21], 0
	s_and_saveexec_b64 s[22:23], s[18:19]
	s_cbranch_execnz .LBB7_865
.LBB7_264:
	s_or_b64 exec, exec, s[22:23]
	s_and_saveexec_b64 s[18:19], s[24:25]
	s_xor_b64 s[18:19], exec, s[18:19]
	s_cbranch_execz .LBB7_866
.LBB7_265:
	global_load_ubyte v3, v[0:1], off
	v_mov_b32_e32 v4, 0x3ff00000
	s_waitcnt vmcnt(1)
	v_mov_b32_e32 v2, 0
	s_or_b64 s[0:1], s[0:1], exec
	s_waitcnt vmcnt(0)
	v_cmp_ne_u16_e32 vcc, 0, v3
	v_cndmask_b32_e32 v3, 0, v4, vcc
	s_or_b64 exec, exec, s[18:19]
	s_and_saveexec_b64 s[18:19], s[26:27]
	s_cbranch_execz .LBB7_912
	s_branch .LBB7_867
.LBB7_266:
	s_mov_b64 s[0:1], 0
                                        ; implicit-def: $vgpr2_vgpr3
	s_mov_b64 s[22:23], s[18:19]
	s_cbranch_execnz .LBB7_467
.LBB7_267:
	s_andn2_b64 vcc, exec, s[0:1]
	s_cbranch_vccnz .LBB7_515
.LBB7_268:
	s_waitcnt vmcnt(0)
	v_cvt_f32_f64_e32 v0, v[2:3]
	s_mov_b32 s0, 0x7f800000
	v_cmp_nlg_f32_e64 s[24:25], |v0|, s0
	s_and_saveexec_b64 s[0:1], s[24:25]
	s_cbranch_execz .LBB7_270
; %bb.269:
	v_mov_b32_e32 v0, 0
	v_mov_b32_e32 v1, 1.0
	global_store_dword v0, v1, s[12:13]
.LBB7_270:
	s_or_b64 exec, exec, s[0:1]
	v_mov_b32_e32 v0, 0
	global_load_dword v6, v0, s[14:15]
	v_mul_lo_u32 v0, v16, s2
	v_mov_b32_e32 v4, 11
	v_mov_b32_e32 v1, s9
	v_ashrrev_i32_e32 v5, 31, v0
	v_cmp_lt_i16_sdwa s[0:1], s33, v4 src0_sel:BYTE_0 src1_sel:DWORD
	v_add_co_u32_e32 v4, vcc, s8, v0
	v_addc_co_u32_e32 v5, vcc, v1, v5, vcc
	s_and_b64 vcc, exec, s[0:1]
	s_waitcnt vmcnt(0)
	v_cvt_f64_f32_e32 v[0:1], v6
	v_mul_f64 v[0:1], v[2:3], v[0:1]
	v_cmp_eq_f32_e64 s[0:1], 1.0, v6
	v_cndmask_b32_e64 v1, v1, v3, s[0:1]
	v_cndmask_b32_e64 v0, v0, v2, s[0:1]
	s_cbranch_vccnz .LBB7_278
; %bb.271:
	v_mov_b32_e32 v2, 25
	v_cmp_gt_i16_sdwa s[0:1], s33, v2 src0_sel:BYTE_0 src1_sel:DWORD
	s_and_b64 vcc, exec, s[0:1]
	s_cbranch_vccz .LBB7_280
; %bb.272:
	v_mov_b32_e32 v2, 28
	v_cmp_gt_i16_sdwa s[0:1], s33, v2 src0_sel:BYTE_0 src1_sel:DWORD
	s_and_b64 vcc, exec, s[0:1]
	s_cbranch_vccz .LBB7_282
	;; [unrolled: 5-line block ×4, first 2 shown]
; %bb.275:
	v_mov_b32_e32 v2, 46
	v_cmp_eq_u16_sdwa s[24:25], s33, v2 src0_sel:BYTE_0 src1_sel:DWORD
	s_mov_b64 s[28:29], 0
	s_mov_b64 s[0:1], -1
	s_and_b64 vcc, exec, s[24:25]
	s_mov_b64 s[24:25], 0
	s_cbranch_vccz .LBB7_294
; %bb.276:
	v_cvt_f32_f64_e32 v2, v[0:1]
	v_bfe_u32 v3, v2, 16, 1
	s_movk_i32 s0, 0x7fff
	v_add3_u32 v3, v2, v3, s0
	v_lshrrev_b32_e32 v3, 16, v3
	v_mov_b32_e32 v6, 0x7fc0
	v_cmp_o_f32_e32 vcc, v2, v2
	v_cndmask_b32_e32 v2, v6, v3, vcc
	global_store_dword v[4:5], v2, off
	s_mov_b64 s[24:25], -1
	s_mov_b64 s[0:1], 0
	s_branch .LBB7_294
.LBB7_277:
	s_mov_b64 s[24:25], -1
	s_mov_b64 s[0:1], 0
	s_mov_b64 s[22:23], s[18:19]
                                        ; implicit-def: $vgpr2_vgpr3
	s_branch .LBB7_431
.LBB7_278:
	s_mov_b64 s[28:29], -1
	s_mov_b64 s[24:25], 0
	s_mov_b64 s[0:1], s[16:17]
	s_branch .LBB7_363
.LBB7_279:
	s_mov_b64 s[24:25], -1
	s_mov_b64 s[0:1], 0
	s_mov_b64 s[22:23], s[18:19]
                                        ; implicit-def: $vgpr2_vgpr3
	s_branch .LBB7_412
.LBB7_280:
	s_mov_b64 s[28:29], -1
	s_mov_b64 s[24:25], 0
	s_mov_b64 s[0:1], s[16:17]
	s_branch .LBB7_321
.LBB7_281:
	s_mov_b64 s[24:25], -1
	s_mov_b64 s[0:1], 0
	s_mov_b64 s[22:23], s[18:19]
                                        ; implicit-def: $vgpr2_vgpr3
	s_branch .LBB7_407
.LBB7_282:
	s_mov_b64 s[28:29], -1
	s_mov_b64 s[24:25], 0
	s_mov_b64 s[0:1], s[16:17]
	s_branch .LBB7_304
.LBB7_283:
	s_or_saveexec_b64 s[26:27], s[26:27]
                                        ; implicit-def: $sgpr28
	s_xor_b64 exec, exec, s[26:27]
	s_cbranch_execz .LBB7_57
.LBB7_284:
	s_mov_b32 s28, 0x46000000
	v_add_f32_e64 v3, |v2|, s28
	v_and_b32_e32 v3, 0xff, v3
	v_cmp_ne_u32_e32 vcc, 0, v3
	s_andn2_b64 s[22:23], s[22:23], exec
	s_and_b64 s[30:31], vcc, exec
	s_mov_b32 s28, 0
	s_or_b64 s[22:23], s[22:23], s[30:31]
	s_or_b64 exec, exec, s[26:27]
	v_mov_b32_e32 v6, s28
	s_and_saveexec_b64 s[26:27], s[22:23]
	s_cbranch_execnz .LBB7_58
	s_branch .LBB7_59
.LBB7_285:
	s_mov_b64 s[24:25], -1
	s_mov_b64 s[0:1], 0
	s_mov_b64 s[22:23], s[18:19]
                                        ; implicit-def: $vgpr2_vgpr3
	s_branch .LBB7_290
.LBB7_286:
	s_mov_b64 s[28:29], -1
	s_mov_b64 s[24:25], 0
	s_mov_b64 s[0:1], s[16:17]
	s_branch .LBB7_300
.LBB7_287:
	s_or_saveexec_b64 s[26:27], s[26:27]
                                        ; implicit-def: $sgpr28
	s_xor_b64 exec, exec, s[26:27]
	s_cbranch_execz .LBB7_70
.LBB7_288:
	s_mov_b32 s28, 0x42800000
	v_add_f32_e64 v3, |v2|, s28
	v_and_b32_e32 v3, 0xff, v3
	v_cmp_ne_u32_e32 vcc, 0, v3
	s_andn2_b64 s[22:23], s[22:23], exec
	s_and_b64 s[30:31], vcc, exec
	s_mov_b32 s28, 0
	s_or_b64 s[22:23], s[22:23], s[30:31]
	s_or_b64 exec, exec, s[26:27]
	v_mov_b32_e32 v6, s28
	s_and_saveexec_b64 s[26:27], s[22:23]
	s_cbranch_execnz .LBB7_71
	s_branch .LBB7_72
.LBB7_289:
	s_mov_b64 s[22:23], -1
                                        ; implicit-def: $vgpr2_vgpr3
	s_mov_b64 s[0:1], 0
.LBB7_290:
	s_and_b64 vcc, exec, s[24:25]
	s_cbranch_vccz .LBB7_406
; %bb.291:
	v_cmp_eq_u16_e32 vcc, 44, v17
	s_cbranch_vccz .LBB7_405
; %bb.292:
	global_load_ubyte v4, v[0:1], off
	s_movk_i32 s22, 0xff
	v_bfrev_b32_e32 v5, 4
	v_mov_b32_e32 v6, 0x7ff80000
	v_bfrev_b32_e32 v7, 28
	s_mov_b64 s[0:1], -1
	s_waitcnt vmcnt(0)
	v_lshlrev_b32_e32 v2, 23, v4
	v_cvt_f64_f32_e32 v[2:3], v2
	v_cmp_ne_u32_e32 vcc, s22, v4
	v_cndmask_b32_e32 v2, v5, v2, vcc
	v_cndmask_b32_e32 v3, v6, v3, vcc
	v_cmp_ne_u32_e32 vcc, 0, v4
	v_cndmask_b32_e32 v3, v7, v3, vcc
	v_cndmask_b32_e32 v2, 0, v2, vcc
	s_mov_b64 s[22:23], 0
	s_branch .LBB7_406
.LBB7_293:
	s_mov_b64 s[28:29], -1
	s_mov_b64 s[24:25], 0
	s_mov_b64 s[0:1], s[16:17]
.LBB7_294:
	s_and_b64 vcc, exec, s[28:29]
	s_cbranch_vccz .LBB7_299
; %bb.295:
	v_mov_b32_e32 v2, 44
	v_cmp_eq_u16_sdwa s[28:29], s33, v2 src0_sel:BYTE_0 src1_sel:DWORD
	s_mov_b64 s[0:1], -1
	s_and_b64 vcc, exec, s[28:29]
	s_cbranch_vccz .LBB7_299
; %bb.296:
	v_cvt_f32_f64_e32 v2, v[0:1]
	v_bfe_u32 v3, v2, 23, 8
	s_movk_i32 s0, 0xff
	v_cmp_ne_u32_e32 vcc, s0, v3
	v_mov_b32_e32 v6, 0xff
	s_and_saveexec_b64 s[24:25], vcc
; %bb.297:
	s_mov_b32 s0, 0x3fffff
	v_lshrrev_b32_e32 v6, 23, v2
	v_and_b32_e32 v7, 0x400000, v2
	v_and_or_b32 v2, v2, s0, v3
	v_cmp_ne_u32_e32 vcc, 0, v7
	v_cmp_ne_u32_e64 s[0:1], 0, v2
	s_and_b64 s[0:1], vcc, s[0:1]
	v_cndmask_b32_e64 v2, 0, 1, s[0:1]
	v_add_u32_e32 v6, v6, v2
; %bb.298:
	s_or_b64 exec, exec, s[24:25]
	s_mov_b64 s[24:25], -1
	s_mov_b64 s[0:1], 0
	global_store_byte v[4:5], v6, off
.LBB7_299:
	s_mov_b64 s[28:29], 0
.LBB7_300:
	s_and_b64 vcc, exec, s[28:29]
	s_cbranch_vccz .LBB7_303
; %bb.301:
	v_mov_b32_e32 v2, 29
	v_cmp_eq_u16_sdwa s[28:29], s33, v2 src0_sel:BYTE_0 src1_sel:DWORD
	s_mov_b64 s[0:1], -1
	s_and_b64 vcc, exec, s[28:29]
	s_cbranch_vccz .LBB7_303
; %bb.302:
	v_trunc_f64_e32 v[2:3], v[0:1]
	s_movk_i32 s0, 0xffe0
	v_ldexp_f64 v[6:7], v[2:3], s0
	v_floor_f64_e32 v[6:7], v[6:7]
	v_fmac_f64_e32 v[2:3], 0xc1f00000, v[6:7]
	v_cvt_u32_f64_e32 v9, v[6:7]
	v_cvt_u32_f64_e32 v8, v[2:3]
	global_store_dwordx2 v[4:5], v[8:9], off
	s_mov_b64 s[24:25], -1
	s_mov_b64 s[0:1], 0
.LBB7_303:
	s_mov_b64 s[28:29], 0
.LBB7_304:
	s_and_b64 vcc, exec, s[28:29]
	s_cbranch_vccz .LBB7_320
; %bb.305:
	v_mov_b32_e32 v2, 27
	v_cmp_lt_i16_sdwa s[28:29], s33, v2 src0_sel:BYTE_0 src1_sel:DWORD
	s_mov_b64 s[24:25], -1
	s_and_b64 vcc, exec, s[28:29]
	s_cbranch_vccnz .LBB7_311
; %bb.306:
	v_cmp_gt_i16_sdwa s[28:29], s33, v2 src0_sel:BYTE_0 src1_sel:DWORD
	s_and_b64 vcc, exec, s[28:29]
	v_cvt_u32_f64_e32 v2, v[0:1]
	s_cbranch_vccz .LBB7_308
; %bb.307:
	s_mov_b64 s[24:25], 0
	global_store_dword v[4:5], v2, off
.LBB7_308:
	s_andn2_b64 vcc, exec, s[24:25]
	s_cbranch_vccnz .LBB7_310
; %bb.309:
	global_store_short v[4:5], v2, off
.LBB7_310:
	s_mov_b64 s[24:25], 0
.LBB7_311:
	s_andn2_b64 vcc, exec, s[24:25]
	s_cbranch_vccnz .LBB7_319
; %bb.312:
	v_cvt_f32_f64_e32 v2, v[0:1]
	v_and_b32_e32 v3, 0x7fffffff, v2
	s_mov_b32 s24, 0x43800000
	v_cmp_gt_u32_e32 vcc, s24, v3
	v_mov_b32_e32 v6, 0x80
	s_and_saveexec_b64 s[24:25], vcc
	s_cbranch_execz .LBB7_318
; %bb.313:
	s_mov_b32 s28, 0x3bffffff
	v_cmp_lt_u32_e32 vcc, s28, v3
	s_mov_b64 s[28:29], 0
                                        ; implicit-def: $vgpr3
	s_and_saveexec_b64 s[30:31], vcc
	s_xor_b64 s[30:31], exec, s[30:31]
	s_cbranch_execz .LBB7_530
; %bb.314:
	v_bfe_u32 v3, v2, 20, 1
	s_mov_b32 s34, 0x487ffff
	v_add3_u32 v3, v2, v3, s34
	s_mov_b64 s[28:29], exec
	v_lshrrev_b32_e32 v3, 20, v3
	s_or_saveexec_b64 s[30:31], s[30:31]
                                        ; implicit-def: $sgpr34
	s_xor_b64 exec, exec, s[30:31]
	s_cbranch_execnz .LBB7_531
.LBB7_315:
	s_or_b64 exec, exec, s[30:31]
	v_mov_b32_e32 v6, s34
	s_and_saveexec_b64 s[30:31], s[28:29]
.LBB7_316:
	v_lshrrev_b32_e32 v2, 24, v2
	s_movk_i32 s28, 0x80
	v_and_or_b32 v6, v2, s28, v3
.LBB7_317:
	s_or_b64 exec, exec, s[30:31]
.LBB7_318:
	s_or_b64 exec, exec, s[24:25]
	global_store_byte v[4:5], v6, off
.LBB7_319:
	s_mov_b64 s[24:25], -1
.LBB7_320:
	s_mov_b64 s[28:29], 0
.LBB7_321:
	s_and_b64 vcc, exec, s[28:29]
	s_cbranch_vccz .LBB7_362
; %bb.322:
	v_mov_b32_e32 v2, 22
	v_cmp_gt_i16_sdwa s[30:31], s33, v2 src0_sel:BYTE_0 src1_sel:DWORD
	s_mov_b64 s[28:29], -1
	s_and_b64 vcc, exec, s[30:31]
	s_cbranch_vccz .LBB7_354
; %bb.323:
	v_mov_b32_e32 v2, 24
	v_cmp_lt_i16_sdwa s[28:29], s33, v2 src0_sel:BYTE_0 src1_sel:DWORD
	s_mov_b64 s[24:25], -1
	s_and_b64 vcc, exec, s[28:29]
	s_cbranch_vccnz .LBB7_343
; %bb.324:
	v_cmp_gt_i16_sdwa s[28:29], s33, v2 src0_sel:BYTE_0 src1_sel:DWORD
	s_and_b64 vcc, exec, s[28:29]
	s_cbranch_vccz .LBB7_332
; %bb.325:
	v_cvt_f32_f64_e32 v2, v[0:1]
	v_and_b32_e32 v3, 0x7fffffff, v2
	s_mov_b32 s24, 0x47800000
	v_cmp_gt_u32_e32 vcc, s24, v3
	v_mov_b32_e32 v6, 0x80
	s_and_saveexec_b64 s[24:25], vcc
	s_cbranch_execz .LBB7_331
; %bb.326:
	s_mov_b32 s28, 0x37ffffff
	v_cmp_lt_u32_e32 vcc, s28, v3
	s_mov_b64 s[28:29], 0
                                        ; implicit-def: $vgpr3
	s_and_saveexec_b64 s[30:31], vcc
	s_xor_b64 s[30:31], exec, s[30:31]
	s_cbranch_execz .LBB7_533
; %bb.327:
	v_bfe_u32 v3, v2, 21, 1
	s_mov_b32 s34, 0x88fffff
	v_add3_u32 v3, v2, v3, s34
	s_mov_b64 s[28:29], exec
	v_lshrrev_b32_e32 v3, 21, v3
	s_or_saveexec_b64 s[30:31], s[30:31]
                                        ; implicit-def: $sgpr34
	s_xor_b64 exec, exec, s[30:31]
	s_cbranch_execnz .LBB7_534
.LBB7_328:
	s_or_b64 exec, exec, s[30:31]
	v_mov_b32_e32 v6, s34
	s_and_saveexec_b64 s[30:31], s[28:29]
.LBB7_329:
	v_lshrrev_b32_e32 v2, 24, v2
	s_movk_i32 s28, 0x80
	v_and_or_b32 v6, v2, s28, v3
.LBB7_330:
	s_or_b64 exec, exec, s[30:31]
.LBB7_331:
	s_or_b64 exec, exec, s[24:25]
	s_mov_b64 s[24:25], 0
	global_store_byte v[4:5], v6, off
.LBB7_332:
	s_and_b64 vcc, exec, s[24:25]
	s_cbranch_vccz .LBB7_342
; %bb.333:
	v_cvt_f32_f64_e32 v2, v[0:1]
	v_and_b32_e32 v6, 0x7fffffff, v2
	s_mov_b32 s24, 0x43f00000
	v_cmp_gt_u32_e32 vcc, s24, v6
                                        ; implicit-def: $vgpr3
	s_and_saveexec_b64 s[24:25], vcc
	s_xor_b64 s[24:25], exec, s[24:25]
	s_cbranch_execz .LBB7_339
; %bb.334:
	s_mov_b32 s28, 0x3c7fffff
	v_cmp_lt_u32_e32 vcc, s28, v6
                                        ; implicit-def: $vgpr3
	s_and_saveexec_b64 s[28:29], vcc
	s_xor_b64 s[28:29], exec, s[28:29]
; %bb.335:
	v_bfe_u32 v3, v2, 20, 1
	s_mov_b32 s30, 0x407ffff
	v_add3_u32 v3, v2, v3, s30
	v_lshrrev_b32_e32 v6, 20, v3
	v_and_b32_e32 v3, 0xff00000, v3
	s_mov_b32 s30, 0x7f00000
	v_mov_b32_e32 v7, 0x7e
	v_cmp_ne_u32_e32 vcc, s30, v3
	v_cndmask_b32_e32 v3, v7, v6, vcc
; %bb.336:
	s_andn2_saveexec_b64 s[28:29], s[28:29]
; %bb.337:
	s_mov_b32 s30, 0x46800000
	v_add_f32_e64 v3, |v2|, s30
; %bb.338:
	s_or_b64 exec, exec, s[28:29]
                                        ; implicit-def: $vgpr6
.LBB7_339:
	s_andn2_saveexec_b64 s[24:25], s[24:25]
; %bb.340:
	s_mov_b32 s28, 0x7f800000
	v_mov_b32_e32 v3, 0x7e
	v_mov_b32_e32 v7, 0x7f
	v_cmp_lt_u32_e32 vcc, s28, v6
	v_cndmask_b32_e32 v3, v3, v7, vcc
; %bb.341:
	s_or_b64 exec, exec, s[24:25]
	v_lshrrev_b32_e32 v2, 24, v2
	s_movk_i32 s24, 0x80
	v_and_or_b32 v2, v2, s24, v3
	global_store_byte v[4:5], v2, off
.LBB7_342:
	s_mov_b64 s[24:25], 0
.LBB7_343:
	s_andn2_b64 vcc, exec, s[24:25]
	s_cbranch_vccnz .LBB7_353
; %bb.344:
	v_cvt_f32_f64_e32 v2, v[0:1]
	v_and_b32_e32 v6, 0x7fffffff, v2
	s_mov_b32 s24, 0x47800000
	v_cmp_gt_u32_e32 vcc, s24, v6
                                        ; implicit-def: $vgpr3
	s_and_saveexec_b64 s[24:25], vcc
	s_xor_b64 s[24:25], exec, s[24:25]
	s_cbranch_execz .LBB7_350
; %bb.345:
	s_mov_b32 s28, 0x387fffff
	v_cmp_lt_u32_e32 vcc, s28, v6
                                        ; implicit-def: $vgpr3
	s_and_saveexec_b64 s[28:29], vcc
	s_xor_b64 s[28:29], exec, s[28:29]
; %bb.346:
	v_bfe_u32 v3, v2, 21, 1
	s_mov_b32 s30, 0x80fffff
	v_add3_u32 v3, v2, v3, s30
	v_lshrrev_b32_e32 v3, 21, v3
; %bb.347:
	s_andn2_saveexec_b64 s[28:29], s[28:29]
; %bb.348:
	s_mov_b32 s30, 0x43000000
	v_add_f32_e64 v3, |v2|, s30
; %bb.349:
	s_or_b64 exec, exec, s[28:29]
                                        ; implicit-def: $vgpr6
.LBB7_350:
	s_andn2_saveexec_b64 s[24:25], s[24:25]
; %bb.351:
	s_mov_b32 s28, 0x7f800000
	v_mov_b32_e32 v3, 0x7c
	v_mov_b32_e32 v7, 0x7f
	v_cmp_lt_u32_e32 vcc, s28, v6
	v_cndmask_b32_e32 v3, v3, v7, vcc
; %bb.352:
	s_or_b64 exec, exec, s[24:25]
	v_lshrrev_b32_e32 v2, 24, v2
	s_movk_i32 s24, 0x80
	v_and_or_b32 v2, v2, s24, v3
	global_store_byte v[4:5], v2, off
.LBB7_353:
	s_mov_b64 s[28:29], 0
	s_mov_b64 s[24:25], -1
.LBB7_354:
	s_andn2_b64 vcc, exec, s[28:29]
	s_cbranch_vccnz .LBB7_362
; %bb.355:
	v_mov_b32_e32 v2, 14
	v_cmp_gt_i16_sdwa s[30:31], s33, v2 src0_sel:BYTE_0 src1_sel:DWORD
	s_mov_b64 s[28:29], -1
	s_and_b64 vcc, exec, s[30:31]
	s_cbranch_vccz .LBB7_359
; %bb.356:
	v_mov_b32_e32 v2, 15
	v_cmp_eq_u16_sdwa s[28:29], s33, v2 src0_sel:BYTE_0 src1_sel:DWORD
	s_mov_b64 s[0:1], -1
	s_and_b64 vcc, exec, s[28:29]
	s_cbranch_vccz .LBB7_358
; %bb.357:
	v_cvt_f32_f64_e32 v2, v[0:1]
	v_bfe_u32 v3, v2, 16, 1
	s_movk_i32 s0, 0x7fff
	v_add3_u32 v3, v2, v3, s0
	v_lshrrev_b32_e32 v3, 16, v3
	v_mov_b32_e32 v6, 0x7fc0
	v_cmp_o_f32_e32 vcc, v2, v2
	v_cndmask_b32_e32 v2, v6, v3, vcc
	global_store_short v[4:5], v2, off
	s_mov_b64 s[24:25], -1
	s_mov_b64 s[0:1], 0
.LBB7_358:
	s_mov_b64 s[28:29], 0
.LBB7_359:
	s_and_b64 vcc, exec, s[28:29]
	s_cbranch_vccz .LBB7_362
; %bb.360:
	v_mov_b32_e32 v2, 11
	v_cmp_eq_u16_sdwa s[28:29], s33, v2 src0_sel:BYTE_0 src1_sel:DWORD
	s_mov_b64 s[0:1], -1
	s_and_b64 vcc, exec, s[28:29]
	s_cbranch_vccz .LBB7_362
; %bb.361:
	v_cmp_neq_f64_e32 vcc, 0, v[0:1]
	s_mov_b64 s[0:1], 0
	v_cndmask_b32_e64 v2, 0, 1, vcc
	s_mov_b64 s[24:25], -1
	global_store_byte v[4:5], v2, off
.LBB7_362:
	s_mov_b64 s[28:29], 0
.LBB7_363:
	s_and_b64 vcc, exec, s[28:29]
	s_cbranch_vccz .LBB7_402
; %bb.364:
	v_mov_b32_e32 v2, 5
	v_cmp_lt_i16_sdwa s[28:29], s33, v2 src0_sel:BYTE_0 src1_sel:DWORD
	s_mov_b64 s[24:25], -1
	s_and_b64 vcc, exec, s[28:29]
	s_cbranch_vccnz .LBB7_385
; %bb.365:
	v_mov_b32_e32 v2, 8
	v_cmp_lt_i16_sdwa s[28:29], s33, v2 src0_sel:BYTE_0 src1_sel:DWORD
	s_and_b64 vcc, exec, s[28:29]
	s_cbranch_vccnz .LBB7_375
; %bb.366:
	v_mov_b32_e32 v2, 9
	v_cmp_lt_i16_sdwa s[28:29], s33, v2 src0_sel:BYTE_0 src1_sel:DWORD
	s_and_b64 vcc, exec, s[28:29]
	s_cbranch_vccnz .LBB7_372
; %bb.367:
	v_cmp_gt_i16_sdwa s[28:29], s33, v2 src0_sel:BYTE_0 src1_sel:DWORD
	s_and_b64 vcc, exec, s[28:29]
	s_cbranch_vccz .LBB7_369
; %bb.368:
	v_mov_b32_e32 v2, 0
	v_mov_b32_e32 v3, v2
	s_mov_b64 s[24:25], 0
	global_store_dwordx4 v[4:5], v[0:3], off
.LBB7_369:
	s_andn2_b64 vcc, exec, s[24:25]
	s_cbranch_vccnz .LBB7_371
; %bb.370:
	v_cvt_f32_f64_e32 v2, v[0:1]
	v_mov_b32_e32 v3, 0
	global_store_dwordx2 v[4:5], v[2:3], off
.LBB7_371:
	s_mov_b64 s[24:25], 0
.LBB7_372:
	s_andn2_b64 vcc, exec, s[24:25]
	s_cbranch_vccnz .LBB7_374
; %bb.373:
	v_cvt_f32_f64_e32 v2, v[0:1]
	v_cvt_f16_f32_e32 v2, v2
	global_store_dword v[4:5], v2, off
.LBB7_374:
	s_mov_b64 s[24:25], 0
.LBB7_375:
	s_andn2_b64 vcc, exec, s[24:25]
	s_cbranch_vccnz .LBB7_384
; %bb.376:
	v_mov_b32_e32 v2, 6
	v_cmp_lt_i16_sdwa s[28:29], s33, v2 src0_sel:BYTE_0 src1_sel:DWORD
	s_mov_b64 s[24:25], -1
	s_and_b64 vcc, exec, s[28:29]
	s_cbranch_vccnz .LBB7_382
; %bb.377:
	v_cmp_gt_i16_sdwa s[28:29], s33, v2 src0_sel:BYTE_0 src1_sel:DWORD
	s_and_b64 vcc, exec, s[28:29]
	s_cbranch_vccz .LBB7_379
; %bb.378:
	s_mov_b64 s[24:25], 0
	global_store_dwordx2 v[4:5], v[0:1], off
.LBB7_379:
	s_andn2_b64 vcc, exec, s[24:25]
	s_cbranch_vccnz .LBB7_381
; %bb.380:
	v_cvt_f32_f64_e32 v2, v[0:1]
	global_store_dword v[4:5], v2, off
.LBB7_381:
	s_mov_b64 s[24:25], 0
.LBB7_382:
	s_andn2_b64 vcc, exec, s[24:25]
	s_cbranch_vccnz .LBB7_384
; %bb.383:
	v_cvt_f32_f64_e32 v2, v[0:1]
	v_cvt_f16_f32_e32 v2, v2
	global_store_short v[4:5], v2, off
.LBB7_384:
	s_mov_b64 s[24:25], 0
.LBB7_385:
	s_andn2_b64 vcc, exec, s[24:25]
	s_cbranch_vccnz .LBB7_401
; %bb.386:
	v_mov_b32_e32 v2, 2
	v_cmp_lt_i16_sdwa s[28:29], s33, v2 src0_sel:BYTE_0 src1_sel:DWORD
	s_mov_b64 s[24:25], -1
	s_and_b64 vcc, exec, s[28:29]
	s_cbranch_vccnz .LBB7_396
; %bb.387:
	v_mov_b32_e32 v2, 3
	v_cmp_lt_i16_sdwa s[28:29], s33, v2 src0_sel:BYTE_0 src1_sel:DWORD
	s_and_b64 vcc, exec, s[28:29]
	s_cbranch_vccnz .LBB7_393
; %bb.388:
	v_cmp_gt_i16_sdwa s[28:29], s33, v2 src0_sel:BYTE_0 src1_sel:DWORD
	s_and_b64 vcc, exec, s[28:29]
	s_cbranch_vccz .LBB7_390
; %bb.389:
	v_trunc_f64_e32 v[2:3], v[0:1]
	s_movk_i32 s24, 0xffe0
	v_ldexp_f64 v[6:7], v[2:3], s24
	v_floor_f64_e32 v[6:7], v[6:7]
	v_fmac_f64_e32 v[2:3], 0xc1f00000, v[6:7]
	v_cvt_i32_f64_e32 v9, v[6:7]
	v_cvt_u32_f64_e32 v8, v[2:3]
	s_mov_b64 s[24:25], 0
	global_store_dwordx2 v[4:5], v[8:9], off
.LBB7_390:
	s_andn2_b64 vcc, exec, s[24:25]
	s_cbranch_vccnz .LBB7_392
; %bb.391:
	v_cvt_i32_f64_e32 v2, v[0:1]
	global_store_dword v[4:5], v2, off
.LBB7_392:
	s_mov_b64 s[24:25], 0
.LBB7_393:
	s_andn2_b64 vcc, exec, s[24:25]
	s_cbranch_vccnz .LBB7_395
; %bb.394:
	v_cvt_i32_f64_e32 v2, v[0:1]
	global_store_short v[4:5], v2, off
.LBB7_395:
	s_mov_b64 s[24:25], 0
.LBB7_396:
	s_andn2_b64 vcc, exec, s[24:25]
	s_cbranch_vccnz .LBB7_401
; %bb.397:
	v_mov_b32_e32 v2, 0
	v_cmp_gt_i16_sdwa s[28:29], s33, v2 src0_sel:BYTE_0 src1_sel:DWORD
	s_mov_b64 s[24:25], -1
	s_and_b64 vcc, exec, s[28:29]
	s_cbranch_vccz .LBB7_399
; %bb.398:
	v_cvt_i32_f64_e32 v2, v[0:1]
	s_mov_b64 s[24:25], 0
	global_store_byte v[4:5], v2, off
.LBB7_399:
	s_andn2_b64 vcc, exec, s[24:25]
	s_cbranch_vccnz .LBB7_401
; %bb.400:
	v_trunc_f64_e32 v[0:1], v[0:1]
	s_movk_i32 s24, 0xffe0
	v_ldexp_f64 v[2:3], v[0:1], s24
	v_floor_f64_e32 v[2:3], v[2:3]
	v_fmac_f64_e32 v[0:1], 0xc1f00000, v[2:3]
	v_cvt_u32_f64_e32 v0, v[0:1]
	global_store_byte v[4:5], v0, off
.LBB7_401:
	s_mov_b64 s[24:25], -1
.LBB7_402:
	s_andn2_b64 vcc, exec, s[24:25]
	s_cbranch_vccnz .LBB7_404
; %bb.403:
	v_add_u32_e32 v16, 0x80, v16
	s_mov_b64 s[28:29], -1
	s_branch .LBB7_516
.LBB7_404:
	s_mov_b64 s[28:29], 0
                                        ; implicit-def: $vgpr16
	s_branch .LBB7_516
.LBB7_405:
	s_mov_b64 s[22:23], -1
                                        ; implicit-def: $vgpr2_vgpr3
.LBB7_406:
	s_mov_b64 s[24:25], 0
.LBB7_407:
	s_and_b64 vcc, exec, s[24:25]
	s_cbranch_vccz .LBB7_411
; %bb.408:
	v_cmp_eq_u16_e32 vcc, 29, v17
	s_cbranch_vccz .LBB7_410
; %bb.409:
	global_load_dwordx2 v[2:3], v[0:1], off
	s_mov_b64 s[0:1], -1
	s_mov_b64 s[22:23], 0
	s_mov_b64 s[24:25], 0
	s_waitcnt vmcnt(0)
	v_cvt_f64_u32_e32 v[4:5], v3
	v_cvt_f64_u32_e32 v[2:3], v2
	v_ldexp_f64 v[4:5], v[4:5], 32
	v_add_f64 v[2:3], v[4:5], v[2:3]
	s_branch .LBB7_412
.LBB7_410:
	s_mov_b64 s[22:23], -1
                                        ; implicit-def: $vgpr2_vgpr3
.LBB7_411:
	s_mov_b64 s[24:25], 0
.LBB7_412:
	s_and_b64 vcc, exec, s[24:25]
	s_cbranch_vccz .LBB7_430
; %bb.413:
	v_cmp_gt_i16_e32 vcc, 27, v17
	s_cbranch_vccnz .LBB7_416
; %bb.414:
	v_cmp_lt_i16_e32 vcc, 27, v17
	s_cbranch_vccz .LBB7_417
; %bb.415:
	global_load_dword v2, v[0:1], off
	s_mov_b64 s[0:1], 0
	s_waitcnt vmcnt(0)
	v_cvt_f64_u32_e32 v[2:3], v2
	s_branch .LBB7_418
.LBB7_416:
	s_mov_b64 s[0:1], -1
                                        ; implicit-def: $vgpr2_vgpr3
	s_branch .LBB7_421
.LBB7_417:
	s_mov_b64 s[0:1], -1
                                        ; implicit-def: $vgpr2_vgpr3
.LBB7_418:
	s_andn2_b64 vcc, exec, s[0:1]
	s_cbranch_vccnz .LBB7_420
; %bb.419:
	global_load_ushort v2, v[0:1], off
	s_waitcnt vmcnt(0)
	v_cvt_f64_u32_e32 v[2:3], v2
.LBB7_420:
	s_mov_b64 s[0:1], 0
.LBB7_421:
	s_andn2_b64 vcc, exec, s[0:1]
	s_cbranch_vccnz .LBB7_429
; %bb.422:
	global_load_ubyte v4, v[0:1], off
	s_movk_i32 s0, 0x7f
                                        ; implicit-def: $sgpr24_sgpr25
	s_waitcnt vmcnt(0)
	v_cmp_lt_i16_e32 vcc, s0, v4
	s_mov_b64 s[0:1], 0
	s_and_saveexec_b64 s[28:29], vcc
	s_xor_b64 s[28:29], exec, s[28:29]
	s_cbranch_execz .LBB7_443
; %bb.423:
	s_movk_i32 s0, 0x80
	v_cmp_eq_u16_e32 vcc, s0, v4
	s_mov_b64 s[30:31], -1
                                        ; implicit-def: $sgpr24_sgpr25
	s_and_saveexec_b64 s[0:1], vcc
; %bb.424:
	s_mov_b32 s25, 0x7ff80000
	s_brev_b32 s24, 4
	s_xor_b64 s[30:31], exec, -1
; %bb.425:
	s_or_b64 exec, exec, s[0:1]
	s_and_b64 s[0:1], s[30:31], exec
	s_or_saveexec_b64 s[28:29], s[28:29]
	v_pk_mov_b32 v[2:3], s[24:25], s[24:25] op_sel:[0,1]
	s_xor_b64 exec, exec, s[28:29]
	s_cbranch_execnz .LBB7_444
.LBB7_426:
	s_or_b64 exec, exec, s[28:29]
	s_and_saveexec_b64 s[24:25], s[0:1]
	s_cbranch_execz .LBB7_428
.LBB7_427:
	v_and_b32_e32 v3, 0xffff, v4
	v_lshlrev_b32_e32 v2, 24, v4
	v_and_b32_e32 v4, 7, v3
	v_ffbh_u32_e32 v6, v4
	v_min_u32_e32 v6, 32, v6
	v_subrev_u32_e32 v7, 28, v6
	v_bfe_u32 v5, v3, 3, 4
	v_lshlrev_b32_e32 v3, v7, v3
	v_sub_u32_e32 v6, 29, v6
	v_and_b32_e32 v3, 7, v3
	v_cmp_eq_u32_e32 vcc, 0, v5
	v_cndmask_b32_e32 v5, v5, v6, vcc
	v_cndmask_b32_e32 v3, v4, v3, vcc
	v_mov_b32_e32 v4, 0x3b800000
	v_lshlrev_b32_e32 v3, 20, v3
	v_and_b32_e32 v2, 0x80000000, v2
	v_lshl_add_u32 v4, v5, 23, v4
	v_or3_b32 v2, v2, v4, v3
	v_cvt_f64_f32_e32 v[2:3], v2
.LBB7_428:
	s_or_b64 exec, exec, s[24:25]
.LBB7_429:
	s_mov_b64 s[0:1], -1
.LBB7_430:
	s_mov_b64 s[24:25], 0
.LBB7_431:
	s_and_b64 vcc, exec, s[24:25]
	s_cbranch_vccz .LBB7_466
; %bb.432:
	v_cmp_lt_i16_e32 vcc, 22, v17
	s_cbranch_vccz .LBB7_442
; %bb.433:
	v_cmp_gt_i16_e32 vcc, 24, v17
	s_cbranch_vccnz .LBB7_445
; %bb.434:
	v_cmp_lt_i16_e32 vcc, 24, v17
	s_cbranch_vccz .LBB7_446
; %bb.435:
	global_load_ubyte v4, v[0:1], off
	s_movk_i32 s0, 0x7f
                                        ; implicit-def: $sgpr24_sgpr25
	s_waitcnt vmcnt(0)
	v_cmp_lt_i16_e32 vcc, s0, v4
	s_mov_b64 s[0:1], 0
	s_and_saveexec_b64 s[28:29], vcc
	s_xor_b64 s[28:29], exec, s[28:29]
	s_cbranch_execz .LBB7_458
; %bb.436:
	s_movk_i32 s0, 0x80
	v_cmp_eq_u16_e32 vcc, s0, v4
	s_mov_b64 s[30:31], -1
                                        ; implicit-def: $sgpr24_sgpr25
	s_and_saveexec_b64 s[0:1], vcc
; %bb.437:
	s_mov_b32 s25, 0x7ff80000
	s_brev_b32 s24, 4
	s_xor_b64 s[30:31], exec, -1
; %bb.438:
	s_or_b64 exec, exec, s[0:1]
	s_and_b64 s[0:1], s[30:31], exec
	s_or_saveexec_b64 s[28:29], s[28:29]
	v_pk_mov_b32 v[2:3], s[24:25], s[24:25] op_sel:[0,1]
	s_xor_b64 exec, exec, s[28:29]
	s_cbranch_execnz .LBB7_459
.LBB7_439:
	s_or_b64 exec, exec, s[28:29]
	s_and_saveexec_b64 s[24:25], s[0:1]
	s_cbranch_execz .LBB7_441
.LBB7_440:
	v_and_b32_e32 v3, 0xffff, v4
	v_lshlrev_b32_e32 v2, 24, v4
	v_and_b32_e32 v4, 3, v3
	v_ffbh_u32_e32 v6, v4
	v_min_u32_e32 v6, 32, v6
	v_subrev_u32_e32 v7, 29, v6
	v_bfe_u32 v5, v3, 2, 5
	v_lshlrev_b32_e32 v3, v7, v3
	v_sub_u32_e32 v6, 30, v6
	v_and_b32_e32 v3, 3, v3
	v_cmp_eq_u32_e32 vcc, 0, v5
	v_cndmask_b32_e32 v5, v5, v6, vcc
	v_cndmask_b32_e32 v3, v4, v3, vcc
	v_mov_b32_e32 v4, 0x37800000
	v_lshlrev_b32_e32 v3, 21, v3
	v_and_b32_e32 v2, 0x80000000, v2
	v_lshl_add_u32 v4, v5, 23, v4
	v_or3_b32 v2, v2, v4, v3
	v_cvt_f64_f32_e32 v[2:3], v2
.LBB7_441:
	s_or_b64 exec, exec, s[24:25]
	s_mov_b64 s[0:1], 0
	s_branch .LBB7_447
.LBB7_442:
	s_mov_b64 s[24:25], -1
                                        ; implicit-def: $vgpr2_vgpr3
	s_branch .LBB7_453
.LBB7_443:
	s_or_saveexec_b64 s[28:29], s[28:29]
	v_pk_mov_b32 v[2:3], s[24:25], s[24:25] op_sel:[0,1]
	s_xor_b64 exec, exec, s[28:29]
	s_cbranch_execz .LBB7_426
.LBB7_444:
	v_cmp_ne_u16_e32 vcc, 0, v4
	s_andn2_b64 s[0:1], s[0:1], exec
	s_and_b64 s[24:25], vcc, exec
	v_pk_mov_b32 v[2:3], 0, 0
	s_or_b64 s[0:1], s[0:1], s[24:25]
	s_or_b64 exec, exec, s[28:29]
	s_and_saveexec_b64 s[24:25], s[0:1]
	s_cbranch_execnz .LBB7_427
	s_branch .LBB7_428
.LBB7_445:
	s_mov_b64 s[0:1], -1
                                        ; implicit-def: $vgpr2_vgpr3
	s_branch .LBB7_450
.LBB7_446:
	s_mov_b64 s[0:1], -1
                                        ; implicit-def: $vgpr2_vgpr3
.LBB7_447:
	s_and_b64 vcc, exec, s[0:1]
	s_cbranch_vccz .LBB7_449
; %bb.448:
	global_load_ubyte v2, v[0:1], off
	s_mov_b32 s0, 0x7f800000
	s_waitcnt vmcnt(0)
	v_lshlrev_b32_e32 v2, 24, v2
	v_and_b32_e32 v3, 0x7f000000, v2
	v_ffbh_u32_e32 v4, v3
	v_min_u32_e32 v4, 32, v4
	v_sub_u32_e64 v4, v4, 4 clamp
	v_lshlrev_b32_e32 v6, v4, v3
	v_lshlrev_b32_e32 v4, 23, v4
	v_lshrrev_b32_e32 v6, 4, v6
	v_add_u32_e32 v5, 0x1000000, v3
	v_sub_u32_e32 v4, v6, v4
	v_ashrrev_i32_e32 v5, 8, v5
	v_add_u32_e32 v4, 0x3c000000, v4
	v_and_or_b32 v4, v5, s0, v4
	v_cmp_ne_u32_e32 vcc, 0, v3
	v_cndmask_b32_e32 v3, 0, v4, vcc
	s_brev_b32 s0, 1
	v_and_or_b32 v2, v2, s0, v3
	v_cvt_f64_f32_e32 v[2:3], v2
.LBB7_449:
	s_mov_b64 s[0:1], 0
.LBB7_450:
	s_andn2_b64 vcc, exec, s[0:1]
	s_cbranch_vccnz .LBB7_452
; %bb.451:
	global_load_ubyte v2, v[0:1], off
	s_movk_i32 s0, 0x7f00
	s_brev_b32 s1, 16
	s_waitcnt vmcnt(0)
	v_lshlrev_b16_e32 v3, 8, v2
	v_lshlrev_b32_e32 v2, 25, v2
	v_lshrrev_b32_e32 v4, 4, v2
	v_and_or_b32 v5, v3, s0, 0.5
	v_or_b32_e32 v4, 0x70000000, v4
	v_add_f32_e32 v5, -0.5, v5
	v_mul_f32_e32 v4, 0x7800000, v4
	v_cmp_gt_u32_e32 vcc, s1, v2
	v_bfe_i32 v3, v3, 0, 16
	v_cndmask_b32_e32 v2, v4, v5, vcc
	s_brev_b32 s0, 1
	v_and_or_b32 v2, v3, s0, v2
	v_cvt_f64_f32_e32 v[2:3], v2
.LBB7_452:
	s_mov_b64 s[24:25], 0
	s_mov_b64 s[0:1], -1
.LBB7_453:
	s_andn2_b64 vcc, exec, s[24:25]
	s_cbranch_vccnz .LBB7_466
; %bb.454:
	v_cmp_lt_i16_e32 vcc, 14, v17
	s_cbranch_vccz .LBB7_457
; %bb.455:
	v_cmp_eq_u16_e32 vcc, 15, v17
	s_cbranch_vccz .LBB7_460
; %bb.456:
	global_load_ushort v2, v[0:1], off
	s_mov_b64 s[0:1], -1
	s_mov_b64 s[22:23], 0
	s_waitcnt vmcnt(0)
	v_lshlrev_b32_e32 v2, 16, v2
	v_cvt_f64_f32_e32 v[2:3], v2
	s_branch .LBB7_461
.LBB7_457:
	s_mov_b64 s[24:25], -1
                                        ; implicit-def: $vgpr2_vgpr3
	s_branch .LBB7_462
.LBB7_458:
	s_or_saveexec_b64 s[28:29], s[28:29]
	v_pk_mov_b32 v[2:3], s[24:25], s[24:25] op_sel:[0,1]
	s_xor_b64 exec, exec, s[28:29]
	s_cbranch_execz .LBB7_439
.LBB7_459:
	v_cmp_ne_u16_e32 vcc, 0, v4
	s_andn2_b64 s[0:1], s[0:1], exec
	s_and_b64 s[24:25], vcc, exec
	v_pk_mov_b32 v[2:3], 0, 0
	s_or_b64 s[0:1], s[0:1], s[24:25]
	s_or_b64 exec, exec, s[28:29]
	s_and_saveexec_b64 s[24:25], s[0:1]
	s_cbranch_execnz .LBB7_440
	s_branch .LBB7_441
.LBB7_460:
	s_mov_b64 s[22:23], -1
                                        ; implicit-def: $vgpr2_vgpr3
.LBB7_461:
	s_mov_b64 s[24:25], 0
.LBB7_462:
	s_and_b64 vcc, exec, s[24:25]
	s_cbranch_vccz .LBB7_466
; %bb.463:
	v_cmp_eq_u16_e32 vcc, 11, v17
	s_cbranch_vccz .LBB7_465
; %bb.464:
	global_load_ubyte v3, v[0:1], off
	v_mov_b32_e32 v4, 0x3ff00000
	v_mov_b32_e32 v2, 0
	s_mov_b64 s[0:1], -1
	s_mov_b64 s[22:23], 0
	s_waitcnt vmcnt(0)
	v_cmp_ne_u16_e32 vcc, 0, v3
	v_cndmask_b32_e32 v3, 0, v4, vcc
	s_branch .LBB7_466
.LBB7_465:
	s_mov_b64 s[22:23], -1
                                        ; implicit-def: $vgpr2_vgpr3
.LBB7_466:
	s_branch .LBB7_267
.LBB7_467:
	v_cmp_gt_i16_e32 vcc, 5, v17
	s_cbranch_vccnz .LBB7_472
; %bb.468:
	v_cmp_gt_i16_e32 vcc, 8, v17
	s_cbranch_vccnz .LBB7_473
; %bb.469:
	;; [unrolled: 3-line block ×3, first 2 shown]
	v_cmp_lt_i16_e32 vcc, 9, v17
	s_cbranch_vccz .LBB7_475
; %bb.471:
	global_load_dwordx2 v[2:3], v[0:1], off
	s_mov_b64 s[0:1], 0
	s_branch .LBB7_476
.LBB7_472:
	s_mov_b64 s[0:1], -1
                                        ; implicit-def: $vgpr2_vgpr3
	s_branch .LBB7_494
.LBB7_473:
	s_mov_b64 s[0:1], -1
                                        ; implicit-def: $vgpr2_vgpr3
	s_branch .LBB7_482
.LBB7_474:
	s_mov_b64 s[0:1], -1
                                        ; implicit-def: $vgpr2_vgpr3
	s_branch .LBB7_479
.LBB7_475:
	s_mov_b64 s[0:1], -1
                                        ; implicit-def: $vgpr2_vgpr3
.LBB7_476:
	s_andn2_b64 vcc, exec, s[0:1]
	s_cbranch_vccnz .LBB7_478
; %bb.477:
	global_load_dword v2, v[0:1], off
	s_waitcnt vmcnt(0)
	v_cvt_f64_f32_e32 v[2:3], v2
.LBB7_478:
	s_mov_b64 s[0:1], 0
.LBB7_479:
	s_andn2_b64 vcc, exec, s[0:1]
	s_cbranch_vccnz .LBB7_481
; %bb.480:
	global_load_dword v2, v[0:1], off
	s_waitcnt vmcnt(0)
	v_cvt_f32_f16_e32 v2, v2
	v_cvt_f64_f32_e32 v[2:3], v2
.LBB7_481:
	s_mov_b64 s[0:1], 0
.LBB7_482:
	s_andn2_b64 vcc, exec, s[0:1]
	s_cbranch_vccnz .LBB7_493
; %bb.483:
	v_cmp_gt_i16_e32 vcc, 6, v17
	s_cbranch_vccnz .LBB7_486
; %bb.484:
	v_cmp_lt_i16_e32 vcc, 6, v17
	s_cbranch_vccz .LBB7_487
; %bb.485:
	global_load_dwordx2 v[2:3], v[0:1], off
	s_mov_b64 s[0:1], 0
	s_branch .LBB7_488
.LBB7_486:
	s_mov_b64 s[0:1], -1
                                        ; implicit-def: $vgpr2_vgpr3
	s_branch .LBB7_491
.LBB7_487:
	s_mov_b64 s[0:1], -1
                                        ; implicit-def: $vgpr2_vgpr3
.LBB7_488:
	s_andn2_b64 vcc, exec, s[0:1]
	s_cbranch_vccnz .LBB7_490
; %bb.489:
	global_load_dword v2, v[0:1], off
	s_waitcnt vmcnt(0)
	v_cvt_f64_f32_e32 v[2:3], v2
.LBB7_490:
	s_mov_b64 s[0:1], 0
.LBB7_491:
	s_andn2_b64 vcc, exec, s[0:1]
	s_cbranch_vccnz .LBB7_493
; %bb.492:
	global_load_ushort v2, v[0:1], off
	s_waitcnt vmcnt(0)
	v_cvt_f32_f16_e32 v2, v2
	v_cvt_f64_f32_e32 v[2:3], v2
.LBB7_493:
	s_mov_b64 s[0:1], 0
.LBB7_494:
	s_andn2_b64 vcc, exec, s[0:1]
	s_cbranch_vccnz .LBB7_514
; %bb.495:
	v_cmp_gt_i16_e32 vcc, 2, v17
	s_cbranch_vccnz .LBB7_499
; %bb.496:
	v_cmp_gt_i16_e32 vcc, 3, v17
	s_cbranch_vccnz .LBB7_500
; %bb.497:
	v_cmp_lt_i16_e32 vcc, 3, v17
	s_cbranch_vccz .LBB7_501
; %bb.498:
	global_load_dwordx2 v[2:3], v[0:1], off
	s_mov_b64 s[0:1], 0
	s_waitcnt vmcnt(0)
	v_cvt_f64_i32_e32 v[4:5], v3
	v_cvt_f64_u32_e32 v[2:3], v2
	v_ldexp_f64 v[4:5], v[4:5], 32
	v_add_f64 v[2:3], v[4:5], v[2:3]
	s_branch .LBB7_502
.LBB7_499:
	s_mov_b64 s[0:1], -1
                                        ; implicit-def: $vgpr2_vgpr3
	s_branch .LBB7_508
.LBB7_500:
	s_mov_b64 s[0:1], -1
                                        ; implicit-def: $vgpr2_vgpr3
	s_branch .LBB7_505
.LBB7_501:
	s_mov_b64 s[0:1], -1
                                        ; implicit-def: $vgpr2_vgpr3
.LBB7_502:
	s_andn2_b64 vcc, exec, s[0:1]
	s_cbranch_vccnz .LBB7_504
; %bb.503:
	global_load_dword v2, v[0:1], off
	s_waitcnt vmcnt(0)
	v_cvt_f64_i32_e32 v[2:3], v2
.LBB7_504:
	s_mov_b64 s[0:1], 0
.LBB7_505:
	s_andn2_b64 vcc, exec, s[0:1]
	s_cbranch_vccnz .LBB7_507
; %bb.506:
	global_load_sshort v2, v[0:1], off
	s_waitcnt vmcnt(0)
	v_cvt_f64_i32_e32 v[2:3], v2
.LBB7_507:
	s_mov_b64 s[0:1], 0
.LBB7_508:
	s_andn2_b64 vcc, exec, s[0:1]
	s_cbranch_vccnz .LBB7_514
; %bb.509:
	v_cmp_lt_i16_e32 vcc, 0, v17
	s_cbranch_vccz .LBB7_511
; %bb.510:
	global_load_sbyte v2, v[0:1], off
	s_mov_b64 s[0:1], 0
	s_waitcnt vmcnt(0)
	v_cvt_f64_i32_e32 v[2:3], v2
	s_branch .LBB7_512
.LBB7_511:
	s_mov_b64 s[0:1], -1
                                        ; implicit-def: $vgpr2_vgpr3
.LBB7_512:
	s_andn2_b64 vcc, exec, s[0:1]
	s_cbranch_vccnz .LBB7_514
; %bb.513:
	global_load_ubyte v0, v[0:1], off
	s_waitcnt vmcnt(0)
	v_cvt_f64_u32_e32 v[2:3], v0
.LBB7_514:
	s_branch .LBB7_268
.LBB7_515:
	s_mov_b64 s[28:29], 0
                                        ; implicit-def: $vgpr16
	s_mov_b64 s[0:1], s[16:17]
.LBB7_516:
	s_andn2_b64 s[24:25], s[16:17], exec
	s_and_b64 s[0:1], s[0:1], exec
	s_or_b64 s[24:25], s[24:25], s[0:1]
	s_andn2_b64 s[0:1], s[18:19], exec
	s_and_b64 s[22:23], s[22:23], exec
	s_or_b64 s[22:23], s[0:1], s[22:23]
	s_orn2_b64 s[0:1], s[28:29], exec
.LBB7_517:
	s_or_b64 exec, exec, s[26:27]
	s_mov_b64 s[28:29], 0
	s_mov_b64 s[30:31], 0
	;; [unrolled: 1-line block ×3, first 2 shown]
                                        ; implicit-def: $vgpr0_vgpr1
                                        ; implicit-def: $vgpr2_vgpr3
	s_and_saveexec_b64 s[26:27], s[0:1]
	s_cbranch_execz .LBB7_864
; %bb.518:
	v_cmp_gt_i32_e32 vcc, s42, v16
	s_mov_b64 s[38:39], -1
	s_mov_b64 s[0:1], s[22:23]
	s_mov_b64 s[34:35], s[24:25]
	s_and_saveexec_b64 s[28:29], vcc
	s_cbranch_execz .LBB7_778
; %bb.519:
	v_mul_lo_u32 v0, v16, s3
	v_ashrrev_i32_e32 v1, 31, v0
	s_waitcnt vmcnt(0)
	v_mov_b32_e32 v2, s11
	v_add_co_u32_e32 v0, vcc, s10, v0
	v_addc_co_u32_e32 v1, vcc, v2, v1, vcc
	v_cmp_gt_i16_e32 vcc, 11, v17
	s_cbranch_vccnz .LBB7_526
; %bb.520:
	v_cmp_lt_i16_e32 vcc, 25, v17
	s_cbranch_vccz .LBB7_527
; %bb.521:
	v_cmp_lt_i16_e32 vcc, 28, v17
	s_cbranch_vccz .LBB7_528
	;; [unrolled: 3-line block ×4, first 2 shown]
; %bb.524:
	v_cmp_eq_u16_e32 vcc, 46, v17
	s_mov_b64 s[34:35], 0
	s_cbranch_vccz .LBB7_535
; %bb.525:
	global_load_dword v2, v[0:1], off
	s_mov_b64 s[0:1], -1
	s_waitcnt vmcnt(0)
	v_lshlrev_b32_e32 v2, 16, v2
	v_cvt_f64_f32_e32 v[2:3], v2
	s_branch .LBB7_536
.LBB7_526:
	s_mov_b64 s[34:35], -1
	s_mov_b64 s[0:1], 0
                                        ; implicit-def: $vgpr2_vgpr3
	s_mov_b64 s[30:31], s[22:23]
	s_branch .LBB7_601
.LBB7_527:
	s_mov_b64 s[34:35], -1
	s_mov_b64 s[0:1], 0
	s_mov_b64 s[30:31], s[22:23]
                                        ; implicit-def: $vgpr2_vgpr3
	s_branch .LBB7_565
.LBB7_528:
	s_mov_b64 s[34:35], -1
	s_mov_b64 s[0:1], 0
	s_mov_b64 s[30:31], s[22:23]
                                        ; implicit-def: $vgpr2_vgpr3
	s_branch .LBB7_546
.LBB7_529:
	s_mov_b64 s[34:35], -1
	s_mov_b64 s[0:1], 0
	s_mov_b64 s[30:31], s[22:23]
                                        ; implicit-def: $vgpr2_vgpr3
	s_branch .LBB7_541
.LBB7_530:
	s_or_saveexec_b64 s[30:31], s[30:31]
                                        ; implicit-def: $sgpr34
	s_xor_b64 exec, exec, s[30:31]
	s_cbranch_execz .LBB7_315
.LBB7_531:
	s_mov_b32 s34, 0x46000000
	v_add_f32_e64 v3, |v2|, s34
	v_and_b32_e32 v3, 0xff, v3
	v_cmp_ne_u32_e32 vcc, 0, v3
	s_andn2_b64 s[28:29], s[28:29], exec
	s_and_b64 s[36:37], vcc, exec
	s_mov_b32 s34, 0
	s_or_b64 s[28:29], s[28:29], s[36:37]
	s_or_b64 exec, exec, s[30:31]
	v_mov_b32_e32 v6, s34
	s_and_saveexec_b64 s[30:31], s[28:29]
	s_cbranch_execnz .LBB7_316
	s_branch .LBB7_317
.LBB7_532:
	s_mov_b64 s[34:35], -1
	s_mov_b64 s[0:1], 0
	s_mov_b64 s[30:31], s[22:23]
                                        ; implicit-def: $vgpr2_vgpr3
	s_branch .LBB7_536
.LBB7_533:
	s_or_saveexec_b64 s[30:31], s[30:31]
                                        ; implicit-def: $sgpr34
	s_xor_b64 exec, exec, s[30:31]
	s_cbranch_execz .LBB7_328
.LBB7_534:
	s_mov_b32 s34, 0x42800000
	v_add_f32_e64 v3, |v2|, s34
	v_and_b32_e32 v3, 0xff, v3
	v_cmp_ne_u32_e32 vcc, 0, v3
	s_andn2_b64 s[28:29], s[28:29], exec
	s_and_b64 s[36:37], vcc, exec
	s_mov_b32 s34, 0
	s_or_b64 s[28:29], s[28:29], s[36:37]
	s_or_b64 exec, exec, s[30:31]
	v_mov_b32_e32 v6, s34
	s_and_saveexec_b64 s[30:31], s[28:29]
	s_cbranch_execnz .LBB7_329
	s_branch .LBB7_330
.LBB7_535:
	s_mov_b64 s[30:31], -1
                                        ; implicit-def: $vgpr2_vgpr3
	s_mov_b64 s[0:1], 0
.LBB7_536:
	s_and_b64 vcc, exec, s[34:35]
	s_cbranch_vccz .LBB7_540
; %bb.537:
	v_cmp_eq_u16_e32 vcc, 44, v17
	s_cbranch_vccz .LBB7_539
; %bb.538:
	global_load_ubyte v4, v[0:1], off
	s_movk_i32 s30, 0xff
	v_bfrev_b32_e32 v5, 4
	v_mov_b32_e32 v6, 0x7ff80000
	v_bfrev_b32_e32 v7, 28
	s_mov_b64 s[0:1], -1
	s_waitcnt vmcnt(0)
	v_lshlrev_b32_e32 v2, 23, v4
	v_cvt_f64_f32_e32 v[2:3], v2
	v_cmp_ne_u32_e32 vcc, s30, v4
	v_cndmask_b32_e32 v2, v5, v2, vcc
	v_cndmask_b32_e32 v3, v6, v3, vcc
	v_cmp_ne_u32_e32 vcc, 0, v4
	v_cndmask_b32_e32 v3, v7, v3, vcc
	v_cndmask_b32_e32 v2, 0, v2, vcc
	s_mov_b64 s[30:31], 0
	s_branch .LBB7_540
.LBB7_539:
	s_mov_b64 s[30:31], -1
                                        ; implicit-def: $vgpr2_vgpr3
.LBB7_540:
	s_mov_b64 s[34:35], 0
.LBB7_541:
	s_and_b64 vcc, exec, s[34:35]
	s_cbranch_vccz .LBB7_545
; %bb.542:
	v_cmp_eq_u16_e32 vcc, 29, v17
	s_cbranch_vccz .LBB7_544
; %bb.543:
	global_load_dwordx2 v[2:3], v[0:1], off
	s_mov_b64 s[0:1], -1
	s_mov_b64 s[30:31], 0
	s_mov_b64 s[34:35], 0
	s_waitcnt vmcnt(0)
	v_cvt_f64_u32_e32 v[4:5], v3
	v_cvt_f64_u32_e32 v[2:3], v2
	v_ldexp_f64 v[4:5], v[4:5], 32
	v_add_f64 v[2:3], v[4:5], v[2:3]
	s_branch .LBB7_546
.LBB7_544:
	s_mov_b64 s[30:31], -1
                                        ; implicit-def: $vgpr2_vgpr3
.LBB7_545:
	s_mov_b64 s[34:35], 0
.LBB7_546:
	s_and_b64 vcc, exec, s[34:35]
	s_cbranch_vccz .LBB7_564
; %bb.547:
	v_cmp_gt_i16_e32 vcc, 27, v17
	s_cbranch_vccnz .LBB7_550
; %bb.548:
	v_cmp_lt_i16_e32 vcc, 27, v17
	s_cbranch_vccz .LBB7_551
; %bb.549:
	global_load_dword v2, v[0:1], off
	s_mov_b64 s[0:1], 0
	s_waitcnt vmcnt(0)
	v_cvt_f64_u32_e32 v[2:3], v2
	s_branch .LBB7_552
.LBB7_550:
	s_mov_b64 s[0:1], -1
                                        ; implicit-def: $vgpr2_vgpr3
	s_branch .LBB7_555
.LBB7_551:
	s_mov_b64 s[0:1], -1
                                        ; implicit-def: $vgpr2_vgpr3
.LBB7_552:
	s_andn2_b64 vcc, exec, s[0:1]
	s_cbranch_vccnz .LBB7_554
; %bb.553:
	global_load_ushort v2, v[0:1], off
	s_waitcnt vmcnt(0)
	v_cvt_f64_u32_e32 v[2:3], v2
.LBB7_554:
	s_mov_b64 s[0:1], 0
.LBB7_555:
	s_andn2_b64 vcc, exec, s[0:1]
	s_cbranch_vccnz .LBB7_563
; %bb.556:
	global_load_ubyte v4, v[0:1], off
	s_movk_i32 s0, 0x7f
                                        ; implicit-def: $sgpr34_sgpr35
	s_waitcnt vmcnt(0)
	v_cmp_lt_i16_e32 vcc, s0, v4
	s_mov_b64 s[0:1], 0
	s_and_saveexec_b64 s[36:37], vcc
	s_xor_b64 s[36:37], exec, s[36:37]
	s_cbranch_execz .LBB7_577
; %bb.557:
	s_movk_i32 s0, 0x80
	v_cmp_eq_u16_e32 vcc, s0, v4
                                        ; implicit-def: $sgpr34_sgpr35
	s_and_saveexec_b64 s[0:1], vcc
; %bb.558:
	s_mov_b32 s35, 0x7ff80000
	s_brev_b32 s34, 4
	s_xor_b64 s[38:39], exec, -1
; %bb.559:
	s_or_b64 exec, exec, s[0:1]
	s_and_b64 s[0:1], s[38:39], exec
	s_or_saveexec_b64 s[36:37], s[36:37]
	v_pk_mov_b32 v[2:3], s[34:35], s[34:35] op_sel:[0,1]
	s_xor_b64 exec, exec, s[36:37]
	s_cbranch_execnz .LBB7_578
.LBB7_560:
	s_or_b64 exec, exec, s[36:37]
	s_and_saveexec_b64 s[34:35], s[0:1]
	s_cbranch_execz .LBB7_562
.LBB7_561:
	v_and_b32_e32 v3, 0xffff, v4
	v_lshlrev_b32_e32 v2, 24, v4
	v_and_b32_e32 v4, 7, v3
	v_ffbh_u32_e32 v6, v4
	v_min_u32_e32 v6, 32, v6
	v_subrev_u32_e32 v7, 28, v6
	v_bfe_u32 v5, v3, 3, 4
	v_lshlrev_b32_e32 v3, v7, v3
	v_sub_u32_e32 v6, 29, v6
	v_and_b32_e32 v3, 7, v3
	v_cmp_eq_u32_e32 vcc, 0, v5
	v_cndmask_b32_e32 v5, v5, v6, vcc
	v_cndmask_b32_e32 v3, v4, v3, vcc
	v_mov_b32_e32 v4, 0x3b800000
	v_lshlrev_b32_e32 v3, 20, v3
	v_and_b32_e32 v2, 0x80000000, v2
	v_lshl_add_u32 v4, v5, 23, v4
	v_or3_b32 v2, v2, v4, v3
	v_cvt_f64_f32_e32 v[2:3], v2
.LBB7_562:
	s_or_b64 exec, exec, s[34:35]
.LBB7_563:
	s_mov_b64 s[0:1], -1
.LBB7_564:
	s_mov_b64 s[34:35], 0
.LBB7_565:
	s_and_b64 vcc, exec, s[34:35]
	s_cbranch_vccz .LBB7_600
; %bb.566:
	v_cmp_lt_i16_e32 vcc, 22, v17
	s_cbranch_vccz .LBB7_576
; %bb.567:
	v_cmp_gt_i16_e32 vcc, 24, v17
	s_cbranch_vccnz .LBB7_579
; %bb.568:
	v_cmp_lt_i16_e32 vcc, 24, v17
	s_cbranch_vccz .LBB7_580
; %bb.569:
	global_load_ubyte v4, v[0:1], off
	s_movk_i32 s0, 0x7f
                                        ; implicit-def: $sgpr34_sgpr35
	s_waitcnt vmcnt(0)
	v_cmp_lt_i16_e32 vcc, s0, v4
	s_mov_b64 s[0:1], 0
	s_and_saveexec_b64 s[36:37], vcc
	s_xor_b64 s[36:37], exec, s[36:37]
	s_cbranch_execz .LBB7_592
; %bb.570:
	s_movk_i32 s0, 0x80
	v_cmp_eq_u16_e32 vcc, s0, v4
	s_mov_b64 s[38:39], -1
                                        ; implicit-def: $sgpr34_sgpr35
	s_and_saveexec_b64 s[0:1], vcc
; %bb.571:
	s_mov_b32 s35, 0x7ff80000
	s_brev_b32 s34, 4
	s_xor_b64 s[38:39], exec, -1
; %bb.572:
	s_or_b64 exec, exec, s[0:1]
	s_and_b64 s[0:1], s[38:39], exec
	s_or_saveexec_b64 s[36:37], s[36:37]
	v_pk_mov_b32 v[2:3], s[34:35], s[34:35] op_sel:[0,1]
	s_xor_b64 exec, exec, s[36:37]
	s_cbranch_execnz .LBB7_593
.LBB7_573:
	s_or_b64 exec, exec, s[36:37]
	s_and_saveexec_b64 s[34:35], s[0:1]
	s_cbranch_execz .LBB7_575
.LBB7_574:
	v_and_b32_e32 v3, 0xffff, v4
	v_lshlrev_b32_e32 v2, 24, v4
	v_and_b32_e32 v4, 3, v3
	v_ffbh_u32_e32 v6, v4
	v_min_u32_e32 v6, 32, v6
	v_subrev_u32_e32 v7, 29, v6
	v_bfe_u32 v5, v3, 2, 5
	v_lshlrev_b32_e32 v3, v7, v3
	v_sub_u32_e32 v6, 30, v6
	v_and_b32_e32 v3, 3, v3
	v_cmp_eq_u32_e32 vcc, 0, v5
	v_cndmask_b32_e32 v5, v5, v6, vcc
	v_cndmask_b32_e32 v3, v4, v3, vcc
	v_mov_b32_e32 v4, 0x37800000
	v_lshlrev_b32_e32 v3, 21, v3
	v_and_b32_e32 v2, 0x80000000, v2
	v_lshl_add_u32 v4, v5, 23, v4
	v_or3_b32 v2, v2, v4, v3
	v_cvt_f64_f32_e32 v[2:3], v2
.LBB7_575:
	s_or_b64 exec, exec, s[34:35]
	s_mov_b64 s[0:1], 0
	s_branch .LBB7_581
.LBB7_576:
	s_mov_b64 s[34:35], -1
                                        ; implicit-def: $vgpr2_vgpr3
	s_branch .LBB7_587
.LBB7_577:
	s_or_saveexec_b64 s[36:37], s[36:37]
	v_pk_mov_b32 v[2:3], s[34:35], s[34:35] op_sel:[0,1]
	s_xor_b64 exec, exec, s[36:37]
	s_cbranch_execz .LBB7_560
.LBB7_578:
	v_cmp_ne_u16_e32 vcc, 0, v4
	s_andn2_b64 s[0:1], s[0:1], exec
	s_and_b64 s[34:35], vcc, exec
	v_pk_mov_b32 v[2:3], 0, 0
	s_or_b64 s[0:1], s[0:1], s[34:35]
	s_or_b64 exec, exec, s[36:37]
	s_and_saveexec_b64 s[34:35], s[0:1]
	s_cbranch_execnz .LBB7_561
	s_branch .LBB7_562
.LBB7_579:
	s_mov_b64 s[0:1], -1
                                        ; implicit-def: $vgpr2_vgpr3
	s_branch .LBB7_584
.LBB7_580:
	s_mov_b64 s[0:1], -1
                                        ; implicit-def: $vgpr2_vgpr3
.LBB7_581:
	s_and_b64 vcc, exec, s[0:1]
	s_cbranch_vccz .LBB7_583
; %bb.582:
	global_load_ubyte v2, v[0:1], off
	s_mov_b32 s0, 0x7f800000
	s_waitcnt vmcnt(0)
	v_lshlrev_b32_e32 v2, 24, v2
	v_and_b32_e32 v3, 0x7f000000, v2
	v_ffbh_u32_e32 v4, v3
	v_min_u32_e32 v4, 32, v4
	v_sub_u32_e64 v4, v4, 4 clamp
	v_lshlrev_b32_e32 v6, v4, v3
	v_lshlrev_b32_e32 v4, 23, v4
	v_lshrrev_b32_e32 v6, 4, v6
	v_add_u32_e32 v5, 0x1000000, v3
	v_sub_u32_e32 v4, v6, v4
	v_ashrrev_i32_e32 v5, 8, v5
	v_add_u32_e32 v4, 0x3c000000, v4
	v_and_or_b32 v4, v5, s0, v4
	v_cmp_ne_u32_e32 vcc, 0, v3
	v_cndmask_b32_e32 v3, 0, v4, vcc
	s_brev_b32 s0, 1
	v_and_or_b32 v2, v2, s0, v3
	v_cvt_f64_f32_e32 v[2:3], v2
.LBB7_583:
	s_mov_b64 s[0:1], 0
.LBB7_584:
	s_andn2_b64 vcc, exec, s[0:1]
	s_cbranch_vccnz .LBB7_586
; %bb.585:
	global_load_ubyte v2, v[0:1], off
	s_movk_i32 s0, 0x7f00
	s_brev_b32 s1, 16
	s_waitcnt vmcnt(0)
	v_lshlrev_b16_e32 v3, 8, v2
	v_lshlrev_b32_e32 v2, 25, v2
	v_lshrrev_b32_e32 v4, 4, v2
	v_and_or_b32 v5, v3, s0, 0.5
	v_or_b32_e32 v4, 0x70000000, v4
	v_add_f32_e32 v5, -0.5, v5
	v_mul_f32_e32 v4, 0x7800000, v4
	v_cmp_gt_u32_e32 vcc, s1, v2
	v_bfe_i32 v3, v3, 0, 16
	v_cndmask_b32_e32 v2, v4, v5, vcc
	s_brev_b32 s0, 1
	v_and_or_b32 v2, v3, s0, v2
	v_cvt_f64_f32_e32 v[2:3], v2
.LBB7_586:
	s_mov_b64 s[34:35], 0
	s_mov_b64 s[0:1], -1
.LBB7_587:
	s_andn2_b64 vcc, exec, s[34:35]
	s_cbranch_vccnz .LBB7_600
; %bb.588:
	v_cmp_lt_i16_e32 vcc, 14, v17
	s_cbranch_vccz .LBB7_591
; %bb.589:
	v_cmp_eq_u16_e32 vcc, 15, v17
	s_cbranch_vccz .LBB7_594
; %bb.590:
	global_load_ushort v2, v[0:1], off
	s_mov_b64 s[0:1], -1
	s_mov_b64 s[30:31], 0
	s_waitcnt vmcnt(0)
	v_lshlrev_b32_e32 v2, 16, v2
	v_cvt_f64_f32_e32 v[2:3], v2
	s_branch .LBB7_595
.LBB7_591:
	s_mov_b64 s[34:35], -1
                                        ; implicit-def: $vgpr2_vgpr3
	s_branch .LBB7_596
.LBB7_592:
	s_or_saveexec_b64 s[36:37], s[36:37]
	v_pk_mov_b32 v[2:3], s[34:35], s[34:35] op_sel:[0,1]
	s_xor_b64 exec, exec, s[36:37]
	s_cbranch_execz .LBB7_573
.LBB7_593:
	v_cmp_ne_u16_e32 vcc, 0, v4
	s_andn2_b64 s[0:1], s[0:1], exec
	s_and_b64 s[34:35], vcc, exec
	v_pk_mov_b32 v[2:3], 0, 0
	s_or_b64 s[0:1], s[0:1], s[34:35]
	s_or_b64 exec, exec, s[36:37]
	s_and_saveexec_b64 s[34:35], s[0:1]
	s_cbranch_execnz .LBB7_574
	s_branch .LBB7_575
.LBB7_594:
	s_mov_b64 s[30:31], -1
                                        ; implicit-def: $vgpr2_vgpr3
.LBB7_595:
	s_mov_b64 s[34:35], 0
.LBB7_596:
	s_and_b64 vcc, exec, s[34:35]
	s_cbranch_vccz .LBB7_600
; %bb.597:
	v_cmp_eq_u16_e32 vcc, 11, v17
	s_cbranch_vccz .LBB7_599
; %bb.598:
	global_load_ubyte v3, v[0:1], off
	v_mov_b32_e32 v4, 0x3ff00000
	v_mov_b32_e32 v2, 0
	s_mov_b64 s[0:1], -1
	s_mov_b64 s[30:31], 0
	s_waitcnt vmcnt(0)
	v_cmp_ne_u16_e32 vcc, 0, v3
	v_cndmask_b32_e32 v3, 0, v4, vcc
	s_branch .LBB7_600
.LBB7_599:
	s_mov_b64 s[30:31], -1
                                        ; implicit-def: $vgpr2_vgpr3
.LBB7_600:
	s_mov_b64 s[34:35], 0
.LBB7_601:
	s_and_b64 vcc, exec, s[34:35]
	s_cbranch_vccz .LBB7_650
; %bb.602:
	v_cmp_gt_i16_e32 vcc, 5, v17
	s_cbranch_vccnz .LBB7_607
; %bb.603:
	v_cmp_gt_i16_e32 vcc, 8, v17
	s_cbranch_vccnz .LBB7_608
	;; [unrolled: 3-line block ×3, first 2 shown]
; %bb.605:
	v_cmp_lt_i16_e32 vcc, 9, v17
	s_cbranch_vccz .LBB7_610
; %bb.606:
	global_load_dwordx2 v[2:3], v[0:1], off
	s_mov_b64 s[0:1], 0
	s_branch .LBB7_611
.LBB7_607:
	s_mov_b64 s[0:1], -1
                                        ; implicit-def: $vgpr2_vgpr3
	s_branch .LBB7_629
.LBB7_608:
	s_mov_b64 s[0:1], -1
                                        ; implicit-def: $vgpr2_vgpr3
	s_branch .LBB7_617
.LBB7_609:
	s_mov_b64 s[0:1], -1
                                        ; implicit-def: $vgpr2_vgpr3
	s_branch .LBB7_614
.LBB7_610:
	s_mov_b64 s[0:1], -1
                                        ; implicit-def: $vgpr2_vgpr3
.LBB7_611:
	s_andn2_b64 vcc, exec, s[0:1]
	s_cbranch_vccnz .LBB7_613
; %bb.612:
	global_load_dword v2, v[0:1], off
	s_waitcnt vmcnt(0)
	v_cvt_f64_f32_e32 v[2:3], v2
.LBB7_613:
	s_mov_b64 s[0:1], 0
.LBB7_614:
	s_andn2_b64 vcc, exec, s[0:1]
	s_cbranch_vccnz .LBB7_616
; %bb.615:
	global_load_dword v2, v[0:1], off
	s_waitcnt vmcnt(0)
	v_cvt_f32_f16_e32 v2, v2
	v_cvt_f64_f32_e32 v[2:3], v2
.LBB7_616:
	s_mov_b64 s[0:1], 0
.LBB7_617:
	s_andn2_b64 vcc, exec, s[0:1]
	s_cbranch_vccnz .LBB7_628
; %bb.618:
	v_cmp_gt_i16_e32 vcc, 6, v17
	s_cbranch_vccnz .LBB7_621
; %bb.619:
	v_cmp_lt_i16_e32 vcc, 6, v17
	s_cbranch_vccz .LBB7_622
; %bb.620:
	global_load_dwordx2 v[2:3], v[0:1], off
	s_mov_b64 s[0:1], 0
	s_branch .LBB7_623
.LBB7_621:
	s_mov_b64 s[0:1], -1
                                        ; implicit-def: $vgpr2_vgpr3
	s_branch .LBB7_626
.LBB7_622:
	s_mov_b64 s[0:1], -1
                                        ; implicit-def: $vgpr2_vgpr3
.LBB7_623:
	s_andn2_b64 vcc, exec, s[0:1]
	s_cbranch_vccnz .LBB7_625
; %bb.624:
	global_load_dword v2, v[0:1], off
	s_waitcnt vmcnt(0)
	v_cvt_f64_f32_e32 v[2:3], v2
.LBB7_625:
	s_mov_b64 s[0:1], 0
.LBB7_626:
	s_andn2_b64 vcc, exec, s[0:1]
	s_cbranch_vccnz .LBB7_628
; %bb.627:
	global_load_ushort v2, v[0:1], off
	s_waitcnt vmcnt(0)
	v_cvt_f32_f16_e32 v2, v2
	v_cvt_f64_f32_e32 v[2:3], v2
.LBB7_628:
	s_mov_b64 s[0:1], 0
.LBB7_629:
	s_andn2_b64 vcc, exec, s[0:1]
	s_cbranch_vccnz .LBB7_649
; %bb.630:
	v_cmp_gt_i16_e32 vcc, 2, v17
	s_cbranch_vccnz .LBB7_634
; %bb.631:
	v_cmp_gt_i16_e32 vcc, 3, v17
	s_cbranch_vccnz .LBB7_635
; %bb.632:
	v_cmp_lt_i16_e32 vcc, 3, v17
	s_cbranch_vccz .LBB7_636
; %bb.633:
	global_load_dwordx2 v[2:3], v[0:1], off
	s_mov_b64 s[0:1], 0
	s_waitcnt vmcnt(0)
	v_cvt_f64_i32_e32 v[4:5], v3
	v_cvt_f64_u32_e32 v[2:3], v2
	v_ldexp_f64 v[4:5], v[4:5], 32
	v_add_f64 v[2:3], v[4:5], v[2:3]
	s_branch .LBB7_637
.LBB7_634:
	s_mov_b64 s[0:1], -1
                                        ; implicit-def: $vgpr2_vgpr3
	s_branch .LBB7_643
.LBB7_635:
	s_mov_b64 s[0:1], -1
                                        ; implicit-def: $vgpr2_vgpr3
	s_branch .LBB7_640
.LBB7_636:
	s_mov_b64 s[0:1], -1
                                        ; implicit-def: $vgpr2_vgpr3
.LBB7_637:
	s_andn2_b64 vcc, exec, s[0:1]
	s_cbranch_vccnz .LBB7_639
; %bb.638:
	global_load_dword v2, v[0:1], off
	s_waitcnt vmcnt(0)
	v_cvt_f64_i32_e32 v[2:3], v2
.LBB7_639:
	s_mov_b64 s[0:1], 0
.LBB7_640:
	s_andn2_b64 vcc, exec, s[0:1]
	s_cbranch_vccnz .LBB7_642
; %bb.641:
	global_load_sshort v2, v[0:1], off
	s_waitcnt vmcnt(0)
	v_cvt_f64_i32_e32 v[2:3], v2
.LBB7_642:
	s_mov_b64 s[0:1], 0
.LBB7_643:
	s_andn2_b64 vcc, exec, s[0:1]
	s_cbranch_vccnz .LBB7_649
; %bb.644:
	v_cmp_lt_i16_e32 vcc, 0, v17
	s_cbranch_vccz .LBB7_646
; %bb.645:
	global_load_sbyte v2, v[0:1], off
	s_mov_b64 s[0:1], 0
	s_waitcnt vmcnt(0)
	v_cvt_f64_i32_e32 v[2:3], v2
	s_branch .LBB7_647
.LBB7_646:
	s_mov_b64 s[0:1], -1
                                        ; implicit-def: $vgpr2_vgpr3
.LBB7_647:
	s_andn2_b64 vcc, exec, s[0:1]
	s_cbranch_vccnz .LBB7_649
; %bb.648:
	global_load_ubyte v0, v[0:1], off
	s_waitcnt vmcnt(0)
	v_cvt_f64_u32_e32 v[2:3], v0
.LBB7_649:
	s_mov_b64 s[0:1], -1
.LBB7_650:
	s_andn2_b64 vcc, exec, s[0:1]
	s_cbranch_vccnz .LBB7_660
; %bb.651:
	s_waitcnt vmcnt(0)
	v_cvt_f32_f64_e32 v0, v[2:3]
	s_mov_b32 s0, 0x7f800000
	v_cmp_nlg_f32_e64 s[34:35], |v0|, s0
	s_and_saveexec_b64 s[0:1], s[34:35]
	s_cbranch_execz .LBB7_653
; %bb.652:
	v_mov_b32_e32 v0, 0
	v_mov_b32_e32 v1, 1.0
	global_store_dword v0, v1, s[12:13]
.LBB7_653:
	s_or_b64 exec, exec, s[0:1]
	v_mov_b32_e32 v0, 0
	global_load_dword v6, v0, s[14:15]
	v_mul_lo_u32 v0, v16, s2
	v_mov_b32_e32 v4, 11
	v_mov_b32_e32 v1, s9
	v_ashrrev_i32_e32 v5, 31, v0
	v_cmp_lt_i16_sdwa s[0:1], s33, v4 src0_sel:BYTE_0 src1_sel:DWORD
	v_add_co_u32_e32 v4, vcc, s8, v0
	v_addc_co_u32_e32 v5, vcc, v1, v5, vcc
	s_and_b64 vcc, exec, s[0:1]
	s_waitcnt vmcnt(0)
	v_cvt_f64_f32_e32 v[0:1], v6
	v_mul_f64 v[0:1], v[2:3], v[0:1]
	v_cmp_eq_f32_e64 s[0:1], 1.0, v6
	v_cndmask_b32_e64 v1, v1, v3, s[0:1]
	v_cndmask_b32_e64 v0, v0, v2, s[0:1]
	s_cbranch_vccnz .LBB7_661
; %bb.654:
	v_mov_b32_e32 v2, 25
	v_cmp_gt_i16_sdwa s[0:1], s33, v2 src0_sel:BYTE_0 src1_sel:DWORD
	s_and_b64 vcc, exec, s[0:1]
	s_cbranch_vccz .LBB7_662
; %bb.655:
	v_mov_b32_e32 v2, 28
	v_cmp_gt_i16_sdwa s[0:1], s33, v2 src0_sel:BYTE_0 src1_sel:DWORD
	s_and_b64 vcc, exec, s[0:1]
	s_cbranch_vccz .LBB7_663
	;; [unrolled: 5-line block ×4, first 2 shown]
; %bb.658:
	v_mov_b32_e32 v2, 46
	v_cmp_eq_u16_sdwa s[34:35], s33, v2 src0_sel:BYTE_0 src1_sel:DWORD
	s_mov_b64 s[36:37], 0
	s_mov_b64 s[0:1], -1
	s_and_b64 vcc, exec, s[34:35]
	s_mov_b64 s[34:35], 0
	s_cbranch_vccz .LBB7_666
; %bb.659:
	v_cvt_f32_f64_e32 v2, v[0:1]
	v_bfe_u32 v3, v2, 16, 1
	s_movk_i32 s0, 0x7fff
	v_add3_u32 v3, v2, v3, s0
	v_lshrrev_b32_e32 v3, 16, v3
	v_mov_b32_e32 v6, 0x7fc0
	v_cmp_o_f32_e32 vcc, v2, v2
	v_cndmask_b32_e32 v2, v6, v3, vcc
	global_store_dword v[4:5], v2, off
	s_mov_b64 s[34:35], -1
	s_mov_b64 s[0:1], 0
	s_branch .LBB7_666
.LBB7_660:
	s_mov_b64 s[36:37], 0
                                        ; implicit-def: $vgpr16
	s_mov_b64 s[0:1], s[24:25]
	s_branch .LBB7_777
.LBB7_661:
	s_mov_b64 s[36:37], -1
	s_mov_b64 s[34:35], 0
	s_mov_b64 s[0:1], s[24:25]
	s_branch .LBB7_735
.LBB7_662:
	s_mov_b64 s[36:37], -1
	s_mov_b64 s[34:35], 0
	s_mov_b64 s[0:1], s[24:25]
	s_branch .LBB7_693
.LBB7_663:
	s_mov_b64 s[36:37], -1
	s_mov_b64 s[34:35], 0
	s_mov_b64 s[0:1], s[24:25]
	s_branch .LBB7_676
.LBB7_664:
	s_mov_b64 s[36:37], -1
	s_mov_b64 s[34:35], 0
	s_mov_b64 s[0:1], s[24:25]
	s_branch .LBB7_672
.LBB7_665:
	s_mov_b64 s[36:37], -1
	s_mov_b64 s[34:35], 0
	s_mov_b64 s[0:1], s[24:25]
.LBB7_666:
	s_and_b64 vcc, exec, s[36:37]
	s_cbranch_vccz .LBB7_671
; %bb.667:
	v_mov_b32_e32 v2, 44
	v_cmp_eq_u16_sdwa s[36:37], s33, v2 src0_sel:BYTE_0 src1_sel:DWORD
	s_mov_b64 s[0:1], -1
	s_and_b64 vcc, exec, s[36:37]
	s_cbranch_vccz .LBB7_671
; %bb.668:
	v_cvt_f32_f64_e32 v2, v[0:1]
	v_bfe_u32 v3, v2, 23, 8
	s_movk_i32 s0, 0xff
	v_cmp_ne_u32_e32 vcc, s0, v3
	v_mov_b32_e32 v6, 0xff
	s_and_saveexec_b64 s[34:35], vcc
; %bb.669:
	s_mov_b32 s0, 0x3fffff
	v_lshrrev_b32_e32 v6, 23, v2
	v_and_b32_e32 v7, 0x400000, v2
	v_and_or_b32 v2, v2, s0, v3
	v_cmp_ne_u32_e32 vcc, 0, v7
	v_cmp_ne_u32_e64 s[0:1], 0, v2
	s_and_b64 s[0:1], vcc, s[0:1]
	v_cndmask_b32_e64 v2, 0, 1, s[0:1]
	v_add_u32_e32 v6, v6, v2
; %bb.670:
	s_or_b64 exec, exec, s[34:35]
	s_mov_b64 s[34:35], -1
	s_mov_b64 s[0:1], 0
	global_store_byte v[4:5], v6, off
.LBB7_671:
	s_mov_b64 s[36:37], 0
.LBB7_672:
	s_and_b64 vcc, exec, s[36:37]
	s_cbranch_vccz .LBB7_675
; %bb.673:
	v_mov_b32_e32 v2, 29
	v_cmp_eq_u16_sdwa s[36:37], s33, v2 src0_sel:BYTE_0 src1_sel:DWORD
	s_mov_b64 s[0:1], -1
	s_and_b64 vcc, exec, s[36:37]
	s_cbranch_vccz .LBB7_675
; %bb.674:
	v_trunc_f64_e32 v[2:3], v[0:1]
	s_movk_i32 s0, 0xffe0
	v_ldexp_f64 v[6:7], v[2:3], s0
	v_floor_f64_e32 v[6:7], v[6:7]
	v_fmac_f64_e32 v[2:3], 0xc1f00000, v[6:7]
	v_cvt_u32_f64_e32 v9, v[6:7]
	v_cvt_u32_f64_e32 v8, v[2:3]
	global_store_dwordx2 v[4:5], v[8:9], off
	s_mov_b64 s[34:35], -1
	s_mov_b64 s[0:1], 0
.LBB7_675:
	s_mov_b64 s[36:37], 0
.LBB7_676:
	s_and_b64 vcc, exec, s[36:37]
	s_cbranch_vccz .LBB7_692
; %bb.677:
	v_mov_b32_e32 v2, 27
	v_cmp_lt_i16_sdwa s[36:37], s33, v2 src0_sel:BYTE_0 src1_sel:DWORD
	s_mov_b64 s[34:35], -1
	s_and_b64 vcc, exec, s[36:37]
	s_cbranch_vccnz .LBB7_683
; %bb.678:
	v_cmp_gt_i16_sdwa s[36:37], s33, v2 src0_sel:BYTE_0 src1_sel:DWORD
	s_and_b64 vcc, exec, s[36:37]
	v_cvt_u32_f64_e32 v2, v[0:1]
	s_cbranch_vccz .LBB7_680
; %bb.679:
	s_mov_b64 s[34:35], 0
	global_store_dword v[4:5], v2, off
.LBB7_680:
	s_andn2_b64 vcc, exec, s[34:35]
	s_cbranch_vccnz .LBB7_682
; %bb.681:
	global_store_short v[4:5], v2, off
.LBB7_682:
	s_mov_b64 s[34:35], 0
.LBB7_683:
	s_andn2_b64 vcc, exec, s[34:35]
	s_cbranch_vccnz .LBB7_691
; %bb.684:
	v_cvt_f32_f64_e32 v2, v[0:1]
	v_and_b32_e32 v3, 0x7fffffff, v2
	s_mov_b32 s34, 0x43800000
	v_cmp_gt_u32_e32 vcc, s34, v3
	v_mov_b32_e32 v6, 0x80
	s_and_saveexec_b64 s[34:35], vcc
	s_cbranch_execz .LBB7_690
; %bb.685:
	s_mov_b32 s36, 0x3bffffff
	v_cmp_lt_u32_e32 vcc, s36, v3
	s_mov_b64 s[36:37], 0
                                        ; implicit-def: $vgpr3
	s_and_saveexec_b64 s[38:39], vcc
	s_xor_b64 s[38:39], exec, s[38:39]
	s_cbranch_execz .LBB7_791
; %bb.686:
	v_bfe_u32 v3, v2, 20, 1
	s_mov_b32 s40, 0x487ffff
	v_add3_u32 v3, v2, v3, s40
	s_mov_b64 s[36:37], exec
	v_lshrrev_b32_e32 v3, 20, v3
	s_or_saveexec_b64 s[38:39], s[38:39]
                                        ; implicit-def: $sgpr40
	s_xor_b64 exec, exec, s[38:39]
	s_cbranch_execnz .LBB7_792
.LBB7_687:
	s_or_b64 exec, exec, s[38:39]
	v_mov_b32_e32 v6, s40
	s_and_saveexec_b64 s[38:39], s[36:37]
.LBB7_688:
	v_lshrrev_b32_e32 v2, 24, v2
	s_movk_i32 s36, 0x80
	v_and_or_b32 v6, v2, s36, v3
.LBB7_689:
	s_or_b64 exec, exec, s[38:39]
.LBB7_690:
	s_or_b64 exec, exec, s[34:35]
	global_store_byte v[4:5], v6, off
.LBB7_691:
	s_mov_b64 s[34:35], -1
.LBB7_692:
	s_mov_b64 s[36:37], 0
.LBB7_693:
	s_and_b64 vcc, exec, s[36:37]
	s_cbranch_vccz .LBB7_734
; %bb.694:
	v_mov_b32_e32 v2, 22
	v_cmp_gt_i16_sdwa s[38:39], s33, v2 src0_sel:BYTE_0 src1_sel:DWORD
	s_mov_b64 s[36:37], -1
	s_and_b64 vcc, exec, s[38:39]
	s_cbranch_vccz .LBB7_726
; %bb.695:
	v_mov_b32_e32 v2, 24
	v_cmp_lt_i16_sdwa s[36:37], s33, v2 src0_sel:BYTE_0 src1_sel:DWORD
	s_mov_b64 s[34:35], -1
	s_and_b64 vcc, exec, s[36:37]
	s_cbranch_vccnz .LBB7_715
; %bb.696:
	v_cmp_gt_i16_sdwa s[36:37], s33, v2 src0_sel:BYTE_0 src1_sel:DWORD
	s_and_b64 vcc, exec, s[36:37]
	s_cbranch_vccz .LBB7_704
; %bb.697:
	v_cvt_f32_f64_e32 v2, v[0:1]
	v_and_b32_e32 v3, 0x7fffffff, v2
	s_mov_b32 s34, 0x47800000
	v_cmp_gt_u32_e32 vcc, s34, v3
	v_mov_b32_e32 v6, 0x80
	s_and_saveexec_b64 s[34:35], vcc
	s_cbranch_execz .LBB7_703
; %bb.698:
	s_mov_b32 s36, 0x37ffffff
	v_cmp_lt_u32_e32 vcc, s36, v3
	s_mov_b64 s[36:37], 0
                                        ; implicit-def: $vgpr3
	s_and_saveexec_b64 s[38:39], vcc
	s_xor_b64 s[38:39], exec, s[38:39]
	s_cbranch_execz .LBB7_794
; %bb.699:
	v_bfe_u32 v3, v2, 21, 1
	s_mov_b32 s40, 0x88fffff
	v_add3_u32 v3, v2, v3, s40
	s_mov_b64 s[36:37], exec
	v_lshrrev_b32_e32 v3, 21, v3
	s_or_saveexec_b64 s[38:39], s[38:39]
                                        ; implicit-def: $sgpr40
	s_xor_b64 exec, exec, s[38:39]
	s_cbranch_execnz .LBB7_795
.LBB7_700:
	s_or_b64 exec, exec, s[38:39]
	v_mov_b32_e32 v6, s40
	s_and_saveexec_b64 s[38:39], s[36:37]
.LBB7_701:
	v_lshrrev_b32_e32 v2, 24, v2
	s_movk_i32 s36, 0x80
	v_and_or_b32 v6, v2, s36, v3
.LBB7_702:
	s_or_b64 exec, exec, s[38:39]
.LBB7_703:
	s_or_b64 exec, exec, s[34:35]
	s_mov_b64 s[34:35], 0
	global_store_byte v[4:5], v6, off
.LBB7_704:
	s_and_b64 vcc, exec, s[34:35]
	s_cbranch_vccz .LBB7_714
; %bb.705:
	v_cvt_f32_f64_e32 v2, v[0:1]
	v_and_b32_e32 v6, 0x7fffffff, v2
	s_mov_b32 s34, 0x43f00000
	v_cmp_gt_u32_e32 vcc, s34, v6
                                        ; implicit-def: $vgpr3
	s_and_saveexec_b64 s[34:35], vcc
	s_xor_b64 s[34:35], exec, s[34:35]
	s_cbranch_execz .LBB7_711
; %bb.706:
	s_mov_b32 s36, 0x3c7fffff
	v_cmp_lt_u32_e32 vcc, s36, v6
                                        ; implicit-def: $vgpr3
	s_and_saveexec_b64 s[36:37], vcc
	s_xor_b64 s[36:37], exec, s[36:37]
; %bb.707:
	v_bfe_u32 v3, v2, 20, 1
	s_mov_b32 s38, 0x407ffff
	v_add3_u32 v3, v2, v3, s38
	v_lshrrev_b32_e32 v6, 20, v3
	v_and_b32_e32 v3, 0xff00000, v3
	s_mov_b32 s38, 0x7f00000
	v_mov_b32_e32 v7, 0x7e
	v_cmp_ne_u32_e32 vcc, s38, v3
	v_cndmask_b32_e32 v3, v7, v6, vcc
; %bb.708:
	s_andn2_saveexec_b64 s[36:37], s[36:37]
; %bb.709:
	s_mov_b32 s38, 0x46800000
	v_add_f32_e64 v3, |v2|, s38
; %bb.710:
	s_or_b64 exec, exec, s[36:37]
                                        ; implicit-def: $vgpr6
.LBB7_711:
	s_andn2_saveexec_b64 s[34:35], s[34:35]
; %bb.712:
	s_mov_b32 s36, 0x7f800000
	v_mov_b32_e32 v3, 0x7e
	v_mov_b32_e32 v7, 0x7f
	v_cmp_lt_u32_e32 vcc, s36, v6
	v_cndmask_b32_e32 v3, v3, v7, vcc
; %bb.713:
	s_or_b64 exec, exec, s[34:35]
	v_lshrrev_b32_e32 v2, 24, v2
	s_movk_i32 s34, 0x80
	v_and_or_b32 v2, v2, s34, v3
	global_store_byte v[4:5], v2, off
.LBB7_714:
	s_mov_b64 s[34:35], 0
.LBB7_715:
	s_andn2_b64 vcc, exec, s[34:35]
	s_cbranch_vccnz .LBB7_725
; %bb.716:
	v_cvt_f32_f64_e32 v2, v[0:1]
	v_and_b32_e32 v6, 0x7fffffff, v2
	s_mov_b32 s34, 0x47800000
	v_cmp_gt_u32_e32 vcc, s34, v6
                                        ; implicit-def: $vgpr3
	s_and_saveexec_b64 s[34:35], vcc
	s_xor_b64 s[34:35], exec, s[34:35]
	s_cbranch_execz .LBB7_722
; %bb.717:
	s_mov_b32 s36, 0x387fffff
	v_cmp_lt_u32_e32 vcc, s36, v6
                                        ; implicit-def: $vgpr3
	s_and_saveexec_b64 s[36:37], vcc
	s_xor_b64 s[36:37], exec, s[36:37]
; %bb.718:
	v_bfe_u32 v3, v2, 21, 1
	s_mov_b32 s38, 0x80fffff
	v_add3_u32 v3, v2, v3, s38
	v_lshrrev_b32_e32 v3, 21, v3
; %bb.719:
	s_andn2_saveexec_b64 s[36:37], s[36:37]
; %bb.720:
	s_mov_b32 s38, 0x43000000
	v_add_f32_e64 v3, |v2|, s38
; %bb.721:
	s_or_b64 exec, exec, s[36:37]
                                        ; implicit-def: $vgpr6
.LBB7_722:
	s_andn2_saveexec_b64 s[34:35], s[34:35]
; %bb.723:
	s_mov_b32 s36, 0x7f800000
	v_mov_b32_e32 v3, 0x7c
	v_mov_b32_e32 v7, 0x7f
	v_cmp_lt_u32_e32 vcc, s36, v6
	v_cndmask_b32_e32 v3, v3, v7, vcc
; %bb.724:
	s_or_b64 exec, exec, s[34:35]
	v_lshrrev_b32_e32 v2, 24, v2
	s_movk_i32 s34, 0x80
	v_and_or_b32 v2, v2, s34, v3
	global_store_byte v[4:5], v2, off
.LBB7_725:
	s_mov_b64 s[36:37], 0
	s_mov_b64 s[34:35], -1
.LBB7_726:
	s_andn2_b64 vcc, exec, s[36:37]
	s_cbranch_vccnz .LBB7_734
; %bb.727:
	v_mov_b32_e32 v2, 14
	v_cmp_gt_i16_sdwa s[38:39], s33, v2 src0_sel:BYTE_0 src1_sel:DWORD
	s_mov_b64 s[36:37], -1
	s_and_b64 vcc, exec, s[38:39]
	s_cbranch_vccz .LBB7_731
; %bb.728:
	v_mov_b32_e32 v2, 15
	v_cmp_eq_u16_sdwa s[36:37], s33, v2 src0_sel:BYTE_0 src1_sel:DWORD
	s_mov_b64 s[0:1], -1
	s_and_b64 vcc, exec, s[36:37]
	s_cbranch_vccz .LBB7_730
; %bb.729:
	v_cvt_f32_f64_e32 v2, v[0:1]
	v_bfe_u32 v3, v2, 16, 1
	s_movk_i32 s0, 0x7fff
	v_add3_u32 v3, v2, v3, s0
	v_lshrrev_b32_e32 v3, 16, v3
	v_mov_b32_e32 v6, 0x7fc0
	v_cmp_o_f32_e32 vcc, v2, v2
	v_cndmask_b32_e32 v2, v6, v3, vcc
	global_store_short v[4:5], v2, off
	s_mov_b64 s[34:35], -1
	s_mov_b64 s[0:1], 0
.LBB7_730:
	s_mov_b64 s[36:37], 0
.LBB7_731:
	s_and_b64 vcc, exec, s[36:37]
	s_cbranch_vccz .LBB7_734
; %bb.732:
	v_mov_b32_e32 v2, 11
	v_cmp_eq_u16_sdwa s[36:37], s33, v2 src0_sel:BYTE_0 src1_sel:DWORD
	s_mov_b64 s[0:1], -1
	s_and_b64 vcc, exec, s[36:37]
	s_cbranch_vccz .LBB7_734
; %bb.733:
	v_cmp_neq_f64_e32 vcc, 0, v[0:1]
	s_mov_b64 s[0:1], 0
	v_cndmask_b32_e64 v2, 0, 1, vcc
	s_mov_b64 s[34:35], -1
	global_store_byte v[4:5], v2, off
.LBB7_734:
	s_mov_b64 s[36:37], 0
.LBB7_735:
	s_and_b64 vcc, exec, s[36:37]
	s_cbranch_vccz .LBB7_774
; %bb.736:
	v_mov_b32_e32 v2, 5
	v_cmp_lt_i16_sdwa s[36:37], s33, v2 src0_sel:BYTE_0 src1_sel:DWORD
	s_mov_b64 s[34:35], -1
	s_and_b64 vcc, exec, s[36:37]
	s_cbranch_vccnz .LBB7_757
; %bb.737:
	v_mov_b32_e32 v2, 8
	v_cmp_lt_i16_sdwa s[36:37], s33, v2 src0_sel:BYTE_0 src1_sel:DWORD
	s_and_b64 vcc, exec, s[36:37]
	s_cbranch_vccnz .LBB7_747
; %bb.738:
	v_mov_b32_e32 v2, 9
	v_cmp_lt_i16_sdwa s[36:37], s33, v2 src0_sel:BYTE_0 src1_sel:DWORD
	s_and_b64 vcc, exec, s[36:37]
	s_cbranch_vccnz .LBB7_744
; %bb.739:
	v_cmp_gt_i16_sdwa s[36:37], s33, v2 src0_sel:BYTE_0 src1_sel:DWORD
	s_and_b64 vcc, exec, s[36:37]
	s_cbranch_vccz .LBB7_741
; %bb.740:
	v_mov_b32_e32 v2, 0
	v_mov_b32_e32 v3, v2
	s_mov_b64 s[34:35], 0
	global_store_dwordx4 v[4:5], v[0:3], off
.LBB7_741:
	s_andn2_b64 vcc, exec, s[34:35]
	s_cbranch_vccnz .LBB7_743
; %bb.742:
	v_cvt_f32_f64_e32 v2, v[0:1]
	v_mov_b32_e32 v3, 0
	global_store_dwordx2 v[4:5], v[2:3], off
.LBB7_743:
	s_mov_b64 s[34:35], 0
.LBB7_744:
	s_andn2_b64 vcc, exec, s[34:35]
	s_cbranch_vccnz .LBB7_746
; %bb.745:
	v_cvt_f32_f64_e32 v2, v[0:1]
	v_cvt_f16_f32_e32 v2, v2
	global_store_dword v[4:5], v2, off
.LBB7_746:
	s_mov_b64 s[34:35], 0
.LBB7_747:
	s_andn2_b64 vcc, exec, s[34:35]
	s_cbranch_vccnz .LBB7_756
; %bb.748:
	v_mov_b32_e32 v2, 6
	v_cmp_lt_i16_sdwa s[36:37], s33, v2 src0_sel:BYTE_0 src1_sel:DWORD
	s_mov_b64 s[34:35], -1
	s_and_b64 vcc, exec, s[36:37]
	s_cbranch_vccnz .LBB7_754
; %bb.749:
	v_cmp_gt_i16_sdwa s[36:37], s33, v2 src0_sel:BYTE_0 src1_sel:DWORD
	s_and_b64 vcc, exec, s[36:37]
	s_cbranch_vccz .LBB7_751
; %bb.750:
	s_mov_b64 s[34:35], 0
	global_store_dwordx2 v[4:5], v[0:1], off
.LBB7_751:
	s_andn2_b64 vcc, exec, s[34:35]
	s_cbranch_vccnz .LBB7_753
; %bb.752:
	v_cvt_f32_f64_e32 v2, v[0:1]
	global_store_dword v[4:5], v2, off
.LBB7_753:
	s_mov_b64 s[34:35], 0
.LBB7_754:
	s_andn2_b64 vcc, exec, s[34:35]
	s_cbranch_vccnz .LBB7_756
; %bb.755:
	v_cvt_f32_f64_e32 v2, v[0:1]
	v_cvt_f16_f32_e32 v2, v2
	global_store_short v[4:5], v2, off
.LBB7_756:
	s_mov_b64 s[34:35], 0
.LBB7_757:
	s_andn2_b64 vcc, exec, s[34:35]
	s_cbranch_vccnz .LBB7_773
; %bb.758:
	v_mov_b32_e32 v2, 2
	v_cmp_lt_i16_sdwa s[36:37], s33, v2 src0_sel:BYTE_0 src1_sel:DWORD
	s_mov_b64 s[34:35], -1
	s_and_b64 vcc, exec, s[36:37]
	s_cbranch_vccnz .LBB7_768
; %bb.759:
	v_mov_b32_e32 v2, 3
	v_cmp_lt_i16_sdwa s[36:37], s33, v2 src0_sel:BYTE_0 src1_sel:DWORD
	s_and_b64 vcc, exec, s[36:37]
	s_cbranch_vccnz .LBB7_765
; %bb.760:
	v_cmp_gt_i16_sdwa s[36:37], s33, v2 src0_sel:BYTE_0 src1_sel:DWORD
	s_and_b64 vcc, exec, s[36:37]
	s_cbranch_vccz .LBB7_762
; %bb.761:
	v_trunc_f64_e32 v[2:3], v[0:1]
	s_movk_i32 s34, 0xffe0
	v_ldexp_f64 v[6:7], v[2:3], s34
	v_floor_f64_e32 v[6:7], v[6:7]
	v_fmac_f64_e32 v[2:3], 0xc1f00000, v[6:7]
	v_cvt_i32_f64_e32 v9, v[6:7]
	v_cvt_u32_f64_e32 v8, v[2:3]
	s_mov_b64 s[34:35], 0
	global_store_dwordx2 v[4:5], v[8:9], off
.LBB7_762:
	s_andn2_b64 vcc, exec, s[34:35]
	s_cbranch_vccnz .LBB7_764
; %bb.763:
	v_cvt_i32_f64_e32 v2, v[0:1]
	global_store_dword v[4:5], v2, off
.LBB7_764:
	s_mov_b64 s[34:35], 0
.LBB7_765:
	s_andn2_b64 vcc, exec, s[34:35]
	s_cbranch_vccnz .LBB7_767
; %bb.766:
	v_cvt_i32_f64_e32 v2, v[0:1]
	global_store_short v[4:5], v2, off
.LBB7_767:
	s_mov_b64 s[34:35], 0
.LBB7_768:
	s_andn2_b64 vcc, exec, s[34:35]
	s_cbranch_vccnz .LBB7_773
; %bb.769:
	v_mov_b32_e32 v2, 0
	v_cmp_gt_i16_sdwa s[36:37], s33, v2 src0_sel:BYTE_0 src1_sel:DWORD
	s_mov_b64 s[34:35], -1
	s_and_b64 vcc, exec, s[36:37]
	s_cbranch_vccz .LBB7_771
; %bb.770:
	v_cvt_i32_f64_e32 v2, v[0:1]
	s_mov_b64 s[34:35], 0
	global_store_byte v[4:5], v2, off
.LBB7_771:
	s_andn2_b64 vcc, exec, s[34:35]
	s_cbranch_vccnz .LBB7_773
; %bb.772:
	v_trunc_f64_e32 v[0:1], v[0:1]
	s_movk_i32 s34, 0xffe0
	v_ldexp_f64 v[2:3], v[0:1], s34
	v_floor_f64_e32 v[2:3], v[2:3]
	v_fmac_f64_e32 v[0:1], 0xc1f00000, v[2:3]
	v_cvt_u32_f64_e32 v0, v[0:1]
	global_store_byte v[4:5], v0, off
.LBB7_773:
	s_mov_b64 s[34:35], -1
.LBB7_774:
	s_andn2_b64 vcc, exec, s[34:35]
	s_cbranch_vccnz .LBB7_776
; %bb.775:
	v_add_u32_e32 v16, 0x80, v16
	s_mov_b64 s[36:37], -1
	s_branch .LBB7_777
.LBB7_776:
	s_mov_b64 s[36:37], 0
                                        ; implicit-def: $vgpr16
.LBB7_777:
	s_andn2_b64 s[34:35], s[24:25], exec
	s_and_b64 s[0:1], s[0:1], exec
	s_or_b64 s[34:35], s[34:35], s[0:1]
	s_andn2_b64 s[0:1], s[22:23], exec
	s_and_b64 s[30:31], s[30:31], exec
	s_or_b64 s[0:1], s[0:1], s[30:31]
	s_orn2_b64 s[38:39], s[36:37], exec
.LBB7_778:
	s_or_b64 exec, exec, s[28:29]
	s_mov_b64 s[36:37], 0
	s_mov_b64 s[30:31], 0
	;; [unrolled: 1-line block ×3, first 2 shown]
                                        ; implicit-def: $vgpr0_vgpr1
                                        ; implicit-def: $vgpr2_vgpr3
	s_and_saveexec_b64 s[28:29], s[38:39]
	s_cbranch_execz .LBB7_863
; %bb.779:
	v_cmp_gt_i32_e32 vcc, s42, v16
	s_mov_b64 s[38:39], 0
	s_mov_b64 s[42:43], s[0:1]
	;; [unrolled: 1-line block ×3, first 2 shown]
                                        ; implicit-def: $vgpr0_vgpr1
                                        ; implicit-def: $vgpr2_vgpr3
	s_and_saveexec_b64 s[30:31], vcc
	s_cbranch_execz .LBB7_862
; %bb.780:
	v_mul_lo_u32 v0, v16, s3
	v_ashrrev_i32_e32 v1, 31, v0
	s_waitcnt vmcnt(0)
	v_mov_b32_e32 v2, s11
	v_add_co_u32_e32 v0, vcc, s10, v0
	v_addc_co_u32_e32 v1, vcc, v2, v1, vcc
	v_cmp_gt_i16_e32 vcc, 11, v17
	s_cbranch_vccnz .LBB7_787
; %bb.781:
	v_cmp_lt_i16_e32 vcc, 25, v17
	s_cbranch_vccz .LBB7_788
; %bb.782:
	v_cmp_lt_i16_e32 vcc, 28, v17
	s_cbranch_vccz .LBB7_789
	;; [unrolled: 3-line block ×4, first 2 shown]
; %bb.785:
	v_cmp_eq_u16_e32 vcc, 46, v17
	s_mov_b64 s[42:43], 0
	s_cbranch_vccz .LBB7_796
; %bb.786:
	global_load_dword v2, v[0:1], off
	s_mov_b64 s[40:41], -1
	s_waitcnt vmcnt(0)
	v_lshlrev_b32_e32 v2, 16, v2
	v_cvt_f64_f32_e32 v[2:3], v2
	s_branch .LBB7_798
.LBB7_787:
	s_mov_b64 s[42:43], -1
                                        ; implicit-def: $vgpr2_vgpr3
	s_mov_b64 s[36:37], s[0:1]
	s_branch .LBB7_861
.LBB7_788:
	s_mov_b64 s[42:43], -1
	s_mov_b64 s[36:37], s[0:1]
                                        ; implicit-def: $vgpr2_vgpr3
	s_branch .LBB7_827
.LBB7_789:
	s_mov_b64 s[42:43], -1
	s_mov_b64 s[36:37], s[0:1]
                                        ; implicit-def: $vgpr2_vgpr3
	s_branch .LBB7_808
.LBB7_790:
	s_mov_b64 s[42:43], -1
	s_mov_b64 s[36:37], s[0:1]
                                        ; implicit-def: $vgpr2_vgpr3
	s_branch .LBB7_803
.LBB7_791:
	s_or_saveexec_b64 s[38:39], s[38:39]
                                        ; implicit-def: $sgpr40
	s_xor_b64 exec, exec, s[38:39]
	s_cbranch_execz .LBB7_687
.LBB7_792:
	s_mov_b32 s40, 0x46000000
	v_add_f32_e64 v3, |v2|, s40
	v_and_b32_e32 v3, 0xff, v3
	v_cmp_ne_u32_e32 vcc, 0, v3
	s_andn2_b64 s[36:37], s[36:37], exec
	s_and_b64 s[44:45], vcc, exec
	s_mov_b32 s40, 0
	s_or_b64 s[36:37], s[36:37], s[44:45]
	s_or_b64 exec, exec, s[38:39]
	v_mov_b32_e32 v6, s40
	s_and_saveexec_b64 s[38:39], s[36:37]
	s_cbranch_execnz .LBB7_688
	s_branch .LBB7_689
.LBB7_793:
	s_mov_b64 s[42:43], -1
	s_mov_b64 s[36:37], s[0:1]
	s_branch .LBB7_797
.LBB7_794:
	s_or_saveexec_b64 s[38:39], s[38:39]
                                        ; implicit-def: $sgpr40
	s_xor_b64 exec, exec, s[38:39]
	s_cbranch_execz .LBB7_700
.LBB7_795:
	s_mov_b32 s40, 0x42800000
	v_add_f32_e64 v3, |v2|, s40
	v_and_b32_e32 v3, 0xff, v3
	v_cmp_ne_u32_e32 vcc, 0, v3
	s_andn2_b64 s[36:37], s[36:37], exec
	s_and_b64 s[44:45], vcc, exec
	s_mov_b32 s40, 0
	s_or_b64 s[36:37], s[36:37], s[44:45]
	s_or_b64 exec, exec, s[38:39]
	v_mov_b32_e32 v6, s40
	s_and_saveexec_b64 s[38:39], s[36:37]
	s_cbranch_execnz .LBB7_701
	s_branch .LBB7_702
.LBB7_796:
	s_mov_b64 s[36:37], -1
.LBB7_797:
                                        ; implicit-def: $vgpr2_vgpr3
.LBB7_798:
	s_and_b64 vcc, exec, s[42:43]
	s_cbranch_vccz .LBB7_802
; %bb.799:
	v_cmp_eq_u16_e32 vcc, 44, v17
	s_cbranch_vccz .LBB7_801
; %bb.800:
	global_load_ubyte v4, v[0:1], off
	s_movk_i32 s40, 0xff
	v_bfrev_b32_e32 v5, 4
	v_mov_b32_e32 v6, 0x7ff80000
	v_bfrev_b32_e32 v7, 28
	s_mov_b64 s[36:37], 0
	s_waitcnt vmcnt(0)
	v_lshlrev_b32_e32 v2, 23, v4
	v_cvt_f64_f32_e32 v[2:3], v2
	v_cmp_ne_u32_e32 vcc, s40, v4
	v_cndmask_b32_e32 v2, v5, v2, vcc
	v_cndmask_b32_e32 v3, v6, v3, vcc
	v_cmp_ne_u32_e32 vcc, 0, v4
	v_cndmask_b32_e32 v3, v7, v3, vcc
	v_cndmask_b32_e32 v2, 0, v2, vcc
	s_mov_b64 s[40:41], -1
	s_branch .LBB7_802
.LBB7_801:
	s_mov_b64 s[36:37], -1
                                        ; implicit-def: $vgpr2_vgpr3
.LBB7_802:
	s_mov_b64 s[42:43], 0
.LBB7_803:
	s_and_b64 vcc, exec, s[42:43]
	s_cbranch_vccz .LBB7_807
; %bb.804:
	v_cmp_eq_u16_e32 vcc, 29, v17
	s_cbranch_vccz .LBB7_806
; %bb.805:
	global_load_dwordx2 v[2:3], v[0:1], off
	s_mov_b64 s[36:37], 0
	s_mov_b64 s[40:41], -1
	s_mov_b64 s[42:43], 0
	s_waitcnt vmcnt(0)
	v_cvt_f64_u32_e32 v[4:5], v3
	v_cvt_f64_u32_e32 v[2:3], v2
	v_ldexp_f64 v[4:5], v[4:5], 32
	v_add_f64 v[2:3], v[4:5], v[2:3]
	s_branch .LBB7_808
.LBB7_806:
	s_mov_b64 s[36:37], -1
                                        ; implicit-def: $vgpr2_vgpr3
.LBB7_807:
	s_mov_b64 s[42:43], 0
.LBB7_808:
	s_and_b64 vcc, exec, s[42:43]
	s_cbranch_vccz .LBB7_826
; %bb.809:
	v_cmp_gt_i16_e32 vcc, 27, v17
	s_cbranch_vccnz .LBB7_812
; %bb.810:
	v_cmp_lt_i16_e32 vcc, 27, v17
	s_cbranch_vccz .LBB7_813
; %bb.811:
	global_load_dword v2, v[0:1], off
	s_mov_b64 s[40:41], 0
	s_waitcnt vmcnt(0)
	v_cvt_f64_u32_e32 v[2:3], v2
	s_branch .LBB7_814
.LBB7_812:
	s_mov_b64 s[40:41], -1
                                        ; implicit-def: $vgpr2_vgpr3
	s_branch .LBB7_817
.LBB7_813:
	s_mov_b64 s[40:41], -1
                                        ; implicit-def: $vgpr2_vgpr3
.LBB7_814:
	s_andn2_b64 vcc, exec, s[40:41]
	s_cbranch_vccnz .LBB7_816
; %bb.815:
	global_load_ushort v2, v[0:1], off
	s_waitcnt vmcnt(0)
	v_cvt_f64_u32_e32 v[2:3], v2
.LBB7_816:
	s_mov_b64 s[40:41], 0
.LBB7_817:
	s_andn2_b64 vcc, exec, s[40:41]
	s_cbranch_vccnz .LBB7_825
; %bb.818:
	global_load_ubyte v4, v[0:1], off
	s_movk_i32 s40, 0x7f
                                        ; implicit-def: $sgpr42_sgpr43
	s_waitcnt vmcnt(0)
	v_cmp_lt_i16_e32 vcc, s40, v4
	s_mov_b64 s[40:41], 0
	s_and_saveexec_b64 s[44:45], vcc
	s_xor_b64 s[44:45], exec, s[44:45]
	s_cbranch_execz .LBB7_839
; %bb.819:
	s_movk_i32 s40, 0x80
	v_cmp_eq_u16_e32 vcc, s40, v4
	s_mov_b64 s[46:47], -1
                                        ; implicit-def: $sgpr42_sgpr43
	s_and_saveexec_b64 s[40:41], vcc
; %bb.820:
	s_mov_b32 s43, 0x7ff80000
	s_brev_b32 s42, 4
	s_xor_b64 s[46:47], exec, -1
; %bb.821:
	s_or_b64 exec, exec, s[40:41]
	s_and_b64 s[40:41], s[46:47], exec
	s_or_saveexec_b64 s[44:45], s[44:45]
	v_pk_mov_b32 v[2:3], s[42:43], s[42:43] op_sel:[0,1]
	s_xor_b64 exec, exec, s[44:45]
	s_cbranch_execnz .LBB7_840
.LBB7_822:
	s_or_b64 exec, exec, s[44:45]
	s_and_saveexec_b64 s[42:43], s[40:41]
	s_cbranch_execz .LBB7_824
.LBB7_823:
	v_and_b32_e32 v3, 0xffff, v4
	v_lshlrev_b32_e32 v2, 24, v4
	v_and_b32_e32 v4, 7, v3
	v_ffbh_u32_e32 v6, v4
	v_min_u32_e32 v6, 32, v6
	v_subrev_u32_e32 v7, 28, v6
	v_bfe_u32 v5, v3, 3, 4
	v_lshlrev_b32_e32 v3, v7, v3
	v_sub_u32_e32 v6, 29, v6
	v_and_b32_e32 v3, 7, v3
	v_cmp_eq_u32_e32 vcc, 0, v5
	v_cndmask_b32_e32 v5, v5, v6, vcc
	v_cndmask_b32_e32 v3, v4, v3, vcc
	v_mov_b32_e32 v4, 0x3b800000
	v_lshlrev_b32_e32 v3, 20, v3
	v_and_b32_e32 v2, 0x80000000, v2
	v_lshl_add_u32 v4, v5, 23, v4
	v_or3_b32 v2, v2, v4, v3
	v_cvt_f64_f32_e32 v[2:3], v2
.LBB7_824:
	s_or_b64 exec, exec, s[42:43]
.LBB7_825:
	s_mov_b64 s[40:41], -1
.LBB7_826:
	s_mov_b64 s[42:43], 0
.LBB7_827:
	s_and_b64 vcc, exec, s[42:43]
	s_cbranch_vccz .LBB7_860
; %bb.828:
	v_cmp_lt_i16_e32 vcc, 22, v17
	s_cbranch_vccz .LBB7_838
; %bb.829:
	v_cmp_gt_i16_e32 vcc, 24, v17
	s_cbranch_vccnz .LBB7_841
; %bb.830:
	v_cmp_lt_i16_e32 vcc, 24, v17
	s_cbranch_vccz .LBB7_842
; %bb.831:
	global_load_ubyte v4, v[0:1], off
	s_movk_i32 s38, 0x7f
                                        ; implicit-def: $sgpr40_sgpr41
	s_waitcnt vmcnt(0)
	v_cmp_lt_i16_e32 vcc, s38, v4
	s_mov_b64 s[38:39], 0
	s_and_saveexec_b64 s[42:43], vcc
	s_xor_b64 s[42:43], exec, s[42:43]
	s_cbranch_execz .LBB7_854
; %bb.832:
	s_movk_i32 s38, 0x80
	v_cmp_eq_u16_e32 vcc, s38, v4
	s_mov_b64 s[44:45], -1
                                        ; implicit-def: $sgpr40_sgpr41
	s_and_saveexec_b64 s[38:39], vcc
; %bb.833:
	s_mov_b32 s41, 0x7ff80000
	s_brev_b32 s40, 4
	s_xor_b64 s[44:45], exec, -1
; %bb.834:
	s_or_b64 exec, exec, s[38:39]
	s_and_b64 s[38:39], s[44:45], exec
	s_or_saveexec_b64 s[42:43], s[42:43]
	v_pk_mov_b32 v[2:3], s[40:41], s[40:41] op_sel:[0,1]
	s_xor_b64 exec, exec, s[42:43]
	s_cbranch_execnz .LBB7_855
.LBB7_835:
	s_or_b64 exec, exec, s[42:43]
	s_and_saveexec_b64 s[40:41], s[38:39]
	s_cbranch_execz .LBB7_837
.LBB7_836:
	v_and_b32_e32 v3, 0xffff, v4
	v_lshlrev_b32_e32 v2, 24, v4
	v_and_b32_e32 v4, 3, v3
	v_ffbh_u32_e32 v6, v4
	v_min_u32_e32 v6, 32, v6
	v_subrev_u32_e32 v7, 29, v6
	v_bfe_u32 v5, v3, 2, 5
	v_lshlrev_b32_e32 v3, v7, v3
	v_sub_u32_e32 v6, 30, v6
	v_and_b32_e32 v3, 3, v3
	v_cmp_eq_u32_e32 vcc, 0, v5
	v_cndmask_b32_e32 v5, v5, v6, vcc
	v_cndmask_b32_e32 v3, v4, v3, vcc
	v_mov_b32_e32 v4, 0x37800000
	v_lshlrev_b32_e32 v3, 21, v3
	v_and_b32_e32 v2, 0x80000000, v2
	v_lshl_add_u32 v4, v5, 23, v4
	v_or3_b32 v2, v2, v4, v3
	v_cvt_f64_f32_e32 v[2:3], v2
.LBB7_837:
	s_or_b64 exec, exec, s[40:41]
	s_mov_b64 s[38:39], 0
	s_branch .LBB7_843
.LBB7_838:
	s_mov_b64 s[38:39], -1
                                        ; implicit-def: $vgpr2_vgpr3
	s_branch .LBB7_849
.LBB7_839:
	s_or_saveexec_b64 s[44:45], s[44:45]
	v_pk_mov_b32 v[2:3], s[42:43], s[42:43] op_sel:[0,1]
	s_xor_b64 exec, exec, s[44:45]
	s_cbranch_execz .LBB7_822
.LBB7_840:
	v_cmp_ne_u16_e32 vcc, 0, v4
	s_andn2_b64 s[40:41], s[40:41], exec
	s_and_b64 s[42:43], vcc, exec
	v_pk_mov_b32 v[2:3], 0, 0
	s_or_b64 s[40:41], s[40:41], s[42:43]
	s_or_b64 exec, exec, s[44:45]
	s_and_saveexec_b64 s[42:43], s[40:41]
	s_cbranch_execnz .LBB7_823
	s_branch .LBB7_824
.LBB7_841:
	s_mov_b64 s[38:39], -1
                                        ; implicit-def: $vgpr2_vgpr3
	s_branch .LBB7_846
.LBB7_842:
	s_mov_b64 s[38:39], -1
                                        ; implicit-def: $vgpr2_vgpr3
.LBB7_843:
	s_and_b64 vcc, exec, s[38:39]
	s_cbranch_vccz .LBB7_845
; %bb.844:
	global_load_ubyte v2, v[0:1], off
	s_mov_b32 s38, 0x7f800000
	s_waitcnt vmcnt(0)
	v_lshlrev_b32_e32 v2, 24, v2
	v_and_b32_e32 v3, 0x7f000000, v2
	v_ffbh_u32_e32 v4, v3
	v_min_u32_e32 v4, 32, v4
	v_sub_u32_e64 v4, v4, 4 clamp
	v_lshlrev_b32_e32 v6, v4, v3
	v_lshlrev_b32_e32 v4, 23, v4
	v_lshrrev_b32_e32 v6, 4, v6
	v_add_u32_e32 v5, 0x1000000, v3
	v_sub_u32_e32 v4, v6, v4
	v_ashrrev_i32_e32 v5, 8, v5
	v_add_u32_e32 v4, 0x3c000000, v4
	v_and_or_b32 v4, v5, s38, v4
	v_cmp_ne_u32_e32 vcc, 0, v3
	v_cndmask_b32_e32 v3, 0, v4, vcc
	s_brev_b32 s38, 1
	v_and_or_b32 v2, v2, s38, v3
	v_cvt_f64_f32_e32 v[2:3], v2
.LBB7_845:
	s_mov_b64 s[38:39], 0
.LBB7_846:
	s_andn2_b64 vcc, exec, s[38:39]
	s_cbranch_vccnz .LBB7_848
; %bb.847:
	global_load_ubyte v2, v[0:1], off
	s_movk_i32 s38, 0x7f00
	s_brev_b32 s39, 16
	s_waitcnt vmcnt(0)
	v_lshlrev_b16_e32 v3, 8, v2
	v_lshlrev_b32_e32 v2, 25, v2
	v_lshrrev_b32_e32 v4, 4, v2
	v_and_or_b32 v5, v3, s38, 0.5
	v_or_b32_e32 v4, 0x70000000, v4
	v_add_f32_e32 v5, -0.5, v5
	v_mul_f32_e32 v4, 0x7800000, v4
	v_cmp_gt_u32_e32 vcc, s39, v2
	v_bfe_i32 v3, v3, 0, 16
	v_cndmask_b32_e32 v2, v4, v5, vcc
	s_brev_b32 s38, 1
	v_and_or_b32 v2, v3, s38, v2
	v_cvt_f64_f32_e32 v[2:3], v2
.LBB7_848:
	s_mov_b64 s[38:39], 0
	s_mov_b64 s[40:41], -1
.LBB7_849:
	s_andn2_b64 vcc, exec, s[38:39]
	s_mov_b64 s[38:39], 0
	s_cbranch_vccnz .LBB7_860
; %bb.850:
	v_cmp_lt_i16_e32 vcc, 14, v17
	s_cbranch_vccz .LBB7_853
; %bb.851:
	v_cmp_eq_u16_e32 vcc, 15, v17
	s_cbranch_vccz .LBB7_856
; %bb.852:
	global_load_ushort v2, v[0:1], off
	s_mov_b64 s[36:37], 0
	s_mov_b64 s[40:41], -1
	s_waitcnt vmcnt(0)
	v_lshlrev_b32_e32 v2, 16, v2
	v_cvt_f64_f32_e32 v[2:3], v2
	s_branch .LBB7_857
.LBB7_853:
	s_mov_b64 s[42:43], -1
                                        ; implicit-def: $vgpr2_vgpr3
	s_branch .LBB7_858
.LBB7_854:
	s_or_saveexec_b64 s[42:43], s[42:43]
	v_pk_mov_b32 v[2:3], s[40:41], s[40:41] op_sel:[0,1]
	s_xor_b64 exec, exec, s[42:43]
	s_cbranch_execz .LBB7_835
.LBB7_855:
	v_cmp_ne_u16_e32 vcc, 0, v4
	s_andn2_b64 s[38:39], s[38:39], exec
	s_and_b64 s[40:41], vcc, exec
	v_pk_mov_b32 v[2:3], 0, 0
	s_or_b64 s[38:39], s[38:39], s[40:41]
	s_or_b64 exec, exec, s[42:43]
	s_and_saveexec_b64 s[40:41], s[38:39]
	s_cbranch_execnz .LBB7_836
	s_branch .LBB7_837
.LBB7_856:
	s_mov_b64 s[36:37], -1
                                        ; implicit-def: $vgpr2_vgpr3
.LBB7_857:
	s_mov_b64 s[42:43], 0
.LBB7_858:
	s_and_b64 vcc, exec, s[42:43]
	s_cbranch_vccz .LBB7_860
; %bb.859:
	v_cmp_ne_u16_e32 vcc, 11, v17
	s_andn2_b64 s[36:37], s[36:37], exec
	s_and_b64 s[42:43], vcc, exec
	s_mov_b64 s[38:39], -1
	s_or_b64 s[36:37], s[36:37], s[42:43]
                                        ; implicit-def: $vgpr2_vgpr3
.LBB7_860:
	s_mov_b64 s[42:43], 0
.LBB7_861:
	s_and_b64 s[44:45], s[42:43], exec
	s_andn2_b64 s[42:43], s[0:1], exec
	s_and_b64 s[36:37], s[36:37], exec
	s_and_b64 s[40:41], s[40:41], exec
	;; [unrolled: 1-line block ×3, first 2 shown]
	s_or_b64 s[42:43], s[42:43], s[36:37]
.LBB7_862:
	s_or_b64 exec, exec, s[30:31]
	s_and_b64 s[36:37], s[38:39], exec
	s_andn2_b64 s[0:1], s[0:1], exec
	s_and_b64 s[38:39], s[42:43], exec
	s_and_b64 s[40:41], s[40:41], exec
	;; [unrolled: 1-line block ×3, first 2 shown]
	s_or_b64 s[0:1], s[0:1], s[38:39]
.LBB7_863:
	s_or_b64 exec, exec, s[28:29]
	s_andn2_b64 s[24:25], s[24:25], exec
	s_and_b64 s[28:29], s[34:35], exec
	s_andn2_b64 s[22:23], s[22:23], exec
	s_and_b64 s[0:1], s[0:1], exec
	s_or_b64 s[24:25], s[24:25], s[28:29]
	s_and_b64 s[34:35], s[40:41], exec
	s_and_b64 s[30:31], s[30:31], exec
	;; [unrolled: 1-line block ×3, first 2 shown]
	s_or_b64 s[22:23], s[22:23], s[0:1]
.LBB7_864:
	s_or_b64 exec, exec, s[26:27]
	s_andn2_b64 s[0:1], s[16:17], exec
	s_and_b64 s[16:17], s[24:25], exec
	s_andn2_b64 s[18:19], s[18:19], exec
	s_and_b64 s[22:23], s[22:23], exec
	s_or_b64 s[16:17], s[0:1], s[16:17]
	s_and_b64 s[0:1], s[34:35], exec
	s_and_b64 s[26:27], s[30:31], exec
	;; [unrolled: 1-line block ×3, first 2 shown]
	s_or_b64 s[18:19], s[18:19], s[22:23]
	s_or_b64 exec, exec, s[20:21]
	s_mov_b64 s[20:21], 0
	s_and_saveexec_b64 s[22:23], s[18:19]
	s_cbranch_execz .LBB7_264
.LBB7_865:
	s_mov_b64 s[20:21], exec
	s_andn2_b64 s[24:25], s[24:25], exec
	s_trap 2
                                        ; implicit-def: $vgpr2_vgpr3
	s_or_b64 exec, exec, s[22:23]
	s_and_saveexec_b64 s[18:19], s[24:25]
	s_xor_b64 s[18:19], exec, s[18:19]
	s_cbranch_execnz .LBB7_265
.LBB7_866:
	s_or_b64 exec, exec, s[18:19]
	s_and_saveexec_b64 s[18:19], s[26:27]
	s_cbranch_execz .LBB7_912
.LBB7_867:
	v_cmp_gt_i16_e32 vcc, 5, v17
	s_cbranch_vccnz .LBB7_872
; %bb.868:
	v_cmp_gt_i16_e32 vcc, 8, v17
	s_cbranch_vccnz .LBB7_873
; %bb.869:
	;; [unrolled: 3-line block ×3, first 2 shown]
	v_cmp_lt_i16_e32 vcc, 9, v17
	s_cbranch_vccz .LBB7_875
; %bb.871:
	global_load_dwordx2 v[2:3], v[0:1], off
	s_mov_b64 s[22:23], 0
	s_branch .LBB7_876
.LBB7_872:
                                        ; implicit-def: $vgpr2_vgpr3
	s_branch .LBB7_893
.LBB7_873:
                                        ; implicit-def: $vgpr2_vgpr3
	s_branch .LBB7_882
.LBB7_874:
	s_mov_b64 s[22:23], -1
                                        ; implicit-def: $vgpr2_vgpr3
	s_branch .LBB7_879
.LBB7_875:
	s_mov_b64 s[22:23], -1
                                        ; implicit-def: $vgpr2_vgpr3
.LBB7_876:
	s_andn2_b64 vcc, exec, s[22:23]
	s_cbranch_vccnz .LBB7_878
; %bb.877:
	global_load_dword v2, v[0:1], off
	s_waitcnt vmcnt(0)
	v_cvt_f64_f32_e32 v[2:3], v2
.LBB7_878:
	s_mov_b64 s[22:23], 0
.LBB7_879:
	s_andn2_b64 vcc, exec, s[22:23]
	s_cbranch_vccnz .LBB7_881
; %bb.880:
	global_load_dword v2, v[0:1], off
	s_waitcnt vmcnt(0)
	v_cvt_f32_f16_e32 v2, v2
	v_cvt_f64_f32_e32 v[2:3], v2
.LBB7_881:
	s_cbranch_execnz .LBB7_892
.LBB7_882:
	v_cmp_gt_i16_e32 vcc, 6, v17
	s_cbranch_vccnz .LBB7_885
; %bb.883:
	v_cmp_lt_i16_e32 vcc, 6, v17
	s_cbranch_vccz .LBB7_886
; %bb.884:
	global_load_dwordx2 v[2:3], v[0:1], off
	s_mov_b64 s[22:23], 0
	s_branch .LBB7_887
.LBB7_885:
	s_mov_b64 s[22:23], -1
                                        ; implicit-def: $vgpr2_vgpr3
	s_branch .LBB7_890
.LBB7_886:
	s_mov_b64 s[22:23], -1
                                        ; implicit-def: $vgpr2_vgpr3
.LBB7_887:
	s_andn2_b64 vcc, exec, s[22:23]
	s_cbranch_vccnz .LBB7_889
; %bb.888:
	global_load_dword v2, v[0:1], off
	s_waitcnt vmcnt(0)
	v_cvt_f64_f32_e32 v[2:3], v2
.LBB7_889:
	s_mov_b64 s[22:23], 0
.LBB7_890:
	s_andn2_b64 vcc, exec, s[22:23]
	s_cbranch_vccnz .LBB7_892
; %bb.891:
	global_load_ushort v2, v[0:1], off
	s_waitcnt vmcnt(0)
	v_cvt_f32_f16_e32 v2, v2
	v_cvt_f64_f32_e32 v[2:3], v2
.LBB7_892:
	s_cbranch_execnz .LBB7_911
.LBB7_893:
	v_cmp_gt_i16_e32 vcc, 2, v17
	s_cbranch_vccnz .LBB7_897
; %bb.894:
	v_cmp_gt_i16_e32 vcc, 3, v17
	s_cbranch_vccnz .LBB7_898
; %bb.895:
	v_cmp_lt_i16_e32 vcc, 3, v17
	s_cbranch_vccz .LBB7_899
; %bb.896:
	global_load_dwordx2 v[2:3], v[0:1], off
	s_mov_b64 s[22:23], 0
	s_waitcnt vmcnt(0)
	v_cvt_f64_i32_e32 v[4:5], v3
	v_cvt_f64_u32_e32 v[2:3], v2
	v_ldexp_f64 v[4:5], v[4:5], 32
	v_add_f64 v[2:3], v[4:5], v[2:3]
	s_branch .LBB7_900
.LBB7_897:
                                        ; implicit-def: $vgpr2_vgpr3
	s_branch .LBB7_906
.LBB7_898:
	s_mov_b64 s[22:23], -1
                                        ; implicit-def: $vgpr2_vgpr3
	s_branch .LBB7_903
.LBB7_899:
	s_mov_b64 s[22:23], -1
                                        ; implicit-def: $vgpr2_vgpr3
.LBB7_900:
	s_andn2_b64 vcc, exec, s[22:23]
	s_cbranch_vccnz .LBB7_902
; %bb.901:
	global_load_dword v2, v[0:1], off
	s_waitcnt vmcnt(0)
	v_cvt_f64_i32_e32 v[2:3], v2
.LBB7_902:
	s_mov_b64 s[22:23], 0
.LBB7_903:
	s_andn2_b64 vcc, exec, s[22:23]
	s_cbranch_vccnz .LBB7_905
; %bb.904:
	global_load_sshort v2, v[0:1], off
	s_waitcnt vmcnt(0)
	v_cvt_f64_i32_e32 v[2:3], v2
.LBB7_905:
	s_cbranch_execnz .LBB7_911
.LBB7_906:
	v_cmp_lt_i16_e32 vcc, 0, v17
	s_cbranch_vccz .LBB7_908
; %bb.907:
	global_load_sbyte v2, v[0:1], off
	s_mov_b64 s[22:23], 0
	s_waitcnt vmcnt(0)
	v_cvt_f64_i32_e32 v[2:3], v2
	s_branch .LBB7_909
.LBB7_908:
	s_mov_b64 s[22:23], -1
                                        ; implicit-def: $vgpr2_vgpr3
.LBB7_909:
	s_andn2_b64 vcc, exec, s[22:23]
	s_cbranch_vccnz .LBB7_911
; %bb.910:
	global_load_ubyte v0, v[0:1], off
	s_waitcnt vmcnt(0)
	v_cvt_f64_u32_e32 v[2:3], v0
.LBB7_911:
	s_or_b64 s[0:1], s[0:1], exec
.LBB7_912:
	s_or_b64 exec, exec, s[18:19]
	s_mov_b64 s[24:25], 0
	s_mov_b64 s[22:23], 0
                                        ; implicit-def: $vgpr6
                                        ; implicit-def: $vgpr4_vgpr5
                                        ; implicit-def: $vgpr0_vgpr1
	s_and_saveexec_b64 s[18:19], s[0:1]
	s_cbranch_execz .LBB7_989
; %bb.913:
	s_waitcnt vmcnt(0)
	v_cvt_f32_f64_e32 v0, v[2:3]
	s_mov_b32 s0, 0x7f800000
	v_cmp_nlg_f32_e64 s[22:23], |v0|, s0
	s_and_saveexec_b64 s[0:1], s[22:23]
	s_cbranch_execz .LBB7_915
; %bb.914:
	v_mov_b32_e32 v0, 0
	v_mov_b32_e32 v1, 1.0
	global_store_dword v0, v1, s[12:13]
.LBB7_915:
	s_or_b64 exec, exec, s[0:1]
	v_mov_b32_e32 v0, 0
	global_load_dword v7, v0, s[14:15]
	v_mul_lo_u32 v0, v16, s2
	v_mov_b32_e32 v4, 0xff
	v_mov_b32_e32 v1, s9
	v_ashrrev_i32_e32 v5, 31, v0
	v_and_b32_e32 v6, s33, v4
	v_add_co_u32_e32 v4, vcc, s8, v0
	v_addc_co_u32_e32 v5, vcc, v1, v5, vcc
	v_cmp_gt_i16_e32 vcc, 11, v6
	s_and_b64 vcc, exec, vcc
	s_waitcnt vmcnt(0)
	v_cvt_f64_f32_e32 v[0:1], v7
	v_mul_f64 v[0:1], v[2:3], v[0:1]
	v_cmp_eq_f32_e64 s[0:1], 1.0, v7
	v_cndmask_b32_e64 v1, v1, v3, s[0:1]
	v_cndmask_b32_e64 v0, v0, v2, s[0:1]
	s_cbranch_vccnz .LBB7_992
; %bb.916:
	v_cmp_lt_i16_e32 vcc, 25, v6
	s_mov_b64 s[24:25], -1
	s_mov_b64 s[0:1], s[16:17]
	s_cbranch_vccz .LBB7_949
; %bb.917:
	v_cmp_lt_i16_e32 vcc, 28, v6
	s_mov_b64 s[22:23], -1
	s_mov_b64 s[0:1], s[16:17]
	s_cbranch_vccz .LBB7_933
; %bb.918:
	v_cmp_lt_i16_e32 vcc, 43, v6
	s_mov_b64 s[0:1], s[16:17]
	s_cbranch_vccz .LBB7_929
; %bb.919:
	v_cmp_lt_i16_e32 vcc, 45, v6
	s_mov_b64 s[0:1], s[16:17]
	s_cbranch_vccz .LBB7_923
; %bb.920:
	v_cmp_eq_u16_e32 vcc, 46, v6
	s_mov_b64 s[0:1], -1
	s_cbranch_vccz .LBB7_922
; %bb.921:
	v_cvt_f32_f64_e32 v2, v[0:1]
	v_bfe_u32 v3, v2, 16, 1
	s_movk_i32 s0, 0x7fff
	v_add3_u32 v3, v2, v3, s0
	v_lshrrev_b32_e32 v3, 16, v3
	v_mov_b32_e32 v7, 0x7fc0
	v_cmp_o_f32_e32 vcc, v2, v2
	v_cndmask_b32_e32 v2, v7, v3, vcc
	global_store_dword v[4:5], v2, off
	s_mov_b64 s[0:1], 0
.LBB7_922:
	s_mov_b64 s[22:23], 0
.LBB7_923:
	s_and_b64 vcc, exec, s[22:23]
	s_cbranch_vccz .LBB7_928
; %bb.924:
	v_cmp_eq_u16_e32 vcc, 44, v6
	s_mov_b64 s[0:1], -1
	s_cbranch_vccz .LBB7_928
; %bb.925:
	v_cvt_f32_f64_e32 v2, v[0:1]
	v_bfe_u32 v3, v2, 23, 8
	s_movk_i32 s0, 0xff
	v_cmp_ne_u32_e32 vcc, s0, v3
	v_mov_b32_e32 v7, 0xff
	s_and_saveexec_b64 s[22:23], vcc
; %bb.926:
	s_mov_b32 s0, 0x3fffff
	v_lshrrev_b32_e32 v7, 23, v2
	v_and_b32_e32 v8, 0x400000, v2
	v_and_or_b32 v2, v2, s0, v3
	v_cmp_ne_u32_e32 vcc, 0, v8
	v_cmp_ne_u32_e64 s[0:1], 0, v2
	s_and_b64 s[0:1], vcc, s[0:1]
	v_cndmask_b32_e64 v2, 0, 1, s[0:1]
	v_add_u32_e32 v7, v7, v2
; %bb.927:
	s_or_b64 exec, exec, s[22:23]
	s_mov_b64 s[0:1], 0
	global_store_byte v[4:5], v7, off
.LBB7_928:
	s_mov_b64 s[22:23], 0
.LBB7_929:
	s_and_b64 vcc, exec, s[22:23]
	s_cbranch_vccz .LBB7_932
; %bb.930:
	v_cmp_eq_u16_e32 vcc, 29, v6
	s_mov_b64 s[0:1], -1
	s_cbranch_vccz .LBB7_932
; %bb.931:
	v_trunc_f64_e32 v[2:3], v[0:1]
	s_movk_i32 s0, 0xffe0
	v_ldexp_f64 v[8:9], v[2:3], s0
	v_floor_f64_e32 v[8:9], v[8:9]
	v_fmac_f64_e32 v[2:3], 0xc1f00000, v[8:9]
	v_cvt_u32_f64_e32 v11, v[8:9]
	v_cvt_u32_f64_e32 v10, v[2:3]
	global_store_dwordx2 v[4:5], v[10:11], off
	s_mov_b64 s[0:1], 0
.LBB7_932:
	s_mov_b64 s[22:23], 0
.LBB7_933:
	s_and_b64 vcc, exec, s[22:23]
	s_cbranch_vccz .LBB7_948
; %bb.934:
	v_cmp_gt_i16_e32 vcc, 27, v6
	s_mov_b64 s[22:23], -1
	s_cbranch_vccnz .LBB7_940
; %bb.935:
	v_cmp_lt_i16_e32 vcc, 27, v6
	v_cvt_u32_f64_e32 v2, v[0:1]
	s_cbranch_vccz .LBB7_937
; %bb.936:
	s_mov_b64 s[22:23], 0
	global_store_dword v[4:5], v2, off
.LBB7_937:
	s_andn2_b64 vcc, exec, s[22:23]
	s_cbranch_vccnz .LBB7_939
; %bb.938:
	global_store_short v[4:5], v2, off
.LBB7_939:
	s_mov_b64 s[22:23], 0
.LBB7_940:
	s_andn2_b64 vcc, exec, s[22:23]
	s_cbranch_vccnz .LBB7_948
; %bb.941:
	v_cvt_f32_f64_e32 v2, v[0:1]
	v_and_b32_e32 v3, 0x7fffffff, v2
	s_mov_b32 s22, 0x43800000
	v_cmp_gt_u32_e32 vcc, s22, v3
	v_mov_b32_e32 v7, 0x80
	s_and_saveexec_b64 s[22:23], vcc
	s_cbranch_execz .LBB7_947
; %bb.942:
	s_mov_b32 s24, 0x3bffffff
	v_cmp_lt_u32_e32 vcc, s24, v3
	s_mov_b64 s[24:25], 0
                                        ; implicit-def: $vgpr3
	s_and_saveexec_b64 s[26:27], vcc
	s_xor_b64 s[26:27], exec, s[26:27]
	s_cbranch_execz .LBB7_1049
; %bb.943:
	v_bfe_u32 v3, v2, 20, 1
	s_mov_b32 s28, 0x487ffff
	v_add3_u32 v3, v2, v3, s28
	s_mov_b64 s[24:25], exec
	v_lshrrev_b32_e32 v3, 20, v3
	s_or_saveexec_b64 s[26:27], s[26:27]
                                        ; implicit-def: $sgpr28
	s_xor_b64 exec, exec, s[26:27]
	s_cbranch_execnz .LBB7_1050
.LBB7_944:
	s_or_b64 exec, exec, s[26:27]
	v_mov_b32_e32 v7, s28
	s_and_saveexec_b64 s[26:27], s[24:25]
.LBB7_945:
	v_lshrrev_b32_e32 v2, 24, v2
	s_movk_i32 s24, 0x80
	v_and_or_b32 v7, v2, s24, v3
.LBB7_946:
	s_or_b64 exec, exec, s[26:27]
.LBB7_947:
	s_or_b64 exec, exec, s[22:23]
	global_store_byte v[4:5], v7, off
.LBB7_948:
	s_mov_b64 s[24:25], 0
.LBB7_949:
	s_mov_b64 s[22:23], 0
	s_and_b64 vcc, exec, s[24:25]
	s_cbranch_vccz .LBB7_993
; %bb.950:
	v_cmp_lt_i16_e32 vcc, 22, v6
	s_mov_b64 s[24:25], -1
	s_cbranch_vccz .LBB7_982
; %bb.951:
	v_cmp_gt_i16_e32 vcc, 24, v6
	s_cbranch_vccnz .LBB7_971
; %bb.952:
	v_cmp_lt_i16_e32 vcc, 24, v6
	s_cbranch_vccz .LBB7_960
; %bb.953:
	v_cvt_f32_f64_e32 v2, v[0:1]
	v_and_b32_e32 v3, 0x7fffffff, v2
	s_mov_b32 s24, 0x47800000
	v_cmp_gt_u32_e32 vcc, s24, v3
	v_mov_b32_e32 v7, 0x80
	s_and_saveexec_b64 s[24:25], vcc
	s_cbranch_execz .LBB7_959
; %bb.954:
	s_mov_b32 s26, 0x37ffffff
	v_cmp_lt_u32_e32 vcc, s26, v3
	s_mov_b64 s[26:27], 0
                                        ; implicit-def: $vgpr3
	s_and_saveexec_b64 s[28:29], vcc
	s_xor_b64 s[28:29], exec, s[28:29]
	s_cbranch_execz .LBB7_1176
; %bb.955:
	v_bfe_u32 v3, v2, 21, 1
	s_mov_b32 s30, 0x88fffff
	v_add3_u32 v3, v2, v3, s30
	s_mov_b64 s[26:27], exec
	v_lshrrev_b32_e32 v3, 21, v3
	s_or_saveexec_b64 s[28:29], s[28:29]
                                        ; implicit-def: $sgpr30
	s_xor_b64 exec, exec, s[28:29]
	s_cbranch_execnz .LBB7_1177
.LBB7_956:
	s_or_b64 exec, exec, s[28:29]
	v_mov_b32_e32 v7, s30
	s_and_saveexec_b64 s[28:29], s[26:27]
.LBB7_957:
	v_lshrrev_b32_e32 v2, 24, v2
	s_movk_i32 s26, 0x80
	v_and_or_b32 v7, v2, s26, v3
.LBB7_958:
	s_or_b64 exec, exec, s[28:29]
.LBB7_959:
	s_or_b64 exec, exec, s[24:25]
	s_mov_b64 s[24:25], 0
	global_store_byte v[4:5], v7, off
.LBB7_960:
	s_and_b64 vcc, exec, s[24:25]
	s_cbranch_vccz .LBB7_970
; %bb.961:
	v_cvt_f32_f64_e32 v2, v[0:1]
	v_and_b32_e32 v7, 0x7fffffff, v2
	s_mov_b32 s24, 0x43f00000
	v_cmp_gt_u32_e32 vcc, s24, v7
                                        ; implicit-def: $vgpr3
	s_and_saveexec_b64 s[24:25], vcc
	s_xor_b64 s[24:25], exec, s[24:25]
	s_cbranch_execz .LBB7_967
; %bb.962:
	s_mov_b32 s26, 0x3c7fffff
	v_cmp_lt_u32_e32 vcc, s26, v7
                                        ; implicit-def: $vgpr3
	s_and_saveexec_b64 s[26:27], vcc
	s_xor_b64 s[26:27], exec, s[26:27]
; %bb.963:
	v_bfe_u32 v3, v2, 20, 1
	s_mov_b32 s28, 0x407ffff
	v_add3_u32 v3, v2, v3, s28
	v_lshrrev_b32_e32 v7, 20, v3
	v_and_b32_e32 v3, 0xff00000, v3
	s_mov_b32 s28, 0x7f00000
	v_mov_b32_e32 v8, 0x7e
	v_cmp_ne_u32_e32 vcc, s28, v3
	v_cndmask_b32_e32 v3, v8, v7, vcc
; %bb.964:
	s_andn2_saveexec_b64 s[26:27], s[26:27]
; %bb.965:
	s_mov_b32 s28, 0x46800000
	v_add_f32_e64 v3, |v2|, s28
; %bb.966:
	s_or_b64 exec, exec, s[26:27]
                                        ; implicit-def: $vgpr7
.LBB7_967:
	s_andn2_saveexec_b64 s[24:25], s[24:25]
; %bb.968:
	s_mov_b32 s26, 0x7f800000
	v_mov_b32_e32 v3, 0x7e
	v_mov_b32_e32 v8, 0x7f
	v_cmp_lt_u32_e32 vcc, s26, v7
	v_cndmask_b32_e32 v3, v3, v8, vcc
; %bb.969:
	s_or_b64 exec, exec, s[24:25]
	v_lshrrev_b32_e32 v2, 24, v2
	s_movk_i32 s24, 0x80
	v_and_or_b32 v2, v2, s24, v3
	global_store_byte v[4:5], v2, off
.LBB7_970:
	s_mov_b64 s[24:25], 0
.LBB7_971:
	s_andn2_b64 vcc, exec, s[24:25]
	s_cbranch_vccnz .LBB7_981
; %bb.972:
	v_cvt_f32_f64_e32 v2, v[0:1]
	v_and_b32_e32 v7, 0x7fffffff, v2
	s_mov_b32 s24, 0x47800000
	v_cmp_gt_u32_e32 vcc, s24, v7
                                        ; implicit-def: $vgpr3
	s_and_saveexec_b64 s[24:25], vcc
	s_xor_b64 s[24:25], exec, s[24:25]
	s_cbranch_execz .LBB7_978
; %bb.973:
	s_mov_b32 s26, 0x387fffff
	v_cmp_lt_u32_e32 vcc, s26, v7
                                        ; implicit-def: $vgpr3
	s_and_saveexec_b64 s[26:27], vcc
	s_xor_b64 s[26:27], exec, s[26:27]
; %bb.974:
	v_bfe_u32 v3, v2, 21, 1
	s_mov_b32 s28, 0x80fffff
	v_add3_u32 v3, v2, v3, s28
	v_lshrrev_b32_e32 v3, 21, v3
; %bb.975:
	s_andn2_saveexec_b64 s[26:27], s[26:27]
; %bb.976:
	s_mov_b32 s28, 0x43000000
	v_add_f32_e64 v3, |v2|, s28
; %bb.977:
	s_or_b64 exec, exec, s[26:27]
                                        ; implicit-def: $vgpr7
.LBB7_978:
	s_andn2_saveexec_b64 s[24:25], s[24:25]
; %bb.979:
	s_mov_b32 s26, 0x7f800000
	v_mov_b32_e32 v3, 0x7c
	v_mov_b32_e32 v8, 0x7f
	v_cmp_lt_u32_e32 vcc, s26, v7
	v_cndmask_b32_e32 v3, v3, v8, vcc
; %bb.980:
	s_or_b64 exec, exec, s[24:25]
	v_lshrrev_b32_e32 v2, 24, v2
	s_movk_i32 s24, 0x80
	v_and_or_b32 v2, v2, s24, v3
	global_store_byte v[4:5], v2, off
.LBB7_981:
	s_mov_b64 s[24:25], 0
.LBB7_982:
	s_andn2_b64 vcc, exec, s[24:25]
	s_mov_b64 s[24:25], 0
	s_cbranch_vccnz .LBB7_994
; %bb.983:
	v_cmp_lt_i16_e32 vcc, 14, v6
	s_mov_b64 s[26:27], -1
	s_cbranch_vccz .LBB7_987
; %bb.984:
	v_cmp_eq_u16_e32 vcc, 15, v6
	s_mov_b64 s[0:1], -1
	s_cbranch_vccz .LBB7_986
; %bb.985:
	v_cvt_f32_f64_e32 v2, v[0:1]
	v_bfe_u32 v3, v2, 16, 1
	s_movk_i32 s0, 0x7fff
	v_add3_u32 v3, v2, v3, s0
	v_lshrrev_b32_e32 v3, 16, v3
	v_mov_b32_e32 v7, 0x7fc0
	v_cmp_o_f32_e32 vcc, v2, v2
	v_cndmask_b32_e32 v2, v7, v3, vcc
	global_store_short v[4:5], v2, off
	s_mov_b64 s[0:1], 0
.LBB7_986:
	s_mov_b64 s[26:27], 0
.LBB7_987:
	s_and_b64 vcc, exec, s[26:27]
	s_cbranch_vccz .LBB7_994
; %bb.988:
	v_cmp_ne_u16_e32 vcc, 11, v6
	s_andn2_b64 s[0:1], s[0:1], exec
	s_and_b64 s[26:27], vcc, exec
	s_mov_b64 s[24:25], -1
	s_or_b64 s[0:1], s[0:1], s[26:27]
	s_branch .LBB7_994
.LBB7_989:
	s_or_b64 exec, exec, s[18:19]
	s_and_saveexec_b64 s[0:1], s[16:17]
	s_cbranch_execnz .LBB7_995
.LBB7_990:
	s_or_b64 exec, exec, s[0:1]
	s_and_saveexec_b64 s[0:1], s[24:25]
	s_xor_b64 s[0:1], exec, s[0:1]
	s_cbranch_execz .LBB7_996
.LBB7_991:
	v_cmp_neq_f64_e32 vcc, 0, v[0:1]
	s_waitcnt vmcnt(0)
	v_cndmask_b32_e64 v2, 0, 1, vcc
	global_store_byte v[4:5], v2, off
	s_or_b64 exec, exec, s[0:1]
	s_and_saveexec_b64 s[0:1], s[22:23]
	s_xor_b64 s[0:1], exec, s[0:1]
	s_cbranch_execz .LBB7_1034
	s_branch .LBB7_997
.LBB7_992:
	s_mov_b64 s[22:23], -1
	s_mov_b64 s[0:1], s[16:17]
	s_branch .LBB7_994
.LBB7_993:
	s_mov_b64 s[24:25], 0
.LBB7_994:
	s_andn2_b64 s[16:17], s[16:17], exec
	s_and_b64 s[0:1], s[0:1], exec
	s_and_b64 s[22:23], s[22:23], exec
	;; [unrolled: 1-line block ×3, first 2 shown]
	s_or_b64 s[16:17], s[16:17], s[0:1]
	s_or_b64 exec, exec, s[18:19]
	s_and_saveexec_b64 s[0:1], s[16:17]
	s_cbranch_execz .LBB7_990
.LBB7_995:
	s_or_b64 s[20:21], s[20:21], exec
	s_andn2_b64 s[24:25], s[24:25], exec
	s_trap 2
	s_or_b64 exec, exec, s[0:1]
	s_and_saveexec_b64 s[0:1], s[24:25]
	s_xor_b64 s[0:1], exec, s[0:1]
	s_cbranch_execnz .LBB7_991
.LBB7_996:
	s_or_b64 exec, exec, s[0:1]
	s_and_saveexec_b64 s[0:1], s[22:23]
	s_xor_b64 s[0:1], exec, s[0:1]
	s_cbranch_execz .LBB7_1034
.LBB7_997:
	v_cmp_gt_i16_e32 vcc, 5, v6
	s_mov_b64 s[16:17], -1
	s_cbranch_vccnz .LBB7_1018
; %bb.998:
	v_cmp_gt_i16_e32 vcc, 8, v6
	s_cbranch_vccnz .LBB7_1008
; %bb.999:
	v_cmp_gt_i16_e32 vcc, 9, v6
	s_cbranch_vccnz .LBB7_1005
; %bb.1000:
	v_cmp_lt_i16_e32 vcc, 9, v6
	s_cbranch_vccz .LBB7_1002
; %bb.1001:
	s_waitcnt vmcnt(0)
	v_mov_b32_e32 v2, 0
	v_mov_b32_e32 v3, v2
	s_mov_b64 s[16:17], 0
	global_store_dwordx4 v[4:5], v[0:3], off
.LBB7_1002:
	s_andn2_b64 vcc, exec, s[16:17]
	s_cbranch_vccnz .LBB7_1004
; %bb.1003:
	s_waitcnt vmcnt(0)
	v_cvt_f32_f64_e32 v2, v[0:1]
	v_mov_b32_e32 v3, 0
	global_store_dwordx2 v[4:5], v[2:3], off
.LBB7_1004:
	s_mov_b64 s[16:17], 0
.LBB7_1005:
	s_andn2_b64 vcc, exec, s[16:17]
	s_cbranch_vccnz .LBB7_1007
; %bb.1006:
	s_waitcnt vmcnt(0)
	v_cvt_f32_f64_e32 v2, v[0:1]
	v_cvt_f16_f32_e32 v2, v2
	global_store_dword v[4:5], v2, off
.LBB7_1007:
	s_mov_b64 s[16:17], 0
.LBB7_1008:
	s_andn2_b64 vcc, exec, s[16:17]
	s_cbranch_vccnz .LBB7_1017
; %bb.1009:
	v_cmp_gt_i16_e32 vcc, 6, v6
	s_mov_b64 s[16:17], -1
	s_cbranch_vccnz .LBB7_1015
; %bb.1010:
	v_cmp_lt_i16_e32 vcc, 6, v6
	s_cbranch_vccz .LBB7_1012
; %bb.1011:
	s_mov_b64 s[16:17], 0
	global_store_dwordx2 v[4:5], v[0:1], off
.LBB7_1012:
	s_andn2_b64 vcc, exec, s[16:17]
	s_cbranch_vccnz .LBB7_1014
; %bb.1013:
	s_waitcnt vmcnt(0)
	v_cvt_f32_f64_e32 v2, v[0:1]
	global_store_dword v[4:5], v2, off
.LBB7_1014:
	s_mov_b64 s[16:17], 0
.LBB7_1015:
	s_andn2_b64 vcc, exec, s[16:17]
	s_cbranch_vccnz .LBB7_1017
; %bb.1016:
	s_waitcnt vmcnt(0)
	v_cvt_f32_f64_e32 v2, v[0:1]
	v_cvt_f16_f32_e32 v2, v2
	global_store_short v[4:5], v2, off
.LBB7_1017:
	s_mov_b64 s[16:17], 0
.LBB7_1018:
	s_andn2_b64 vcc, exec, s[16:17]
	s_cbranch_vccnz .LBB7_1034
; %bb.1019:
	v_cmp_gt_i16_e32 vcc, 2, v6
	s_mov_b64 s[16:17], -1
	s_cbranch_vccnz .LBB7_1029
; %bb.1020:
	v_cmp_gt_i16_e32 vcc, 3, v6
	s_cbranch_vccnz .LBB7_1026
; %bb.1021:
	v_cmp_lt_i16_e32 vcc, 3, v6
	s_cbranch_vccz .LBB7_1023
; %bb.1022:
	s_waitcnt vmcnt(0)
	v_trunc_f64_e32 v[2:3], v[0:1]
	s_movk_i32 s16, 0xffe0
	v_ldexp_f64 v[8:9], v[2:3], s16
	v_floor_f64_e32 v[8:9], v[8:9]
	v_fmac_f64_e32 v[2:3], 0xc1f00000, v[8:9]
	v_cvt_i32_f64_e32 v11, v[8:9]
	v_cvt_u32_f64_e32 v10, v[2:3]
	s_mov_b64 s[16:17], 0
	global_store_dwordx2 v[4:5], v[10:11], off
.LBB7_1023:
	s_andn2_b64 vcc, exec, s[16:17]
	s_cbranch_vccnz .LBB7_1025
; %bb.1024:
	s_waitcnt vmcnt(0)
	v_cvt_i32_f64_e32 v2, v[0:1]
	global_store_dword v[4:5], v2, off
.LBB7_1025:
	s_mov_b64 s[16:17], 0
.LBB7_1026:
	s_andn2_b64 vcc, exec, s[16:17]
	s_cbranch_vccnz .LBB7_1028
; %bb.1027:
	s_waitcnt vmcnt(0)
	v_cvt_i32_f64_e32 v2, v[0:1]
	global_store_short v[4:5], v2, off
.LBB7_1028:
	s_mov_b64 s[16:17], 0
.LBB7_1029:
	s_andn2_b64 vcc, exec, s[16:17]
	s_cbranch_vccnz .LBB7_1034
; %bb.1030:
	v_cmp_lt_i16_e32 vcc, 0, v6
	s_mov_b64 s[16:17], -1
	s_cbranch_vccz .LBB7_1032
; %bb.1031:
	s_waitcnt vmcnt(0)
	v_cvt_i32_f64_e32 v2, v[0:1]
	s_mov_b64 s[16:17], 0
	global_store_byte v[4:5], v2, off
.LBB7_1032:
	s_andn2_b64 vcc, exec, s[16:17]
	s_cbranch_vccnz .LBB7_1034
; %bb.1033:
	v_trunc_f64_e32 v[0:1], v[0:1]
	s_movk_i32 s16, 0xffe0
	s_waitcnt vmcnt(0)
	v_ldexp_f64 v[2:3], v[0:1], s16
	v_floor_f64_e32 v[2:3], v[2:3]
	v_fmac_f64_e32 v[0:1], 0xc1f00000, v[2:3]
	v_cvt_u32_f64_e32 v0, v[0:1]
	global_store_byte v[4:5], v0, off
.LBB7_1034:
	s_or_b64 exec, exec, s[0:1]
	s_and_b64 s[16:17], s[20:21], exec
                                        ; implicit-def: $vgpr16
                                        ; implicit-def: $vgpr17
.LBB7_1035:
	s_or_saveexec_b64 s[6:7], s[6:7]
	s_mov_b64 s[0:1], 0
                                        ; implicit-def: $vgpr6
                                        ; implicit-def: $vgpr4_vgpr5
                                        ; implicit-def: $vgpr0_vgpr1
	s_xor_b64 exec, exec, s[6:7]
	s_cbranch_execz .LBB7_2011
; %bb.1036:
	v_mul_lo_u32 v4, s3, v16
	v_ashrrev_i32_e32 v0, 31, v4
	v_mov_b32_e32 v1, s11
	s_waitcnt vmcnt(0)
	v_add_co_u32_e32 v2, vcc, s10, v4
	v_addc_co_u32_e32 v3, vcc, v1, v0, vcc
	v_cmp_gt_i16_e64 s[0:1], 11, v17
	s_and_b64 vcc, exec, s[0:1]
	s_cbranch_vccnz .LBB7_1043
; %bb.1037:
	v_cmp_lt_i16_e32 vcc, 25, v17
	s_mov_b64 s[20:21], 0
	s_cbranch_vccz .LBB7_1045
; %bb.1038:
	v_cmp_lt_i16_e32 vcc, 28, v17
	s_cbranch_vccz .LBB7_1046
; %bb.1039:
	v_cmp_lt_i16_e32 vcc, 43, v17
	s_cbranch_vccz .LBB7_1047
; %bb.1040:
	v_cmp_lt_i16_e32 vcc, 45, v17
	s_cbranch_vccz .LBB7_1048
; %bb.1041:
	v_cmp_eq_u16_e32 vcc, 46, v17
	s_mov_b64 s[18:19], 0
	s_cbranch_vccz .LBB7_1051
; %bb.1042:
	global_load_dword v0, v[2:3], off
	s_mov_b64 s[22:23], -1
	s_waitcnt vmcnt(0)
	v_lshlrev_b32_e32 v0, 16, v0
	v_cvt_f64_f32_e32 v[0:1], v0
	s_branch .LBB7_1052
.LBB7_1043:
	s_mov_b64 s[22:23], 0
                                        ; implicit-def: $vgpr0_vgpr1
	s_mov_b64 s[18:19], s[16:17]
	s_cbranch_execnz .LBB7_1115
.LBB7_1044:
	s_andn2_b64 vcc, exec, s[22:23]
                                        ; implicit-def: $vgpr2_vgpr3
	s_cbranch_vccz .LBB7_1160
	s_branch .LBB7_2009
.LBB7_1045:
	s_mov_b64 s[22:23], 0
                                        ; implicit-def: $vgpr0_vgpr1
	s_cbranch_execnz .LBB7_1080
	s_branch .LBB7_1111
.LBB7_1046:
	s_mov_b64 s[18:19], -1
	s_mov_b64 s[22:23], 0
                                        ; implicit-def: $vgpr0_vgpr1
	s_branch .LBB7_1061
.LBB7_1047:
	s_mov_b64 s[22:23], 0
                                        ; implicit-def: $vgpr0_vgpr1
	s_cbranch_execnz .LBB7_1057
	s_branch .LBB7_1060
.LBB7_1048:
	s_mov_b64 s[18:19], -1
	s_mov_b64 s[22:23], 0
                                        ; implicit-def: $vgpr0_vgpr1
	s_branch .LBB7_1052
.LBB7_1049:
	s_or_saveexec_b64 s[26:27], s[26:27]
                                        ; implicit-def: $sgpr28
	s_xor_b64 exec, exec, s[26:27]
	s_cbranch_execz .LBB7_944
.LBB7_1050:
	s_mov_b32 s28, 0x46000000
	v_add_f32_e64 v3, |v2|, s28
	v_and_b32_e32 v3, 0xff, v3
	v_cmp_ne_u32_e32 vcc, 0, v3
	s_andn2_b64 s[24:25], s[24:25], exec
	s_and_b64 s[30:31], vcc, exec
	s_mov_b32 s28, 0
	s_or_b64 s[24:25], s[24:25], s[30:31]
	s_or_b64 exec, exec, s[26:27]
	v_mov_b32_e32 v7, s28
	s_and_saveexec_b64 s[26:27], s[24:25]
	s_cbranch_execnz .LBB7_945
	s_branch .LBB7_946
.LBB7_1051:
	s_mov_b64 s[4:5], -1
                                        ; implicit-def: $vgpr0_vgpr1
	s_mov_b64 s[22:23], 0
.LBB7_1052:
	s_and_b64 vcc, exec, s[18:19]
	s_cbranch_vccz .LBB7_1055
; %bb.1053:
	v_cmp_eq_u16_e32 vcc, 44, v17
	s_cbranch_vccz .LBB7_1056
; %bb.1054:
	global_load_ubyte v5, v[2:3], off
	s_movk_i32 s18, 0xff
	v_bfrev_b32_e32 v6, 4
	v_mov_b32_e32 v7, 0x7ff80000
	v_bfrev_b32_e32 v8, 28
	s_mov_b64 s[4:5], 0
	s_mov_b64 s[22:23], -1
	s_waitcnt vmcnt(0)
	v_lshlrev_b32_e32 v0, 23, v5
	v_cvt_f64_f32_e32 v[0:1], v0
	v_cmp_ne_u32_e32 vcc, s18, v5
	v_cndmask_b32_e32 v0, v6, v0, vcc
	v_cndmask_b32_e32 v1, v7, v1, vcc
	v_cmp_ne_u32_e32 vcc, 0, v5
	v_cndmask_b32_e32 v1, v8, v1, vcc
	v_cndmask_b32_e32 v0, 0, v0, vcc
.LBB7_1055:
	s_branch .LBB7_1060
.LBB7_1056:
	s_mov_b64 s[4:5], -1
                                        ; implicit-def: $vgpr0_vgpr1
	s_branch .LBB7_1060
.LBB7_1057:
	v_cmp_eq_u16_e32 vcc, 29, v17
	s_cbranch_vccz .LBB7_1059
; %bb.1058:
	global_load_dwordx2 v[0:1], v[2:3], off
	s_mov_b64 s[4:5], 0
	s_mov_b64 s[22:23], -1
	s_mov_b64 s[18:19], 0
	s_waitcnt vmcnt(0)
	v_cvt_f64_u32_e32 v[6:7], v1
	v_cvt_f64_u32_e32 v[0:1], v0
	v_ldexp_f64 v[6:7], v[6:7], 32
	v_add_f64 v[0:1], v[6:7], v[0:1]
	s_branch .LBB7_1061
.LBB7_1059:
	s_mov_b64 s[4:5], -1
                                        ; implicit-def: $vgpr0_vgpr1
.LBB7_1060:
	s_mov_b64 s[18:19], 0
.LBB7_1061:
	s_and_b64 vcc, exec, s[18:19]
	s_cbranch_vccz .LBB7_1079
; %bb.1062:
	v_cmp_gt_i16_e32 vcc, 27, v17
	s_cbranch_vccnz .LBB7_1065
; %bb.1063:
	v_cmp_lt_i16_e32 vcc, 27, v17
	s_cbranch_vccz .LBB7_1066
; %bb.1064:
	global_load_dword v0, v[2:3], off
	s_mov_b64 s[18:19], 0
	s_waitcnt vmcnt(0)
	v_cvt_f64_u32_e32 v[0:1], v0
	s_branch .LBB7_1067
.LBB7_1065:
	s_mov_b64 s[18:19], -1
                                        ; implicit-def: $vgpr0_vgpr1
	s_branch .LBB7_1070
.LBB7_1066:
	s_mov_b64 s[18:19], -1
                                        ; implicit-def: $vgpr0_vgpr1
.LBB7_1067:
	s_andn2_b64 vcc, exec, s[18:19]
	s_cbranch_vccnz .LBB7_1069
; %bb.1068:
	global_load_ushort v0, v[2:3], off
	s_waitcnt vmcnt(0)
	v_cvt_f64_u32_e32 v[0:1], v0
.LBB7_1069:
	s_mov_b64 s[18:19], 0
.LBB7_1070:
	s_andn2_b64 vcc, exec, s[18:19]
	s_cbranch_vccnz .LBB7_1078
; %bb.1071:
	global_load_ubyte v5, v[2:3], off
	s_movk_i32 s18, 0x7f
                                        ; implicit-def: $sgpr22_sgpr23
	s_waitcnt vmcnt(0)
	v_cmp_lt_i16_e32 vcc, s18, v5
	s_mov_b64 s[18:19], 0
	s_and_saveexec_b64 s[24:25], vcc
	s_xor_b64 s[24:25], exec, s[24:25]
	s_cbranch_execz .LBB7_1091
; %bb.1072:
	s_movk_i32 s18, 0x80
	v_cmp_eq_u16_e32 vcc, s18, v5
	s_mov_b64 s[26:27], -1
                                        ; implicit-def: $sgpr22_sgpr23
	s_and_saveexec_b64 s[18:19], vcc
; %bb.1073:
	s_mov_b32 s23, 0x7ff80000
	s_brev_b32 s22, 4
	s_xor_b64 s[26:27], exec, -1
; %bb.1074:
	s_or_b64 exec, exec, s[18:19]
	s_and_b64 s[18:19], s[26:27], exec
	s_or_saveexec_b64 s[24:25], s[24:25]
	v_pk_mov_b32 v[0:1], s[22:23], s[22:23] op_sel:[0,1]
	s_xor_b64 exec, exec, s[24:25]
	s_cbranch_execnz .LBB7_1092
.LBB7_1075:
	s_or_b64 exec, exec, s[24:25]
	s_and_saveexec_b64 s[22:23], s[18:19]
	s_cbranch_execz .LBB7_1077
.LBB7_1076:
	v_and_b32_e32 v1, 0xffff, v5
	v_lshlrev_b32_e32 v0, 24, v5
	v_and_b32_e32 v5, 7, v1
	v_ffbh_u32_e32 v7, v5
	v_min_u32_e32 v7, 32, v7
	v_subrev_u32_e32 v8, 28, v7
	v_bfe_u32 v6, v1, 3, 4
	v_lshlrev_b32_e32 v1, v8, v1
	v_sub_u32_e32 v7, 29, v7
	v_and_b32_e32 v1, 7, v1
	v_cmp_eq_u32_e32 vcc, 0, v6
	v_cndmask_b32_e32 v6, v6, v7, vcc
	v_cndmask_b32_e32 v1, v5, v1, vcc
	v_mov_b32_e32 v5, 0x3b800000
	v_lshlrev_b32_e32 v1, 20, v1
	v_and_b32_e32 v0, 0x80000000, v0
	v_lshl_add_u32 v5, v6, 23, v5
	v_or3_b32 v0, v0, v5, v1
	v_cvt_f64_f32_e32 v[0:1], v0
.LBB7_1077:
	s_or_b64 exec, exec, s[22:23]
.LBB7_1078:
	s_mov_b64 s[22:23], -1
.LBB7_1079:
	s_branch .LBB7_1111
.LBB7_1080:
	v_cmp_lt_i16_e32 vcc, 22, v17
	s_cbranch_vccz .LBB7_1090
; %bb.1081:
	v_cmp_gt_i16_e32 vcc, 24, v17
	s_cbranch_vccnz .LBB7_1093
; %bb.1082:
	v_cmp_lt_i16_e32 vcc, 24, v17
	s_cbranch_vccz .LBB7_1094
; %bb.1083:
	global_load_ubyte v5, v[2:3], off
	s_movk_i32 s18, 0x7f
                                        ; implicit-def: $sgpr20_sgpr21
	s_waitcnt vmcnt(0)
	v_cmp_lt_i16_e32 vcc, s18, v5
	s_mov_b64 s[18:19], 0
	s_and_saveexec_b64 s[22:23], vcc
	s_xor_b64 s[22:23], exec, s[22:23]
	s_cbranch_execz .LBB7_1105
; %bb.1084:
	s_movk_i32 s18, 0x80
	v_cmp_eq_u16_e32 vcc, s18, v5
	s_mov_b64 s[24:25], -1
                                        ; implicit-def: $sgpr20_sgpr21
	s_and_saveexec_b64 s[18:19], vcc
; %bb.1085:
	s_mov_b32 s21, 0x7ff80000
	s_brev_b32 s20, 4
	s_xor_b64 s[24:25], exec, -1
; %bb.1086:
	s_or_b64 exec, exec, s[18:19]
	s_and_b64 s[18:19], s[24:25], exec
	s_or_saveexec_b64 s[22:23], s[22:23]
	v_pk_mov_b32 v[0:1], s[20:21], s[20:21] op_sel:[0,1]
	s_xor_b64 exec, exec, s[22:23]
	s_cbranch_execnz .LBB7_1106
.LBB7_1087:
	s_or_b64 exec, exec, s[22:23]
	s_and_saveexec_b64 s[20:21], s[18:19]
	s_cbranch_execz .LBB7_1089
.LBB7_1088:
	v_and_b32_e32 v1, 0xffff, v5
	v_lshlrev_b32_e32 v0, 24, v5
	v_and_b32_e32 v5, 3, v1
	v_ffbh_u32_e32 v7, v5
	v_min_u32_e32 v7, 32, v7
	v_subrev_u32_e32 v8, 29, v7
	v_bfe_u32 v6, v1, 2, 5
	v_lshlrev_b32_e32 v1, v8, v1
	v_sub_u32_e32 v7, 30, v7
	v_and_b32_e32 v1, 3, v1
	v_cmp_eq_u32_e32 vcc, 0, v6
	v_cndmask_b32_e32 v6, v6, v7, vcc
	v_cndmask_b32_e32 v1, v5, v1, vcc
	v_mov_b32_e32 v5, 0x37800000
	v_lshlrev_b32_e32 v1, 21, v1
	v_and_b32_e32 v0, 0x80000000, v0
	v_lshl_add_u32 v5, v6, 23, v5
	v_or3_b32 v0, v0, v5, v1
	v_cvt_f64_f32_e32 v[0:1], v0
.LBB7_1089:
	s_or_b64 exec, exec, s[20:21]
	s_mov_b64 s[18:19], 0
	s_branch .LBB7_1095
.LBB7_1090:
                                        ; implicit-def: $vgpr0_vgpr1
	s_mov_b64 s[20:21], 0
	s_branch .LBB7_1101
.LBB7_1091:
	s_or_saveexec_b64 s[24:25], s[24:25]
	v_pk_mov_b32 v[0:1], s[22:23], s[22:23] op_sel:[0,1]
	s_xor_b64 exec, exec, s[24:25]
	s_cbranch_execz .LBB7_1075
.LBB7_1092:
	v_cmp_ne_u16_e32 vcc, 0, v5
	s_andn2_b64 s[18:19], s[18:19], exec
	s_and_b64 s[22:23], vcc, exec
	v_pk_mov_b32 v[0:1], 0, 0
	s_or_b64 s[18:19], s[18:19], s[22:23]
	s_or_b64 exec, exec, s[24:25]
	s_and_saveexec_b64 s[22:23], s[18:19]
	s_cbranch_execnz .LBB7_1076
	s_branch .LBB7_1077
.LBB7_1093:
	s_mov_b64 s[18:19], -1
                                        ; implicit-def: $vgpr0_vgpr1
	s_branch .LBB7_1098
.LBB7_1094:
	s_mov_b64 s[18:19], -1
                                        ; implicit-def: $vgpr0_vgpr1
.LBB7_1095:
	s_and_b64 vcc, exec, s[18:19]
	s_cbranch_vccz .LBB7_1097
; %bb.1096:
	global_load_ubyte v0, v[2:3], off
	s_mov_b32 s18, 0x7f800000
	s_waitcnt vmcnt(0)
	v_lshlrev_b32_e32 v0, 24, v0
	v_and_b32_e32 v1, 0x7f000000, v0
	v_ffbh_u32_e32 v5, v1
	v_min_u32_e32 v5, 32, v5
	v_sub_u32_e64 v5, v5, 4 clamp
	v_lshlrev_b32_e32 v7, v5, v1
	v_lshlrev_b32_e32 v5, 23, v5
	v_lshrrev_b32_e32 v7, 4, v7
	v_add_u32_e32 v6, 0x1000000, v1
	v_sub_u32_e32 v5, v7, v5
	v_ashrrev_i32_e32 v6, 8, v6
	v_add_u32_e32 v5, 0x3c000000, v5
	v_and_or_b32 v5, v6, s18, v5
	v_cmp_ne_u32_e32 vcc, 0, v1
	v_cndmask_b32_e32 v1, 0, v5, vcc
	s_brev_b32 s18, 1
	v_and_or_b32 v0, v0, s18, v1
	v_cvt_f64_f32_e32 v[0:1], v0
.LBB7_1097:
	s_mov_b64 s[18:19], 0
.LBB7_1098:
	s_andn2_b64 vcc, exec, s[18:19]
	s_cbranch_vccnz .LBB7_1100
; %bb.1099:
	global_load_ubyte v0, v[2:3], off
	s_movk_i32 s18, 0x7f00
	s_brev_b32 s19, 16
	s_waitcnt vmcnt(0)
	v_lshlrev_b16_e32 v1, 8, v0
	v_lshlrev_b32_e32 v0, 25, v0
	v_lshrrev_b32_e32 v5, 4, v0
	v_and_or_b32 v6, v1, s18, 0.5
	v_or_b32_e32 v5, 0x70000000, v5
	v_add_f32_e32 v6, -0.5, v6
	v_mul_f32_e32 v5, 0x7800000, v5
	v_cmp_gt_u32_e32 vcc, s19, v0
	v_bfe_i32 v1, v1, 0, 16
	v_cndmask_b32_e32 v0, v5, v6, vcc
	s_brev_b32 s18, 1
	v_and_or_b32 v0, v1, s18, v0
	v_cvt_f64_f32_e32 v[0:1], v0
.LBB7_1100:
	s_mov_b64 s[22:23], -1
	s_mov_b64 s[20:21], 0
	s_cbranch_execnz .LBB7_1111
.LBB7_1101:
	v_cmp_lt_i16_e32 vcc, 14, v17
	s_cbranch_vccz .LBB7_1104
; %bb.1102:
	v_cmp_eq_u16_e32 vcc, 15, v17
	s_cbranch_vccz .LBB7_1107
; %bb.1103:
	global_load_ushort v0, v[2:3], off
	s_mov_b64 s[4:5], 0
	s_mov_b64 s[22:23], -1
	s_waitcnt vmcnt(0)
	v_lshlrev_b32_e32 v0, 16, v0
	v_cvt_f64_f32_e32 v[0:1], v0
	s_branch .LBB7_1108
.LBB7_1104:
	s_mov_b64 s[18:19], -1
                                        ; implicit-def: $vgpr0_vgpr1
	s_branch .LBB7_1109
.LBB7_1105:
	s_or_saveexec_b64 s[22:23], s[22:23]
	v_pk_mov_b32 v[0:1], s[20:21], s[20:21] op_sel:[0,1]
	s_xor_b64 exec, exec, s[22:23]
	s_cbranch_execz .LBB7_1087
.LBB7_1106:
	v_cmp_ne_u16_e32 vcc, 0, v5
	s_andn2_b64 s[18:19], s[18:19], exec
	s_and_b64 s[20:21], vcc, exec
	v_pk_mov_b32 v[0:1], 0, 0
	s_or_b64 s[18:19], s[18:19], s[20:21]
	s_or_b64 exec, exec, s[22:23]
	s_and_saveexec_b64 s[20:21], s[18:19]
	s_cbranch_execnz .LBB7_1088
	s_branch .LBB7_1089
.LBB7_1107:
	s_mov_b64 s[4:5], -1
                                        ; implicit-def: $vgpr0_vgpr1
.LBB7_1108:
	s_mov_b64 s[18:19], 0
.LBB7_1109:
	s_and_b64 vcc, exec, s[18:19]
	s_cbranch_vccz .LBB7_1111
; %bb.1110:
	v_cmp_ne_u16_e64 s[4:5], 11, v17
	s_mov_b64 s[20:21], -1
                                        ; implicit-def: $vgpr0_vgpr1
.LBB7_1111:
	s_and_b64 vcc, exec, s[4:5]
	s_mov_b64 s[18:19], s[16:17]
	s_cbranch_vccnz .LBB7_1174
; %bb.1112:
	s_andn2_b64 vcc, exec, s[20:21]
	s_cbranch_vccnz .LBB7_1114
.LBB7_1113:
	global_load_ubyte v1, v[2:3], off
	v_mov_b32_e32 v5, 0x3ff00000
	v_mov_b32_e32 v0, 0
	s_mov_b64 s[22:23], -1
	s_waitcnt vmcnt(0)
	v_cmp_ne_u16_e32 vcc, 0, v1
	v_cndmask_b32_e32 v1, 0, v5, vcc
.LBB7_1114:
	s_branch .LBB7_1044
.LBB7_1115:
	v_cmp_gt_i16_e32 vcc, 5, v17
	s_cbranch_vccnz .LBB7_1120
; %bb.1116:
	v_cmp_gt_i16_e32 vcc, 8, v17
	s_cbranch_vccnz .LBB7_1121
; %bb.1117:
	;; [unrolled: 3-line block ×3, first 2 shown]
	v_cmp_lt_i16_e32 vcc, 9, v17
	s_cbranch_vccz .LBB7_1123
; %bb.1119:
	global_load_dwordx2 v[0:1], v[2:3], off
	s_mov_b64 s[4:5], 0
	s_branch .LBB7_1124
.LBB7_1120:
                                        ; implicit-def: $vgpr0_vgpr1
	s_branch .LBB7_1141
.LBB7_1121:
                                        ; implicit-def: $vgpr0_vgpr1
	s_branch .LBB7_1130
.LBB7_1122:
	s_mov_b64 s[4:5], -1
                                        ; implicit-def: $vgpr0_vgpr1
	s_branch .LBB7_1127
.LBB7_1123:
	s_mov_b64 s[4:5], -1
                                        ; implicit-def: $vgpr0_vgpr1
.LBB7_1124:
	s_andn2_b64 vcc, exec, s[4:5]
	s_cbranch_vccnz .LBB7_1126
; %bb.1125:
	global_load_dword v0, v[2:3], off
	s_waitcnt vmcnt(0)
	v_cvt_f64_f32_e32 v[0:1], v0
.LBB7_1126:
	s_mov_b64 s[4:5], 0
.LBB7_1127:
	s_andn2_b64 vcc, exec, s[4:5]
	s_cbranch_vccnz .LBB7_1129
; %bb.1128:
	global_load_dword v0, v[2:3], off
	s_waitcnt vmcnt(0)
	v_cvt_f32_f16_e32 v0, v0
	v_cvt_f64_f32_e32 v[0:1], v0
.LBB7_1129:
	s_cbranch_execnz .LBB7_1140
.LBB7_1130:
	v_cmp_gt_i16_e32 vcc, 6, v17
	s_cbranch_vccnz .LBB7_1133
; %bb.1131:
	v_cmp_lt_i16_e32 vcc, 6, v17
	s_cbranch_vccz .LBB7_1134
; %bb.1132:
	global_load_dwordx2 v[0:1], v[2:3], off
	s_mov_b64 s[4:5], 0
	s_branch .LBB7_1135
.LBB7_1133:
	s_mov_b64 s[4:5], -1
                                        ; implicit-def: $vgpr0_vgpr1
	s_branch .LBB7_1138
.LBB7_1134:
	s_mov_b64 s[4:5], -1
                                        ; implicit-def: $vgpr0_vgpr1
.LBB7_1135:
	s_andn2_b64 vcc, exec, s[4:5]
	s_cbranch_vccnz .LBB7_1137
; %bb.1136:
	global_load_dword v0, v[2:3], off
	s_waitcnt vmcnt(0)
	v_cvt_f64_f32_e32 v[0:1], v0
.LBB7_1137:
	s_mov_b64 s[4:5], 0
.LBB7_1138:
	s_andn2_b64 vcc, exec, s[4:5]
	s_cbranch_vccnz .LBB7_1140
; %bb.1139:
	global_load_ushort v0, v[2:3], off
	s_waitcnt vmcnt(0)
	v_cvt_f32_f16_e32 v0, v0
	v_cvt_f64_f32_e32 v[0:1], v0
.LBB7_1140:
	s_cbranch_execnz .LBB7_1159
.LBB7_1141:
	v_cmp_gt_i16_e32 vcc, 2, v17
	s_cbranch_vccnz .LBB7_1145
; %bb.1142:
	v_cmp_gt_i16_e32 vcc, 3, v17
	s_cbranch_vccnz .LBB7_1146
; %bb.1143:
	v_cmp_lt_i16_e32 vcc, 3, v17
	s_cbranch_vccz .LBB7_1147
; %bb.1144:
	global_load_dwordx2 v[0:1], v[2:3], off
	s_mov_b64 s[4:5], 0
	s_waitcnt vmcnt(0)
	v_cvt_f64_i32_e32 v[6:7], v1
	v_cvt_f64_u32_e32 v[0:1], v0
	v_ldexp_f64 v[6:7], v[6:7], 32
	v_add_f64 v[0:1], v[6:7], v[0:1]
	s_branch .LBB7_1148
.LBB7_1145:
                                        ; implicit-def: $vgpr0_vgpr1
	s_branch .LBB7_1154
.LBB7_1146:
	s_mov_b64 s[4:5], -1
                                        ; implicit-def: $vgpr0_vgpr1
	s_branch .LBB7_1151
.LBB7_1147:
	s_mov_b64 s[4:5], -1
                                        ; implicit-def: $vgpr0_vgpr1
.LBB7_1148:
	s_andn2_b64 vcc, exec, s[4:5]
	s_cbranch_vccnz .LBB7_1150
; %bb.1149:
	global_load_dword v0, v[2:3], off
	s_waitcnt vmcnt(0)
	v_cvt_f64_i32_e32 v[0:1], v0
.LBB7_1150:
	s_mov_b64 s[4:5], 0
.LBB7_1151:
	s_andn2_b64 vcc, exec, s[4:5]
	s_cbranch_vccnz .LBB7_1153
; %bb.1152:
	global_load_sshort v0, v[2:3], off
	s_waitcnt vmcnt(0)
	v_cvt_f64_i32_e32 v[0:1], v0
.LBB7_1153:
	s_cbranch_execnz .LBB7_1159
.LBB7_1154:
	v_cmp_lt_i16_e32 vcc, 0, v17
	s_cbranch_vccz .LBB7_1156
; %bb.1155:
	global_load_sbyte v0, v[2:3], off
	s_mov_b64 s[4:5], 0
	s_waitcnt vmcnt(0)
	v_cvt_f64_i32_e32 v[0:1], v0
	s_branch .LBB7_1157
.LBB7_1156:
	s_mov_b64 s[4:5], -1
                                        ; implicit-def: $vgpr0_vgpr1
.LBB7_1157:
	s_andn2_b64 vcc, exec, s[4:5]
	s_cbranch_vccnz .LBB7_1159
; %bb.1158:
	global_load_ubyte v0, v[2:3], off
	s_waitcnt vmcnt(0)
	v_cvt_f64_u32_e32 v[0:1], v0
.LBB7_1159:
                                        ; implicit-def: $vgpr2_vgpr3
.LBB7_1160:
	s_waitcnt vmcnt(0)
	v_cvt_f32_f64_e32 v2, v[0:1]
	s_mov_b32 s4, 0x7f800000
	v_cmp_nlg_f32_e64 s[20:21], |v2|, s4
	s_and_saveexec_b64 s[4:5], s[20:21]
	s_cbranch_execz .LBB7_1162
; %bb.1161:
	v_mov_b32_e32 v2, 0
	v_mov_b32_e32 v3, 1.0
	global_store_dword v2, v3, s[12:13]
.LBB7_1162:
	s_or_b64 exec, exec, s[4:5]
	v_mov_b32_e32 v2, 0
	global_load_dword v18, v2, s[14:15]
	s_lshl_b32 s3, s3, 7
	v_add_u32_e32 v6, s3, v4
	v_ashrrev_i32_e32 v3, 31, v6
	v_mov_b32_e32 v4, s11
	v_add_co_u32_e32 v2, vcc, s10, v6
	v_addc_co_u32_e32 v3, vcc, v4, v3, vcc
	s_and_b64 vcc, exec, s[0:1]
	s_cbranch_vccnz .LBB7_1169
; %bb.1163:
	v_cmp_lt_i16_e32 vcc, 25, v17
	s_mov_b64 s[20:21], 0
	s_cbranch_vccz .LBB7_1171
; %bb.1164:
	v_cmp_lt_i16_e32 vcc, 28, v17
	s_cbranch_vccz .LBB7_1172
; %bb.1165:
	v_cmp_lt_i16_e32 vcc, 43, v17
	s_cbranch_vccz .LBB7_1173
; %bb.1166:
	v_cmp_lt_i16_e32 vcc, 45, v17
	s_cbranch_vccz .LBB7_1175
; %bb.1167:
	v_cmp_eq_u16_e32 vcc, 46, v17
	s_mov_b64 s[24:25], 0
	s_cbranch_vccz .LBB7_1178
; %bb.1168:
	global_load_dword v4, v[2:3], off
	s_mov_b64 s[4:5], 0
	s_mov_b64 s[22:23], -1
	s_waitcnt vmcnt(0)
	v_lshlrev_b32_e32 v4, 16, v4
	v_cvt_f64_f32_e32 v[4:5], v4
	s_branch .LBB7_1179
.LBB7_1169:
	s_mov_b64 s[22:23], 0
                                        ; implicit-def: $vgpr4_vgpr5
	s_cbranch_execnz .LBB7_1244
.LBB7_1170:
	s_andn2_b64 vcc, exec, s[22:23]
	s_cbranch_vccnz .LBB7_2009
	s_branch .LBB7_1291
.LBB7_1171:
	s_mov_b64 s[22:23], 0
	s_mov_b64 s[4:5], 0
                                        ; implicit-def: $vgpr4_vgpr5
	s_cbranch_execnz .LBB7_1208
	s_branch .LBB7_1240
.LBB7_1172:
	s_mov_b64 s[24:25], -1
	s_mov_b64 s[22:23], 0
	s_mov_b64 s[4:5], 0
                                        ; implicit-def: $vgpr4_vgpr5
	s_branch .LBB7_1189
.LBB7_1173:
	s_mov_b64 s[24:25], -1
	s_mov_b64 s[22:23], 0
	s_mov_b64 s[4:5], 0
                                        ; implicit-def: $vgpr4_vgpr5
	s_branch .LBB7_1184
.LBB7_1174:
	s_or_b64 s[18:19], s[16:17], exec
	s_trap 2
                                        ; implicit-def: $vgpr0_vgpr1
	s_cbranch_execz .LBB7_1113
	s_branch .LBB7_1114
.LBB7_1175:
	s_mov_b64 s[24:25], -1
	s_mov_b64 s[22:23], 0
	s_mov_b64 s[4:5], 0
                                        ; implicit-def: $vgpr4_vgpr5
	s_branch .LBB7_1179
.LBB7_1176:
	s_or_saveexec_b64 s[28:29], s[28:29]
                                        ; implicit-def: $sgpr30
	s_xor_b64 exec, exec, s[28:29]
	s_cbranch_execz .LBB7_956
.LBB7_1177:
	s_mov_b32 s30, 0x42800000
	v_add_f32_e64 v3, |v2|, s30
	v_and_b32_e32 v3, 0xff, v3
	v_cmp_ne_u32_e32 vcc, 0, v3
	s_andn2_b64 s[26:27], s[26:27], exec
	s_and_b64 s[34:35], vcc, exec
	s_mov_b32 s30, 0
	s_or_b64 s[26:27], s[26:27], s[34:35]
	s_or_b64 exec, exec, s[28:29]
	v_mov_b32_e32 v7, s30
	s_and_saveexec_b64 s[28:29], s[26:27]
	s_cbranch_execnz .LBB7_957
	s_branch .LBB7_958
.LBB7_1178:
	s_mov_b64 s[4:5], -1
                                        ; implicit-def: $vgpr4_vgpr5
	s_mov_b64 s[22:23], 0
.LBB7_1179:
	s_and_b64 vcc, exec, s[24:25]
	s_cbranch_vccz .LBB7_1183
; %bb.1180:
	v_cmp_eq_u16_e32 vcc, 44, v17
	s_cbranch_vccz .LBB7_1182
; %bb.1181:
	global_load_ubyte v7, v[2:3], off
	s_movk_i32 s22, 0xff
	v_bfrev_b32_e32 v8, 4
	v_mov_b32_e32 v9, 0x7ff80000
	v_bfrev_b32_e32 v10, 28
	s_mov_b64 s[4:5], 0
	s_waitcnt vmcnt(0)
	v_lshlrev_b32_e32 v4, 23, v7
	v_cvt_f64_f32_e32 v[4:5], v4
	v_cmp_ne_u32_e32 vcc, s22, v7
	v_cndmask_b32_e32 v4, v8, v4, vcc
	v_cndmask_b32_e32 v5, v9, v5, vcc
	v_cmp_ne_u32_e32 vcc, 0, v7
	v_cndmask_b32_e32 v5, v10, v5, vcc
	v_cndmask_b32_e32 v4, 0, v4, vcc
	s_mov_b64 s[22:23], -1
	s_branch .LBB7_1183
.LBB7_1182:
	s_mov_b64 s[4:5], -1
                                        ; implicit-def: $vgpr4_vgpr5
.LBB7_1183:
	s_mov_b64 s[24:25], 0
.LBB7_1184:
	s_and_b64 vcc, exec, s[24:25]
	s_cbranch_vccz .LBB7_1188
; %bb.1185:
	v_cmp_eq_u16_e32 vcc, 29, v17
	s_cbranch_vccz .LBB7_1187
; %bb.1186:
	global_load_dwordx2 v[4:5], v[2:3], off
	s_mov_b64 s[4:5], 0
	s_mov_b64 s[22:23], -1
	s_mov_b64 s[24:25], 0
	s_waitcnt vmcnt(0)
	v_cvt_f64_u32_e32 v[8:9], v5
	v_cvt_f64_u32_e32 v[4:5], v4
	v_ldexp_f64 v[8:9], v[8:9], 32
	v_add_f64 v[4:5], v[8:9], v[4:5]
	s_branch .LBB7_1189
.LBB7_1187:
	s_mov_b64 s[4:5], -1
                                        ; implicit-def: $vgpr4_vgpr5
.LBB7_1188:
	s_mov_b64 s[24:25], 0
.LBB7_1189:
	s_and_b64 vcc, exec, s[24:25]
	s_cbranch_vccz .LBB7_1207
; %bb.1190:
	v_cmp_gt_i16_e32 vcc, 27, v17
	s_cbranch_vccnz .LBB7_1193
; %bb.1191:
	v_cmp_lt_i16_e32 vcc, 27, v17
	s_cbranch_vccz .LBB7_1194
; %bb.1192:
	global_load_dword v4, v[2:3], off
	s_mov_b64 s[22:23], 0
	s_waitcnt vmcnt(0)
	v_cvt_f64_u32_e32 v[4:5], v4
	s_branch .LBB7_1195
.LBB7_1193:
	s_mov_b64 s[22:23], -1
                                        ; implicit-def: $vgpr4_vgpr5
	s_branch .LBB7_1198
.LBB7_1194:
	s_mov_b64 s[22:23], -1
                                        ; implicit-def: $vgpr4_vgpr5
.LBB7_1195:
	s_andn2_b64 vcc, exec, s[22:23]
	s_cbranch_vccnz .LBB7_1197
; %bb.1196:
	global_load_ushort v4, v[2:3], off
	s_waitcnt vmcnt(0)
	v_cvt_f64_u32_e32 v[4:5], v4
.LBB7_1197:
	s_mov_b64 s[22:23], 0
.LBB7_1198:
	s_andn2_b64 vcc, exec, s[22:23]
	s_cbranch_vccnz .LBB7_1206
; %bb.1199:
	global_load_ubyte v7, v[2:3], off
	s_movk_i32 s22, 0x7f
                                        ; implicit-def: $sgpr24_sgpr25
	s_waitcnt vmcnt(0)
	v_cmp_lt_i16_e32 vcc, s22, v7
	s_mov_b64 s[22:23], 0
	s_and_saveexec_b64 s[26:27], vcc
	s_xor_b64 s[26:27], exec, s[26:27]
	s_cbranch_execz .LBB7_1219
; %bb.1200:
	s_movk_i32 s22, 0x80
	v_cmp_eq_u16_e32 vcc, s22, v7
	s_mov_b64 s[28:29], -1
                                        ; implicit-def: $sgpr24_sgpr25
	s_and_saveexec_b64 s[22:23], vcc
; %bb.1201:
	s_mov_b32 s25, 0x7ff80000
	s_brev_b32 s24, 4
	s_xor_b64 s[28:29], exec, -1
; %bb.1202:
	s_or_b64 exec, exec, s[22:23]
	s_and_b64 s[22:23], s[28:29], exec
	s_or_saveexec_b64 s[26:27], s[26:27]
	v_pk_mov_b32 v[4:5], s[24:25], s[24:25] op_sel:[0,1]
	s_xor_b64 exec, exec, s[26:27]
	s_cbranch_execnz .LBB7_1220
.LBB7_1203:
	s_or_b64 exec, exec, s[26:27]
	s_and_saveexec_b64 s[24:25], s[22:23]
	s_cbranch_execz .LBB7_1205
.LBB7_1204:
	v_and_b32_e32 v5, 0xffff, v7
	v_lshlrev_b32_e32 v4, 24, v7
	v_and_b32_e32 v7, 7, v5
	v_ffbh_u32_e32 v9, v7
	v_min_u32_e32 v9, 32, v9
	v_subrev_u32_e32 v10, 28, v9
	v_bfe_u32 v8, v5, 3, 4
	v_lshlrev_b32_e32 v5, v10, v5
	v_sub_u32_e32 v9, 29, v9
	v_and_b32_e32 v5, 7, v5
	v_cmp_eq_u32_e32 vcc, 0, v8
	v_cndmask_b32_e32 v8, v8, v9, vcc
	v_cndmask_b32_e32 v5, v7, v5, vcc
	v_mov_b32_e32 v7, 0x3b800000
	v_lshlrev_b32_e32 v5, 20, v5
	v_and_b32_e32 v4, 0x80000000, v4
	v_lshl_add_u32 v7, v8, 23, v7
	v_or3_b32 v4, v4, v7, v5
	v_cvt_f64_f32_e32 v[4:5], v4
.LBB7_1205:
	s_or_b64 exec, exec, s[24:25]
.LBB7_1206:
	s_mov_b64 s[22:23], -1
.LBB7_1207:
	s_branch .LBB7_1240
.LBB7_1208:
	v_cmp_lt_i16_e32 vcc, 22, v17
	s_cbranch_vccz .LBB7_1218
; %bb.1209:
	v_cmp_gt_i16_e32 vcc, 24, v17
	s_cbranch_vccnz .LBB7_1221
; %bb.1210:
	v_cmp_lt_i16_e32 vcc, 24, v17
	s_cbranch_vccz .LBB7_1222
; %bb.1211:
	global_load_ubyte v7, v[2:3], off
	s_movk_i32 s20, 0x7f
                                        ; implicit-def: $sgpr22_sgpr23
	s_waitcnt vmcnt(0)
	v_cmp_lt_i16_e32 vcc, s20, v7
	s_mov_b64 s[20:21], 0
	s_and_saveexec_b64 s[24:25], vcc
	s_xor_b64 s[24:25], exec, s[24:25]
	s_cbranch_execz .LBB7_1234
; %bb.1212:
	s_movk_i32 s20, 0x80
	v_cmp_eq_u16_e32 vcc, s20, v7
	s_mov_b64 s[26:27], -1
                                        ; implicit-def: $sgpr22_sgpr23
	s_and_saveexec_b64 s[20:21], vcc
; %bb.1213:
	s_mov_b32 s23, 0x7ff80000
	s_brev_b32 s22, 4
	s_xor_b64 s[26:27], exec, -1
; %bb.1214:
	s_or_b64 exec, exec, s[20:21]
	s_and_b64 s[20:21], s[26:27], exec
	s_or_saveexec_b64 s[24:25], s[24:25]
	v_pk_mov_b32 v[4:5], s[22:23], s[22:23] op_sel:[0,1]
	s_xor_b64 exec, exec, s[24:25]
	s_cbranch_execnz .LBB7_1235
.LBB7_1215:
	s_or_b64 exec, exec, s[24:25]
	s_and_saveexec_b64 s[22:23], s[20:21]
	s_cbranch_execz .LBB7_1217
.LBB7_1216:
	v_and_b32_e32 v5, 0xffff, v7
	v_lshlrev_b32_e32 v4, 24, v7
	v_and_b32_e32 v7, 3, v5
	v_ffbh_u32_e32 v9, v7
	v_min_u32_e32 v9, 32, v9
	v_subrev_u32_e32 v10, 29, v9
	v_bfe_u32 v8, v5, 2, 5
	v_lshlrev_b32_e32 v5, v10, v5
	v_sub_u32_e32 v9, 30, v9
	v_and_b32_e32 v5, 3, v5
	v_cmp_eq_u32_e32 vcc, 0, v8
	v_cndmask_b32_e32 v8, v8, v9, vcc
	v_cndmask_b32_e32 v5, v7, v5, vcc
	v_mov_b32_e32 v7, 0x37800000
	v_lshlrev_b32_e32 v5, 21, v5
	v_and_b32_e32 v4, 0x80000000, v4
	v_lshl_add_u32 v7, v8, 23, v7
	v_or3_b32 v4, v4, v7, v5
	v_cvt_f64_f32_e32 v[4:5], v4
.LBB7_1217:
	s_or_b64 exec, exec, s[22:23]
	s_mov_b64 s[20:21], 0
	s_branch .LBB7_1223
.LBB7_1218:
	s_mov_b64 s[20:21], -1
                                        ; implicit-def: $vgpr4_vgpr5
	s_branch .LBB7_1229
.LBB7_1219:
	s_or_saveexec_b64 s[26:27], s[26:27]
	v_pk_mov_b32 v[4:5], s[24:25], s[24:25] op_sel:[0,1]
	s_xor_b64 exec, exec, s[26:27]
	s_cbranch_execz .LBB7_1203
.LBB7_1220:
	v_cmp_ne_u16_e32 vcc, 0, v7
	s_andn2_b64 s[22:23], s[22:23], exec
	s_and_b64 s[24:25], vcc, exec
	v_pk_mov_b32 v[4:5], 0, 0
	s_or_b64 s[22:23], s[22:23], s[24:25]
	s_or_b64 exec, exec, s[26:27]
	s_and_saveexec_b64 s[24:25], s[22:23]
	s_cbranch_execnz .LBB7_1204
	s_branch .LBB7_1205
.LBB7_1221:
	s_mov_b64 s[20:21], -1
                                        ; implicit-def: $vgpr4_vgpr5
	s_branch .LBB7_1226
.LBB7_1222:
	s_mov_b64 s[20:21], -1
                                        ; implicit-def: $vgpr4_vgpr5
.LBB7_1223:
	s_and_b64 vcc, exec, s[20:21]
	s_cbranch_vccz .LBB7_1225
; %bb.1224:
	global_load_ubyte v4, v[2:3], off
	s_mov_b32 s20, 0x7f800000
	s_waitcnt vmcnt(0)
	v_lshlrev_b32_e32 v4, 24, v4
	v_and_b32_e32 v5, 0x7f000000, v4
	v_ffbh_u32_e32 v7, v5
	v_min_u32_e32 v7, 32, v7
	v_sub_u32_e64 v7, v7, 4 clamp
	v_lshlrev_b32_e32 v9, v7, v5
	v_lshlrev_b32_e32 v7, 23, v7
	v_lshrrev_b32_e32 v9, 4, v9
	v_add_u32_e32 v8, 0x1000000, v5
	v_sub_u32_e32 v7, v9, v7
	v_ashrrev_i32_e32 v8, 8, v8
	v_add_u32_e32 v7, 0x3c000000, v7
	v_and_or_b32 v7, v8, s20, v7
	v_cmp_ne_u32_e32 vcc, 0, v5
	v_cndmask_b32_e32 v5, 0, v7, vcc
	s_brev_b32 s20, 1
	v_and_or_b32 v4, v4, s20, v5
	v_cvt_f64_f32_e32 v[4:5], v4
.LBB7_1225:
	s_mov_b64 s[20:21], 0
.LBB7_1226:
	s_andn2_b64 vcc, exec, s[20:21]
	s_cbranch_vccnz .LBB7_1228
; %bb.1227:
	global_load_ubyte v4, v[2:3], off
	s_movk_i32 s20, 0x7f00
	s_brev_b32 s21, 16
	s_waitcnt vmcnt(0)
	v_lshlrev_b16_e32 v5, 8, v4
	v_lshlrev_b32_e32 v4, 25, v4
	v_lshrrev_b32_e32 v7, 4, v4
	v_and_or_b32 v8, v5, s20, 0.5
	v_or_b32_e32 v7, 0x70000000, v7
	v_add_f32_e32 v8, -0.5, v8
	v_mul_f32_e32 v7, 0x7800000, v7
	v_cmp_gt_u32_e32 vcc, s21, v4
	v_bfe_i32 v5, v5, 0, 16
	v_cndmask_b32_e32 v4, v7, v8, vcc
	s_brev_b32 s20, 1
	v_and_or_b32 v4, v5, s20, v4
	v_cvt_f64_f32_e32 v[4:5], v4
.LBB7_1228:
	s_mov_b64 s[20:21], 0
	s_mov_b64 s[22:23], -1
.LBB7_1229:
	s_andn2_b64 vcc, exec, s[20:21]
	s_mov_b64 s[20:21], 0
	s_cbranch_vccnz .LBB7_1240
; %bb.1230:
	v_cmp_lt_i16_e32 vcc, 14, v17
	s_cbranch_vccz .LBB7_1233
; %bb.1231:
	v_cmp_eq_u16_e32 vcc, 15, v17
	s_cbranch_vccz .LBB7_1236
; %bb.1232:
	global_load_ushort v4, v[2:3], off
	s_mov_b64 s[4:5], 0
	s_mov_b64 s[22:23], -1
	s_waitcnt vmcnt(0)
	v_lshlrev_b32_e32 v4, 16, v4
	v_cvt_f64_f32_e32 v[4:5], v4
	s_branch .LBB7_1237
.LBB7_1233:
	s_mov_b64 s[24:25], -1
                                        ; implicit-def: $vgpr4_vgpr5
	s_branch .LBB7_1238
.LBB7_1234:
	s_or_saveexec_b64 s[24:25], s[24:25]
	v_pk_mov_b32 v[4:5], s[22:23], s[22:23] op_sel:[0,1]
	s_xor_b64 exec, exec, s[24:25]
	s_cbranch_execz .LBB7_1215
.LBB7_1235:
	v_cmp_ne_u16_e32 vcc, 0, v7
	s_andn2_b64 s[20:21], s[20:21], exec
	s_and_b64 s[22:23], vcc, exec
	v_pk_mov_b32 v[4:5], 0, 0
	s_or_b64 s[20:21], s[20:21], s[22:23]
	s_or_b64 exec, exec, s[24:25]
	s_and_saveexec_b64 s[22:23], s[20:21]
	s_cbranch_execnz .LBB7_1216
	s_branch .LBB7_1217
.LBB7_1236:
	s_mov_b64 s[4:5], -1
                                        ; implicit-def: $vgpr4_vgpr5
.LBB7_1237:
	s_mov_b64 s[24:25], 0
.LBB7_1238:
	s_and_b64 vcc, exec, s[24:25]
	s_cbranch_vccz .LBB7_1240
; %bb.1239:
	v_cmp_ne_u16_e64 s[4:5], 11, v17
	s_mov_b64 s[20:21], -1
                                        ; implicit-def: $vgpr4_vgpr5
.LBB7_1240:
	s_and_b64 vcc, exec, s[4:5]
	s_cbranch_vccnz .LBB7_1305
; %bb.1241:
	s_andn2_b64 vcc, exec, s[20:21]
	s_cbranch_vccnz .LBB7_1243
.LBB7_1242:
	global_load_ubyte v5, v[2:3], off
	v_mov_b32_e32 v7, 0x3ff00000
	v_mov_b32_e32 v4, 0
	s_mov_b64 s[22:23], -1
	s_waitcnt vmcnt(0)
	v_cmp_ne_u16_e32 vcc, 0, v5
	v_cndmask_b32_e32 v5, 0, v7, vcc
.LBB7_1243:
	s_branch .LBB7_1170
.LBB7_1244:
	v_cmp_gt_i16_e32 vcc, 5, v17
	s_cbranch_vccnz .LBB7_1249
; %bb.1245:
	v_cmp_gt_i16_e32 vcc, 8, v17
	s_cbranch_vccnz .LBB7_1250
; %bb.1246:
	;; [unrolled: 3-line block ×3, first 2 shown]
	v_cmp_lt_i16_e32 vcc, 9, v17
	s_cbranch_vccz .LBB7_1252
; %bb.1248:
	global_load_dwordx2 v[4:5], v[2:3], off
	s_mov_b64 s[4:5], 0
	s_branch .LBB7_1253
.LBB7_1249:
                                        ; implicit-def: $vgpr4_vgpr5
	s_branch .LBB7_1271
.LBB7_1250:
	s_mov_b64 s[4:5], -1
                                        ; implicit-def: $vgpr4_vgpr5
	s_branch .LBB7_1259
.LBB7_1251:
	s_mov_b64 s[4:5], -1
                                        ; implicit-def: $vgpr4_vgpr5
	s_branch .LBB7_1256
.LBB7_1252:
	s_mov_b64 s[4:5], -1
                                        ; implicit-def: $vgpr4_vgpr5
.LBB7_1253:
	s_andn2_b64 vcc, exec, s[4:5]
	s_cbranch_vccnz .LBB7_1255
; %bb.1254:
	global_load_dword v4, v[2:3], off
	s_waitcnt vmcnt(0)
	v_cvt_f64_f32_e32 v[4:5], v4
.LBB7_1255:
	s_mov_b64 s[4:5], 0
.LBB7_1256:
	s_andn2_b64 vcc, exec, s[4:5]
	s_cbranch_vccnz .LBB7_1258
; %bb.1257:
	global_load_dword v4, v[2:3], off
	s_waitcnt vmcnt(0)
	v_cvt_f32_f16_e32 v4, v4
	v_cvt_f64_f32_e32 v[4:5], v4
.LBB7_1258:
	s_mov_b64 s[4:5], 0
.LBB7_1259:
	s_andn2_b64 vcc, exec, s[4:5]
	s_cbranch_vccnz .LBB7_1270
; %bb.1260:
	v_cmp_gt_i16_e32 vcc, 6, v17
	s_cbranch_vccnz .LBB7_1263
; %bb.1261:
	v_cmp_lt_i16_e32 vcc, 6, v17
	s_cbranch_vccz .LBB7_1264
; %bb.1262:
	global_load_dwordx2 v[4:5], v[2:3], off
	s_mov_b64 s[4:5], 0
	s_branch .LBB7_1265
.LBB7_1263:
	s_mov_b64 s[4:5], -1
                                        ; implicit-def: $vgpr4_vgpr5
	s_branch .LBB7_1268
.LBB7_1264:
	s_mov_b64 s[4:5], -1
                                        ; implicit-def: $vgpr4_vgpr5
.LBB7_1265:
	s_andn2_b64 vcc, exec, s[4:5]
	s_cbranch_vccnz .LBB7_1267
; %bb.1266:
	global_load_dword v4, v[2:3], off
	s_waitcnt vmcnt(0)
	v_cvt_f64_f32_e32 v[4:5], v4
.LBB7_1267:
	s_mov_b64 s[4:5], 0
.LBB7_1268:
	s_andn2_b64 vcc, exec, s[4:5]
	s_cbranch_vccnz .LBB7_1270
; %bb.1269:
	global_load_ushort v4, v[2:3], off
	s_waitcnt vmcnt(0)
	v_cvt_f32_f16_e32 v4, v4
	v_cvt_f64_f32_e32 v[4:5], v4
.LBB7_1270:
	s_cbranch_execnz .LBB7_1290
.LBB7_1271:
	v_cmp_gt_i16_e32 vcc, 2, v17
	s_cbranch_vccnz .LBB7_1275
; %bb.1272:
	v_cmp_gt_i16_e32 vcc, 3, v17
	s_cbranch_vccnz .LBB7_1276
; %bb.1273:
	v_cmp_lt_i16_e32 vcc, 3, v17
	s_cbranch_vccz .LBB7_1277
; %bb.1274:
	global_load_dwordx2 v[4:5], v[2:3], off
	s_mov_b64 s[4:5], 0
	s_waitcnt vmcnt(0)
	v_cvt_f64_i32_e32 v[8:9], v5
	v_cvt_f64_u32_e32 v[4:5], v4
	v_ldexp_f64 v[8:9], v[8:9], 32
	v_add_f64 v[4:5], v[8:9], v[4:5]
	s_branch .LBB7_1278
.LBB7_1275:
	s_mov_b64 s[4:5], -1
                                        ; implicit-def: $vgpr4_vgpr5
	s_branch .LBB7_1284
.LBB7_1276:
	s_mov_b64 s[4:5], -1
                                        ; implicit-def: $vgpr4_vgpr5
	s_branch .LBB7_1281
.LBB7_1277:
	s_mov_b64 s[4:5], -1
                                        ; implicit-def: $vgpr4_vgpr5
.LBB7_1278:
	s_andn2_b64 vcc, exec, s[4:5]
	s_cbranch_vccnz .LBB7_1280
; %bb.1279:
	global_load_dword v4, v[2:3], off
	s_waitcnt vmcnt(0)
	v_cvt_f64_i32_e32 v[4:5], v4
.LBB7_1280:
	s_mov_b64 s[4:5], 0
.LBB7_1281:
	s_andn2_b64 vcc, exec, s[4:5]
	s_cbranch_vccnz .LBB7_1283
; %bb.1282:
	global_load_sshort v4, v[2:3], off
	s_waitcnt vmcnt(0)
	v_cvt_f64_i32_e32 v[4:5], v4
.LBB7_1283:
	s_mov_b64 s[4:5], 0
.LBB7_1284:
	s_andn2_b64 vcc, exec, s[4:5]
	s_cbranch_vccnz .LBB7_1290
; %bb.1285:
	v_cmp_lt_i16_e32 vcc, 0, v17
	s_cbranch_vccz .LBB7_1287
; %bb.1286:
	global_load_sbyte v4, v[2:3], off
	s_mov_b64 s[4:5], 0
	s_waitcnt vmcnt(0)
	v_cvt_f64_i32_e32 v[4:5], v4
	s_branch .LBB7_1288
.LBB7_1287:
	s_mov_b64 s[4:5], -1
                                        ; implicit-def: $vgpr4_vgpr5
.LBB7_1288:
	s_andn2_b64 vcc, exec, s[4:5]
	s_cbranch_vccnz .LBB7_1290
; %bb.1289:
	global_load_ubyte v2, v[2:3], off
	s_waitcnt vmcnt(0)
	v_cvt_f64_u32_e32 v[4:5], v2
.LBB7_1290:
.LBB7_1291:
	s_waitcnt vmcnt(0)
	v_cvt_f64_f32_e32 v[2:3], v18
	v_cvt_f32_f64_e32 v7, v[4:5]
	s_mov_b32 s4, 0x7f800000
	v_cmp_nlg_f32_e64 s[20:21], |v7|, s4
	v_pk_mov_b32 v[10:11], v[2:3], v[2:3] op_sel:[0,1]
	v_mov_b32_e32 v19, v18
	s_and_saveexec_b64 s[4:5], s[20:21]
	s_cbranch_execz .LBB7_1293
; %bb.1292:
	v_mov_b32_e32 v7, 0
	v_mov_b32_e32 v8, 1.0
	global_store_dword v7, v8, s[12:13]
	global_load_dword v19, v7, s[14:15]
	s_waitcnt vmcnt(0)
	v_cvt_f64_f32_e32 v[10:11], v19
.LBB7_1293:
	s_or_b64 exec, exec, s[4:5]
	v_add_u32_e32 v14, s3, v6
	v_ashrrev_i32_e32 v6, 31, v14
	v_mov_b32_e32 v7, s11
	v_add_co_u32_e32 v8, vcc, s10, v14
	v_addc_co_u32_e32 v9, vcc, v7, v6, vcc
	s_and_b64 vcc, exec, s[0:1]
	s_cbranch_vccnz .LBB7_1300
; %bb.1294:
	v_cmp_lt_i16_e32 vcc, 25, v17
	s_mov_b64 s[20:21], 0
	s_cbranch_vccz .LBB7_1302
; %bb.1295:
	v_cmp_lt_i16_e32 vcc, 28, v17
	s_cbranch_vccz .LBB7_1303
; %bb.1296:
	v_cmp_lt_i16_e32 vcc, 43, v17
	s_cbranch_vccz .LBB7_1304
; %bb.1297:
	v_cmp_lt_i16_e32 vcc, 45, v17
	s_cbranch_vccz .LBB7_1306
; %bb.1298:
	v_cmp_eq_u16_e32 vcc, 46, v17
	s_mov_b64 s[24:25], 0
	s_cbranch_vccz .LBB7_1307
; %bb.1299:
	global_load_dword v6, v[8:9], off
	s_mov_b64 s[4:5], 0
	s_mov_b64 s[22:23], -1
	s_waitcnt vmcnt(0)
	v_lshlrev_b32_e32 v6, 16, v6
	v_cvt_f64_f32_e32 v[6:7], v6
	s_branch .LBB7_1308
.LBB7_1300:
	s_mov_b64 s[22:23], 0
                                        ; implicit-def: $vgpr6_vgpr7
	s_cbranch_execnz .LBB7_1374
.LBB7_1301:
	s_andn2_b64 vcc, exec, s[22:23]
	s_cbranch_vccnz .LBB7_2009
	s_branch .LBB7_1422
.LBB7_1302:
	s_mov_b64 s[24:25], -1
	s_mov_b64 s[22:23], 0
	s_mov_b64 s[4:5], 0
                                        ; implicit-def: $vgpr6_vgpr7
	s_branch .LBB7_1337
.LBB7_1303:
	s_mov_b64 s[24:25], -1
	s_mov_b64 s[22:23], 0
	s_mov_b64 s[4:5], 0
                                        ; implicit-def: $vgpr6_vgpr7
	s_branch .LBB7_1318
.LBB7_1304:
	s_mov_b64 s[24:25], -1
	s_mov_b64 s[22:23], 0
	s_mov_b64 s[4:5], 0
                                        ; implicit-def: $vgpr6_vgpr7
	s_branch .LBB7_1313
.LBB7_1305:
	s_trap 2
	s_or_b64 s[18:19], s[18:19], exec
                                        ; implicit-def: $vgpr4_vgpr5
	s_cbranch_execz .LBB7_1242
	s_branch .LBB7_1243
.LBB7_1306:
	s_mov_b64 s[24:25], -1
	s_mov_b64 s[22:23], 0
	s_mov_b64 s[4:5], 0
                                        ; implicit-def: $vgpr6_vgpr7
	s_branch .LBB7_1308
.LBB7_1307:
	s_mov_b64 s[4:5], -1
                                        ; implicit-def: $vgpr6_vgpr7
	s_mov_b64 s[22:23], 0
.LBB7_1308:
	s_and_b64 vcc, exec, s[24:25]
	s_cbranch_vccz .LBB7_1312
; %bb.1309:
	v_cmp_eq_u16_e32 vcc, 44, v17
	s_cbranch_vccz .LBB7_1311
; %bb.1310:
	global_load_ubyte v12, v[8:9], off
	s_movk_i32 s22, 0xff
	v_bfrev_b32_e32 v13, 4
	v_mov_b32_e32 v15, 0x7ff80000
	v_bfrev_b32_e32 v20, 28
	s_mov_b64 s[4:5], 0
	s_waitcnt vmcnt(0)
	v_lshlrev_b32_e32 v6, 23, v12
	v_cvt_f64_f32_e32 v[6:7], v6
	v_cmp_ne_u32_e32 vcc, s22, v12
	v_cndmask_b32_e32 v6, v13, v6, vcc
	v_cndmask_b32_e32 v7, v15, v7, vcc
	v_cmp_ne_u32_e32 vcc, 0, v12
	v_cndmask_b32_e32 v7, v20, v7, vcc
	v_cndmask_b32_e32 v6, 0, v6, vcc
	s_mov_b64 s[22:23], -1
	s_branch .LBB7_1312
.LBB7_1311:
	s_mov_b64 s[4:5], -1
                                        ; implicit-def: $vgpr6_vgpr7
.LBB7_1312:
	s_mov_b64 s[24:25], 0
.LBB7_1313:
	s_and_b64 vcc, exec, s[24:25]
	s_cbranch_vccz .LBB7_1317
; %bb.1314:
	v_cmp_eq_u16_e32 vcc, 29, v17
	s_cbranch_vccz .LBB7_1316
; %bb.1315:
	global_load_dwordx2 v[6:7], v[8:9], off
	s_mov_b64 s[4:5], 0
	s_mov_b64 s[22:23], -1
	s_mov_b64 s[24:25], 0
	s_waitcnt vmcnt(0)
	v_cvt_f64_u32_e32 v[12:13], v7
	v_cvt_f64_u32_e32 v[6:7], v6
	v_ldexp_f64 v[12:13], v[12:13], 32
	v_add_f64 v[6:7], v[12:13], v[6:7]
	s_branch .LBB7_1318
.LBB7_1316:
	s_mov_b64 s[4:5], -1
                                        ; implicit-def: $vgpr6_vgpr7
.LBB7_1317:
	s_mov_b64 s[24:25], 0
.LBB7_1318:
	s_and_b64 vcc, exec, s[24:25]
	s_cbranch_vccz .LBB7_1336
; %bb.1319:
	v_cmp_gt_i16_e32 vcc, 27, v17
	s_cbranch_vccnz .LBB7_1322
; %bb.1320:
	v_cmp_lt_i16_e32 vcc, 27, v17
	s_cbranch_vccz .LBB7_1323
; %bb.1321:
	global_load_dword v6, v[8:9], off
	s_mov_b64 s[22:23], 0
	s_waitcnt vmcnt(0)
	v_cvt_f64_u32_e32 v[6:7], v6
	s_branch .LBB7_1324
.LBB7_1322:
	s_mov_b64 s[22:23], -1
                                        ; implicit-def: $vgpr6_vgpr7
	s_branch .LBB7_1327
.LBB7_1323:
	s_mov_b64 s[22:23], -1
                                        ; implicit-def: $vgpr6_vgpr7
.LBB7_1324:
	s_andn2_b64 vcc, exec, s[22:23]
	s_cbranch_vccnz .LBB7_1326
; %bb.1325:
	global_load_ushort v6, v[8:9], off
	s_waitcnt vmcnt(0)
	v_cvt_f64_u32_e32 v[6:7], v6
.LBB7_1326:
	s_mov_b64 s[22:23], 0
.LBB7_1327:
	s_andn2_b64 vcc, exec, s[22:23]
	s_cbranch_vccnz .LBB7_1335
; %bb.1328:
	global_load_ubyte v12, v[8:9], off
	s_movk_i32 s22, 0x7f
                                        ; implicit-def: $sgpr24_sgpr25
	s_waitcnt vmcnt(0)
	v_cmp_lt_i16_e32 vcc, s22, v12
	s_mov_b64 s[22:23], 0
	s_and_saveexec_b64 s[26:27], vcc
	s_xor_b64 s[26:27], exec, s[26:27]
	s_cbranch_execz .LBB7_1349
; %bb.1329:
	s_movk_i32 s22, 0x80
	v_cmp_eq_u16_e32 vcc, s22, v12
	s_mov_b64 s[28:29], -1
                                        ; implicit-def: $sgpr24_sgpr25
	s_and_saveexec_b64 s[22:23], vcc
; %bb.1330:
	s_mov_b32 s25, 0x7ff80000
	s_brev_b32 s24, 4
	s_xor_b64 s[28:29], exec, -1
; %bb.1331:
	s_or_b64 exec, exec, s[22:23]
	s_and_b64 s[22:23], s[28:29], exec
	s_or_saveexec_b64 s[26:27], s[26:27]
	v_pk_mov_b32 v[6:7], s[24:25], s[24:25] op_sel:[0,1]
	s_xor_b64 exec, exec, s[26:27]
	s_cbranch_execnz .LBB7_1350
.LBB7_1332:
	s_or_b64 exec, exec, s[26:27]
	s_and_saveexec_b64 s[24:25], s[22:23]
	s_cbranch_execz .LBB7_1334
.LBB7_1333:
	v_and_b32_e32 v7, 0xffff, v12
	v_lshlrev_b32_e32 v6, 24, v12
	v_and_b32_e32 v12, 7, v7
	v_ffbh_u32_e32 v15, v12
	v_min_u32_e32 v15, 32, v15
	v_subrev_u32_e32 v20, 28, v15
	v_bfe_u32 v13, v7, 3, 4
	v_lshlrev_b32_e32 v7, v20, v7
	v_sub_u32_e32 v15, 29, v15
	v_and_b32_e32 v7, 7, v7
	v_cmp_eq_u32_e32 vcc, 0, v13
	v_cndmask_b32_e32 v13, v13, v15, vcc
	v_cndmask_b32_e32 v7, v12, v7, vcc
	v_mov_b32_e32 v12, 0x3b800000
	v_lshlrev_b32_e32 v7, 20, v7
	v_and_b32_e32 v6, 0x80000000, v6
	v_lshl_add_u32 v12, v13, 23, v12
	v_or3_b32 v6, v6, v12, v7
	v_cvt_f64_f32_e32 v[6:7], v6
.LBB7_1334:
	s_or_b64 exec, exec, s[24:25]
.LBB7_1335:
	s_mov_b64 s[22:23], -1
.LBB7_1336:
	s_mov_b64 s[24:25], 0
.LBB7_1337:
	s_and_b64 vcc, exec, s[24:25]
	s_cbranch_vccz .LBB7_1370
; %bb.1338:
	v_cmp_lt_i16_e32 vcc, 22, v17
	s_cbranch_vccz .LBB7_1348
; %bb.1339:
	v_cmp_gt_i16_e32 vcc, 24, v17
	s_cbranch_vccnz .LBB7_1351
; %bb.1340:
	v_cmp_lt_i16_e32 vcc, 24, v17
	s_cbranch_vccz .LBB7_1352
; %bb.1341:
	global_load_ubyte v12, v[8:9], off
	s_movk_i32 s20, 0x7f
                                        ; implicit-def: $sgpr22_sgpr23
	s_waitcnt vmcnt(0)
	v_cmp_lt_i16_e32 vcc, s20, v12
	s_mov_b64 s[20:21], 0
	s_and_saveexec_b64 s[24:25], vcc
	s_xor_b64 s[24:25], exec, s[24:25]
	s_cbranch_execz .LBB7_1364
; %bb.1342:
	s_movk_i32 s20, 0x80
	v_cmp_eq_u16_e32 vcc, s20, v12
	s_mov_b64 s[26:27], -1
                                        ; implicit-def: $sgpr22_sgpr23
	s_and_saveexec_b64 s[20:21], vcc
; %bb.1343:
	s_mov_b32 s23, 0x7ff80000
	s_brev_b32 s22, 4
	s_xor_b64 s[26:27], exec, -1
; %bb.1344:
	s_or_b64 exec, exec, s[20:21]
	s_and_b64 s[20:21], s[26:27], exec
	s_or_saveexec_b64 s[24:25], s[24:25]
	v_pk_mov_b32 v[6:7], s[22:23], s[22:23] op_sel:[0,1]
	s_xor_b64 exec, exec, s[24:25]
	s_cbranch_execnz .LBB7_1365
.LBB7_1345:
	s_or_b64 exec, exec, s[24:25]
	s_and_saveexec_b64 s[22:23], s[20:21]
	s_cbranch_execz .LBB7_1347
.LBB7_1346:
	v_and_b32_e32 v7, 0xffff, v12
	v_lshlrev_b32_e32 v6, 24, v12
	v_and_b32_e32 v12, 3, v7
	v_ffbh_u32_e32 v15, v12
	v_min_u32_e32 v15, 32, v15
	v_subrev_u32_e32 v20, 29, v15
	v_bfe_u32 v13, v7, 2, 5
	v_lshlrev_b32_e32 v7, v20, v7
	v_sub_u32_e32 v15, 30, v15
	v_and_b32_e32 v7, 3, v7
	v_cmp_eq_u32_e32 vcc, 0, v13
	v_cndmask_b32_e32 v13, v13, v15, vcc
	v_cndmask_b32_e32 v7, v12, v7, vcc
	v_mov_b32_e32 v12, 0x37800000
	v_lshlrev_b32_e32 v7, 21, v7
	v_and_b32_e32 v6, 0x80000000, v6
	v_lshl_add_u32 v12, v13, 23, v12
	v_or3_b32 v6, v6, v12, v7
	v_cvt_f64_f32_e32 v[6:7], v6
.LBB7_1347:
	s_or_b64 exec, exec, s[22:23]
	s_mov_b64 s[20:21], 0
	s_branch .LBB7_1353
.LBB7_1348:
	s_mov_b64 s[20:21], -1
                                        ; implicit-def: $vgpr6_vgpr7
	s_branch .LBB7_1359
.LBB7_1349:
	s_or_saveexec_b64 s[26:27], s[26:27]
	v_pk_mov_b32 v[6:7], s[24:25], s[24:25] op_sel:[0,1]
	s_xor_b64 exec, exec, s[26:27]
	s_cbranch_execz .LBB7_1332
.LBB7_1350:
	v_cmp_ne_u16_e32 vcc, 0, v12
	s_andn2_b64 s[22:23], s[22:23], exec
	s_and_b64 s[24:25], vcc, exec
	v_pk_mov_b32 v[6:7], 0, 0
	s_or_b64 s[22:23], s[22:23], s[24:25]
	s_or_b64 exec, exec, s[26:27]
	s_and_saveexec_b64 s[24:25], s[22:23]
	s_cbranch_execnz .LBB7_1333
	s_branch .LBB7_1334
.LBB7_1351:
	s_mov_b64 s[20:21], -1
                                        ; implicit-def: $vgpr6_vgpr7
	s_branch .LBB7_1356
.LBB7_1352:
	s_mov_b64 s[20:21], -1
                                        ; implicit-def: $vgpr6_vgpr7
.LBB7_1353:
	s_and_b64 vcc, exec, s[20:21]
	s_cbranch_vccz .LBB7_1355
; %bb.1354:
	global_load_ubyte v6, v[8:9], off
	s_mov_b32 s20, 0x7f800000
	s_waitcnt vmcnt(0)
	v_lshlrev_b32_e32 v6, 24, v6
	v_and_b32_e32 v7, 0x7f000000, v6
	v_ffbh_u32_e32 v12, v7
	v_min_u32_e32 v12, 32, v12
	v_sub_u32_e64 v12, v12, 4 clamp
	v_lshlrev_b32_e32 v15, v12, v7
	v_lshlrev_b32_e32 v12, 23, v12
	v_lshrrev_b32_e32 v15, 4, v15
	v_add_u32_e32 v13, 0x1000000, v7
	v_sub_u32_e32 v12, v15, v12
	v_ashrrev_i32_e32 v13, 8, v13
	v_add_u32_e32 v12, 0x3c000000, v12
	v_and_or_b32 v12, v13, s20, v12
	v_cmp_ne_u32_e32 vcc, 0, v7
	v_cndmask_b32_e32 v7, 0, v12, vcc
	s_brev_b32 s20, 1
	v_and_or_b32 v6, v6, s20, v7
	v_cvt_f64_f32_e32 v[6:7], v6
.LBB7_1355:
	s_mov_b64 s[20:21], 0
.LBB7_1356:
	s_andn2_b64 vcc, exec, s[20:21]
	s_cbranch_vccnz .LBB7_1358
; %bb.1357:
	global_load_ubyte v6, v[8:9], off
	s_movk_i32 s20, 0x7f00
	s_brev_b32 s21, 16
	s_waitcnt vmcnt(0)
	v_lshlrev_b16_e32 v7, 8, v6
	v_lshlrev_b32_e32 v6, 25, v6
	v_lshrrev_b32_e32 v12, 4, v6
	v_and_or_b32 v13, v7, s20, 0.5
	v_or_b32_e32 v12, 0x70000000, v12
	v_add_f32_e32 v13, -0.5, v13
	v_mul_f32_e32 v12, 0x7800000, v12
	v_cmp_gt_u32_e32 vcc, s21, v6
	v_bfe_i32 v7, v7, 0, 16
	v_cndmask_b32_e32 v6, v12, v13, vcc
	s_brev_b32 s20, 1
	v_and_or_b32 v6, v7, s20, v6
	v_cvt_f64_f32_e32 v[6:7], v6
.LBB7_1358:
	s_mov_b64 s[20:21], 0
	s_mov_b64 s[22:23], -1
.LBB7_1359:
	s_andn2_b64 vcc, exec, s[20:21]
	s_mov_b64 s[20:21], 0
	s_cbranch_vccnz .LBB7_1370
; %bb.1360:
	v_cmp_lt_i16_e32 vcc, 14, v17
	s_cbranch_vccz .LBB7_1363
; %bb.1361:
	v_cmp_eq_u16_e32 vcc, 15, v17
	s_cbranch_vccz .LBB7_1366
; %bb.1362:
	global_load_ushort v6, v[8:9], off
	s_mov_b64 s[4:5], 0
	s_mov_b64 s[22:23], -1
	s_waitcnt vmcnt(0)
	v_lshlrev_b32_e32 v6, 16, v6
	v_cvt_f64_f32_e32 v[6:7], v6
	s_branch .LBB7_1367
.LBB7_1363:
	s_mov_b64 s[24:25], -1
                                        ; implicit-def: $vgpr6_vgpr7
	s_branch .LBB7_1368
.LBB7_1364:
	s_or_saveexec_b64 s[24:25], s[24:25]
	v_pk_mov_b32 v[6:7], s[22:23], s[22:23] op_sel:[0,1]
	s_xor_b64 exec, exec, s[24:25]
	s_cbranch_execz .LBB7_1345
.LBB7_1365:
	v_cmp_ne_u16_e32 vcc, 0, v12
	s_andn2_b64 s[20:21], s[20:21], exec
	s_and_b64 s[22:23], vcc, exec
	v_pk_mov_b32 v[6:7], 0, 0
	s_or_b64 s[20:21], s[20:21], s[22:23]
	s_or_b64 exec, exec, s[24:25]
	s_and_saveexec_b64 s[22:23], s[20:21]
	s_cbranch_execnz .LBB7_1346
	s_branch .LBB7_1347
.LBB7_1366:
	s_mov_b64 s[4:5], -1
                                        ; implicit-def: $vgpr6_vgpr7
.LBB7_1367:
	s_mov_b64 s[24:25], 0
.LBB7_1368:
	s_and_b64 vcc, exec, s[24:25]
	s_cbranch_vccz .LBB7_1370
; %bb.1369:
	v_cmp_ne_u16_e64 s[4:5], 11, v17
	s_mov_b64 s[20:21], -1
                                        ; implicit-def: $vgpr6_vgpr7
.LBB7_1370:
	s_and_b64 vcc, exec, s[4:5]
	s_cbranch_vccnz .LBB7_1435
; %bb.1371:
	s_andn2_b64 vcc, exec, s[20:21]
	s_cbranch_vccnz .LBB7_1373
.LBB7_1372:
	global_load_ubyte v7, v[8:9], off
	v_mov_b32_e32 v12, 0x3ff00000
	v_mov_b32_e32 v6, 0
	s_mov_b64 s[22:23], -1
	s_waitcnt vmcnt(0)
	v_cmp_ne_u16_e32 vcc, 0, v7
	v_cndmask_b32_e32 v7, 0, v12, vcc
.LBB7_1373:
	s_branch .LBB7_1301
.LBB7_1374:
	v_cmp_gt_i16_e32 vcc, 5, v17
	s_cbranch_vccnz .LBB7_1379
; %bb.1375:
	v_cmp_gt_i16_e32 vcc, 8, v17
	s_cbranch_vccnz .LBB7_1380
; %bb.1376:
	;; [unrolled: 3-line block ×3, first 2 shown]
	v_cmp_lt_i16_e32 vcc, 9, v17
	s_cbranch_vccz .LBB7_1382
; %bb.1378:
	global_load_dwordx2 v[6:7], v[8:9], off
	s_mov_b64 s[4:5], 0
	s_branch .LBB7_1383
.LBB7_1379:
	s_mov_b64 s[4:5], -1
                                        ; implicit-def: $vgpr6_vgpr7
	s_branch .LBB7_1401
.LBB7_1380:
	s_mov_b64 s[4:5], -1
                                        ; implicit-def: $vgpr6_vgpr7
	s_branch .LBB7_1389
.LBB7_1381:
	s_mov_b64 s[4:5], -1
                                        ; implicit-def: $vgpr6_vgpr7
	s_branch .LBB7_1386
.LBB7_1382:
	s_mov_b64 s[4:5], -1
                                        ; implicit-def: $vgpr6_vgpr7
.LBB7_1383:
	s_andn2_b64 vcc, exec, s[4:5]
	s_cbranch_vccnz .LBB7_1385
; %bb.1384:
	global_load_dword v6, v[8:9], off
	s_waitcnt vmcnt(0)
	v_cvt_f64_f32_e32 v[6:7], v6
.LBB7_1385:
	s_mov_b64 s[4:5], 0
.LBB7_1386:
	s_andn2_b64 vcc, exec, s[4:5]
	s_cbranch_vccnz .LBB7_1388
; %bb.1387:
	global_load_dword v6, v[8:9], off
	s_waitcnt vmcnt(0)
	v_cvt_f32_f16_e32 v6, v6
	v_cvt_f64_f32_e32 v[6:7], v6
.LBB7_1388:
	s_mov_b64 s[4:5], 0
.LBB7_1389:
	s_andn2_b64 vcc, exec, s[4:5]
	s_cbranch_vccnz .LBB7_1400
; %bb.1390:
	v_cmp_gt_i16_e32 vcc, 6, v17
	s_cbranch_vccnz .LBB7_1393
; %bb.1391:
	v_cmp_lt_i16_e32 vcc, 6, v17
	s_cbranch_vccz .LBB7_1394
; %bb.1392:
	global_load_dwordx2 v[6:7], v[8:9], off
	s_mov_b64 s[4:5], 0
	s_branch .LBB7_1395
.LBB7_1393:
	s_mov_b64 s[4:5], -1
                                        ; implicit-def: $vgpr6_vgpr7
	s_branch .LBB7_1398
.LBB7_1394:
	s_mov_b64 s[4:5], -1
                                        ; implicit-def: $vgpr6_vgpr7
.LBB7_1395:
	s_andn2_b64 vcc, exec, s[4:5]
	s_cbranch_vccnz .LBB7_1397
; %bb.1396:
	global_load_dword v6, v[8:9], off
	s_waitcnt vmcnt(0)
	v_cvt_f64_f32_e32 v[6:7], v6
.LBB7_1397:
	s_mov_b64 s[4:5], 0
.LBB7_1398:
	s_andn2_b64 vcc, exec, s[4:5]
	s_cbranch_vccnz .LBB7_1400
; %bb.1399:
	global_load_ushort v6, v[8:9], off
	s_waitcnt vmcnt(0)
	v_cvt_f32_f16_e32 v6, v6
	v_cvt_f64_f32_e32 v[6:7], v6
.LBB7_1400:
	s_mov_b64 s[4:5], 0
.LBB7_1401:
	s_andn2_b64 vcc, exec, s[4:5]
	s_cbranch_vccnz .LBB7_1421
; %bb.1402:
	v_cmp_gt_i16_e32 vcc, 2, v17
	s_cbranch_vccnz .LBB7_1406
; %bb.1403:
	v_cmp_gt_i16_e32 vcc, 3, v17
	s_cbranch_vccnz .LBB7_1407
; %bb.1404:
	v_cmp_lt_i16_e32 vcc, 3, v17
	s_cbranch_vccz .LBB7_1408
; %bb.1405:
	global_load_dwordx2 v[6:7], v[8:9], off
	s_mov_b64 s[4:5], 0
	s_waitcnt vmcnt(0)
	v_cvt_f64_i32_e32 v[12:13], v7
	v_cvt_f64_u32_e32 v[6:7], v6
	v_ldexp_f64 v[12:13], v[12:13], 32
	v_add_f64 v[6:7], v[12:13], v[6:7]
	s_branch .LBB7_1409
.LBB7_1406:
	s_mov_b64 s[4:5], -1
                                        ; implicit-def: $vgpr6_vgpr7
	s_branch .LBB7_1415
.LBB7_1407:
	s_mov_b64 s[4:5], -1
                                        ; implicit-def: $vgpr6_vgpr7
	s_branch .LBB7_1412
.LBB7_1408:
	s_mov_b64 s[4:5], -1
                                        ; implicit-def: $vgpr6_vgpr7
.LBB7_1409:
	s_andn2_b64 vcc, exec, s[4:5]
	s_cbranch_vccnz .LBB7_1411
; %bb.1410:
	global_load_dword v6, v[8:9], off
	s_waitcnt vmcnt(0)
	v_cvt_f64_i32_e32 v[6:7], v6
.LBB7_1411:
	s_mov_b64 s[4:5], 0
.LBB7_1412:
	s_andn2_b64 vcc, exec, s[4:5]
	s_cbranch_vccnz .LBB7_1414
; %bb.1413:
	global_load_sshort v6, v[8:9], off
	s_waitcnt vmcnt(0)
	v_cvt_f64_i32_e32 v[6:7], v6
.LBB7_1414:
	s_mov_b64 s[4:5], 0
.LBB7_1415:
	s_andn2_b64 vcc, exec, s[4:5]
	s_cbranch_vccnz .LBB7_1421
; %bb.1416:
	v_cmp_lt_i16_e32 vcc, 0, v17
	s_cbranch_vccz .LBB7_1418
; %bb.1417:
	global_load_sbyte v6, v[8:9], off
	s_mov_b64 s[4:5], 0
	s_waitcnt vmcnt(0)
	v_cvt_f64_i32_e32 v[6:7], v6
	s_branch .LBB7_1419
.LBB7_1418:
	s_mov_b64 s[4:5], -1
                                        ; implicit-def: $vgpr6_vgpr7
.LBB7_1419:
	s_andn2_b64 vcc, exec, s[4:5]
	s_cbranch_vccnz .LBB7_1421
; %bb.1420:
	global_load_ubyte v6, v[8:9], off
	s_waitcnt vmcnt(0)
	v_cvt_f64_u32_e32 v[6:7], v6
.LBB7_1421:
.LBB7_1422:
	s_waitcnt vmcnt(0)
	v_cvt_f32_f64_e32 v8, v[6:7]
	s_mov_b32 s4, 0x7f800000
	v_cmp_nlg_f32_e64 s[20:21], |v8|, s4
	v_pk_mov_b32 v[12:13], v[10:11], v[10:11] op_sel:[0,1]
	v_mov_b32_e32 v20, v19
	s_and_saveexec_b64 s[4:5], s[20:21]
	s_cbranch_execz .LBB7_1424
; %bb.1423:
	v_mov_b32_e32 v8, 0
	v_mov_b32_e32 v9, 1.0
	global_store_dword v8, v9, s[12:13]
	global_load_dword v20, v8, s[14:15]
	s_waitcnt vmcnt(0)
	v_cvt_f64_f32_e32 v[12:13], v20
.LBB7_1424:
	s_or_b64 exec, exec, s[4:5]
	v_add_u32_e32 v8, s3, v14
	v_ashrrev_i32_e32 v9, 31, v8
	v_mov_b32_e32 v15, s11
	v_add_co_u32_e32 v14, vcc, s10, v8
	v_addc_co_u32_e32 v15, vcc, v15, v9, vcc
	s_and_b64 vcc, exec, s[0:1]
	s_cbranch_vccnz .LBB7_1431
; %bb.1425:
	v_cmp_lt_i16_e32 vcc, 25, v17
	s_mov_b64 s[4:5], 0
	s_cbranch_vccz .LBB7_1432
; %bb.1426:
	v_cmp_lt_i16_e32 vcc, 28, v17
	s_cbranch_vccz .LBB7_1433
; %bb.1427:
	v_cmp_lt_i16_e32 vcc, 43, v17
	;; [unrolled: 3-line block ×3, first 2 shown]
	s_cbranch_vccz .LBB7_1436
; %bb.1429:
	v_cmp_eq_u16_e32 vcc, 46, v17
	s_mov_b64 s[20:21], 0
	s_cbranch_vccz .LBB7_1437
; %bb.1430:
	global_load_dword v8, v[14:15], off
	s_mov_b64 s[0:1], 0
	s_mov_b64 s[10:11], -1
	s_waitcnt vmcnt(0)
	v_lshlrev_b32_e32 v8, 16, v8
	v_cvt_f64_f32_e32 v[8:9], v8
	s_branch .LBB7_1438
.LBB7_1431:
	s_mov_b64 s[0:1], -1
	s_mov_b64 s[10:11], 0
                                        ; implicit-def: $vgpr8_vgpr9
	s_branch .LBB7_1504
.LBB7_1432:
	s_mov_b64 s[20:21], -1
	s_mov_b64 s[10:11], 0
	s_mov_b64 s[0:1], 0
                                        ; implicit-def: $vgpr8_vgpr9
	s_branch .LBB7_1467
.LBB7_1433:
	s_mov_b64 s[20:21], -1
	s_mov_b64 s[10:11], 0
	s_mov_b64 s[0:1], 0
                                        ; implicit-def: $vgpr8_vgpr9
	s_branch .LBB7_1448
.LBB7_1434:
	s_mov_b64 s[20:21], -1
	s_mov_b64 s[10:11], 0
	s_mov_b64 s[0:1], 0
                                        ; implicit-def: $vgpr8_vgpr9
	s_branch .LBB7_1443
.LBB7_1435:
	s_trap 2
	s_or_b64 s[18:19], s[18:19], exec
                                        ; implicit-def: $vgpr6_vgpr7
	s_cbranch_execz .LBB7_1372
	s_branch .LBB7_1373
.LBB7_1436:
	s_mov_b64 s[20:21], -1
	s_mov_b64 s[10:11], 0
	s_mov_b64 s[0:1], 0
                                        ; implicit-def: $vgpr8_vgpr9
	s_branch .LBB7_1438
.LBB7_1437:
	s_mov_b64 s[0:1], -1
                                        ; implicit-def: $vgpr8_vgpr9
	s_mov_b64 s[10:11], 0
.LBB7_1438:
	s_and_b64 vcc, exec, s[20:21]
	s_cbranch_vccz .LBB7_1442
; %bb.1439:
	v_cmp_eq_u16_e32 vcc, 44, v17
	s_cbranch_vccz .LBB7_1441
; %bb.1440:
	global_load_ubyte v21, v[14:15], off
	s_movk_i32 s3, 0xff
	v_bfrev_b32_e32 v22, 4
	v_mov_b32_e32 v23, 0x7ff80000
	v_bfrev_b32_e32 v24, 28
	s_mov_b64 s[0:1], 0
	s_mov_b64 s[10:11], -1
	s_waitcnt vmcnt(0)
	v_lshlrev_b32_e32 v8, 23, v21
	v_cvt_f64_f32_e32 v[8:9], v8
	v_cmp_ne_u32_e32 vcc, s3, v21
	v_cndmask_b32_e32 v8, v22, v8, vcc
	v_cndmask_b32_e32 v9, v23, v9, vcc
	v_cmp_ne_u32_e32 vcc, 0, v21
	v_cndmask_b32_e32 v9, v24, v9, vcc
	v_cndmask_b32_e32 v8, 0, v8, vcc
	s_branch .LBB7_1442
.LBB7_1441:
	s_mov_b64 s[0:1], -1
                                        ; implicit-def: $vgpr8_vgpr9
.LBB7_1442:
	s_mov_b64 s[20:21], 0
.LBB7_1443:
	s_and_b64 vcc, exec, s[20:21]
	s_cbranch_vccz .LBB7_1447
; %bb.1444:
	v_cmp_eq_u16_e32 vcc, 29, v17
	s_cbranch_vccz .LBB7_1446
; %bb.1445:
	global_load_dwordx2 v[8:9], v[14:15], off
	s_mov_b64 s[0:1], 0
	s_mov_b64 s[10:11], -1
	s_mov_b64 s[20:21], 0
	s_waitcnt vmcnt(0)
	v_cvt_f64_u32_e32 v[22:23], v9
	v_cvt_f64_u32_e32 v[8:9], v8
	v_ldexp_f64 v[22:23], v[22:23], 32
	v_add_f64 v[8:9], v[22:23], v[8:9]
	s_branch .LBB7_1448
.LBB7_1446:
	s_mov_b64 s[0:1], -1
                                        ; implicit-def: $vgpr8_vgpr9
.LBB7_1447:
	s_mov_b64 s[20:21], 0
.LBB7_1448:
	s_and_b64 vcc, exec, s[20:21]
	s_cbranch_vccz .LBB7_1466
; %bb.1449:
	v_cmp_gt_i16_e32 vcc, 27, v17
	s_cbranch_vccnz .LBB7_1452
; %bb.1450:
	v_cmp_lt_i16_e32 vcc, 27, v17
	s_cbranch_vccz .LBB7_1453
; %bb.1451:
	global_load_dword v8, v[14:15], off
	s_mov_b64 s[10:11], 0
	s_waitcnt vmcnt(0)
	v_cvt_f64_u32_e32 v[8:9], v8
	s_branch .LBB7_1454
.LBB7_1452:
	s_mov_b64 s[10:11], -1
                                        ; implicit-def: $vgpr8_vgpr9
	s_branch .LBB7_1457
.LBB7_1453:
	s_mov_b64 s[10:11], -1
                                        ; implicit-def: $vgpr8_vgpr9
.LBB7_1454:
	s_andn2_b64 vcc, exec, s[10:11]
	s_cbranch_vccnz .LBB7_1456
; %bb.1455:
	global_load_ushort v8, v[14:15], off
	s_waitcnt vmcnt(0)
	v_cvt_f64_u32_e32 v[8:9], v8
.LBB7_1456:
	s_mov_b64 s[10:11], 0
.LBB7_1457:
	s_andn2_b64 vcc, exec, s[10:11]
	s_cbranch_vccnz .LBB7_1465
; %bb.1458:
	global_load_ubyte v21, v[14:15], off
	s_movk_i32 s3, 0x7f
	s_mov_b64 s[10:11], 0
                                        ; implicit-def: $sgpr20_sgpr21
	s_waitcnt vmcnt(0)
	v_cmp_lt_i16_e32 vcc, s3, v21
	s_and_saveexec_b64 s[22:23], vcc
	s_xor_b64 s[22:23], exec, s[22:23]
	s_cbranch_execz .LBB7_1479
; %bb.1459:
	s_movk_i32 s3, 0x80
	v_cmp_eq_u16_e32 vcc, s3, v21
	s_mov_b64 s[24:25], -1
                                        ; implicit-def: $sgpr20_sgpr21
	s_and_saveexec_b64 s[10:11], vcc
; %bb.1460:
	s_mov_b32 s21, 0x7ff80000
	s_brev_b32 s20, 4
	s_xor_b64 s[24:25], exec, -1
; %bb.1461:
	s_or_b64 exec, exec, s[10:11]
	s_and_b64 s[10:11], s[24:25], exec
	s_or_saveexec_b64 s[22:23], s[22:23]
	v_pk_mov_b32 v[8:9], s[20:21], s[20:21] op_sel:[0,1]
	s_xor_b64 exec, exec, s[22:23]
	s_cbranch_execnz .LBB7_1480
.LBB7_1462:
	s_or_b64 exec, exec, s[22:23]
	s_and_saveexec_b64 s[20:21], s[10:11]
	s_cbranch_execz .LBB7_1464
.LBB7_1463:
	v_and_b32_e32 v9, 0xffff, v21
	v_lshlrev_b32_e32 v8, 24, v21
	v_and_b32_e32 v21, 7, v9
	v_ffbh_u32_e32 v23, v21
	v_min_u32_e32 v23, 32, v23
	v_subrev_u32_e32 v24, 28, v23
	v_bfe_u32 v22, v9, 3, 4
	v_lshlrev_b32_e32 v9, v24, v9
	v_sub_u32_e32 v23, 29, v23
	v_and_b32_e32 v9, 7, v9
	v_cmp_eq_u32_e32 vcc, 0, v22
	v_cndmask_b32_e32 v22, v22, v23, vcc
	v_cndmask_b32_e32 v9, v21, v9, vcc
	v_mov_b32_e32 v21, 0x3b800000
	v_lshlrev_b32_e32 v9, 20, v9
	v_and_b32_e32 v8, 0x80000000, v8
	v_lshl_add_u32 v21, v22, 23, v21
	v_or3_b32 v8, v8, v21, v9
	v_cvt_f64_f32_e32 v[8:9], v8
.LBB7_1464:
	s_or_b64 exec, exec, s[20:21]
.LBB7_1465:
	s_mov_b64 s[10:11], -1
.LBB7_1466:
	s_mov_b64 s[20:21], 0
.LBB7_1467:
	s_and_b64 vcc, exec, s[20:21]
	s_cbranch_vccz .LBB7_1500
; %bb.1468:
	v_cmp_lt_i16_e32 vcc, 22, v17
	s_cbranch_vccz .LBB7_1478
; %bb.1469:
	v_cmp_gt_i16_e32 vcc, 24, v17
	s_cbranch_vccnz .LBB7_1481
; %bb.1470:
	v_cmp_lt_i16_e32 vcc, 24, v17
	s_cbranch_vccz .LBB7_1482
; %bb.1471:
	global_load_ubyte v21, v[14:15], off
	s_movk_i32 s3, 0x7f
                                        ; implicit-def: $sgpr10_sgpr11
	s_waitcnt vmcnt(0)
	v_cmp_lt_i16_e32 vcc, s3, v21
	s_and_saveexec_b64 s[20:21], vcc
	s_xor_b64 s[20:21], exec, s[20:21]
	s_cbranch_execz .LBB7_1494
; %bb.1472:
	s_movk_i32 s3, 0x80
	v_cmp_eq_u16_e32 vcc, s3, v21
	s_mov_b64 s[22:23], -1
                                        ; implicit-def: $sgpr10_sgpr11
	s_and_saveexec_b64 s[4:5], vcc
; %bb.1473:
	s_mov_b32 s11, 0x7ff80000
	s_brev_b32 s10, 4
	s_xor_b64 s[22:23], exec, -1
; %bb.1474:
	s_or_b64 exec, exec, s[4:5]
	s_and_b64 s[4:5], s[22:23], exec
	s_or_saveexec_b64 s[20:21], s[20:21]
	v_pk_mov_b32 v[8:9], s[10:11], s[10:11] op_sel:[0,1]
	s_xor_b64 exec, exec, s[20:21]
	s_cbranch_execnz .LBB7_1495
.LBB7_1475:
	s_or_b64 exec, exec, s[20:21]
	s_and_saveexec_b64 s[10:11], s[4:5]
	s_cbranch_execz .LBB7_1477
.LBB7_1476:
	v_and_b32_e32 v9, 0xffff, v21
	v_lshlrev_b32_e32 v8, 24, v21
	v_and_b32_e32 v21, 3, v9
	v_ffbh_u32_e32 v23, v21
	v_min_u32_e32 v23, 32, v23
	v_subrev_u32_e32 v24, 29, v23
	v_bfe_u32 v22, v9, 2, 5
	v_lshlrev_b32_e32 v9, v24, v9
	v_sub_u32_e32 v23, 30, v23
	v_and_b32_e32 v9, 3, v9
	v_cmp_eq_u32_e32 vcc, 0, v22
	v_cndmask_b32_e32 v22, v22, v23, vcc
	v_cndmask_b32_e32 v9, v21, v9, vcc
	v_mov_b32_e32 v21, 0x37800000
	v_lshlrev_b32_e32 v9, 21, v9
	v_and_b32_e32 v8, 0x80000000, v8
	v_lshl_add_u32 v21, v22, 23, v21
	v_or3_b32 v8, v8, v21, v9
	v_cvt_f64_f32_e32 v[8:9], v8
.LBB7_1477:
	s_or_b64 exec, exec, s[10:11]
	s_mov_b64 s[4:5], 0
	s_branch .LBB7_1483
.LBB7_1478:
	s_mov_b64 s[4:5], -1
                                        ; implicit-def: $vgpr8_vgpr9
	s_branch .LBB7_1489
.LBB7_1479:
	s_or_saveexec_b64 s[22:23], s[22:23]
	v_pk_mov_b32 v[8:9], s[20:21], s[20:21] op_sel:[0,1]
	s_xor_b64 exec, exec, s[22:23]
	s_cbranch_execz .LBB7_1462
.LBB7_1480:
	v_cmp_ne_u16_e32 vcc, 0, v21
	s_andn2_b64 s[10:11], s[10:11], exec
	s_and_b64 s[20:21], vcc, exec
	v_pk_mov_b32 v[8:9], 0, 0
	s_or_b64 s[10:11], s[10:11], s[20:21]
	s_or_b64 exec, exec, s[22:23]
	s_and_saveexec_b64 s[20:21], s[10:11]
	s_cbranch_execnz .LBB7_1463
	s_branch .LBB7_1464
.LBB7_1481:
	s_mov_b64 s[4:5], -1
                                        ; implicit-def: $vgpr8_vgpr9
	s_branch .LBB7_1486
.LBB7_1482:
	s_mov_b64 s[4:5], -1
                                        ; implicit-def: $vgpr8_vgpr9
.LBB7_1483:
	s_and_b64 vcc, exec, s[4:5]
	s_cbranch_vccz .LBB7_1485
; %bb.1484:
	global_load_ubyte v8, v[14:15], off
	s_mov_b32 s3, 0x7f800000
	s_waitcnt vmcnt(0)
	v_lshlrev_b32_e32 v8, 24, v8
	v_and_b32_e32 v9, 0x7f000000, v8
	v_ffbh_u32_e32 v21, v9
	v_min_u32_e32 v21, 32, v21
	v_sub_u32_e64 v21, v21, 4 clamp
	v_lshlrev_b32_e32 v23, v21, v9
	v_lshlrev_b32_e32 v21, 23, v21
	v_lshrrev_b32_e32 v23, 4, v23
	v_add_u32_e32 v22, 0x1000000, v9
	v_sub_u32_e32 v21, v23, v21
	v_ashrrev_i32_e32 v22, 8, v22
	v_add_u32_e32 v21, 0x3c000000, v21
	v_and_or_b32 v21, v22, s3, v21
	v_cmp_ne_u32_e32 vcc, 0, v9
	v_cndmask_b32_e32 v9, 0, v21, vcc
	s_brev_b32 s3, 1
	v_and_or_b32 v8, v8, s3, v9
	v_cvt_f64_f32_e32 v[8:9], v8
.LBB7_1485:
	s_mov_b64 s[4:5], 0
.LBB7_1486:
	s_andn2_b64 vcc, exec, s[4:5]
	s_cbranch_vccnz .LBB7_1488
; %bb.1487:
	global_load_ubyte v8, v[14:15], off
	s_movk_i32 s3, 0x7f00
	s_brev_b32 s4, 16
	s_waitcnt vmcnt(0)
	v_lshlrev_b16_e32 v9, 8, v8
	v_lshlrev_b32_e32 v8, 25, v8
	v_lshrrev_b32_e32 v21, 4, v8
	v_and_or_b32 v22, v9, s3, 0.5
	v_or_b32_e32 v21, 0x70000000, v21
	v_add_f32_e32 v22, -0.5, v22
	v_mul_f32_e32 v21, 0x7800000, v21
	v_cmp_gt_u32_e32 vcc, s4, v8
	v_bfe_i32 v9, v9, 0, 16
	v_cndmask_b32_e32 v8, v21, v22, vcc
	s_brev_b32 s3, 1
	v_and_or_b32 v8, v9, s3, v8
	v_cvt_f64_f32_e32 v[8:9], v8
.LBB7_1488:
	s_mov_b64 s[4:5], 0
	s_mov_b64 s[10:11], -1
.LBB7_1489:
	s_andn2_b64 vcc, exec, s[4:5]
	s_mov_b64 s[4:5], 0
	s_cbranch_vccnz .LBB7_1500
; %bb.1490:
	v_cmp_lt_i16_e32 vcc, 14, v17
	s_cbranch_vccz .LBB7_1493
; %bb.1491:
	v_cmp_eq_u16_e32 vcc, 15, v17
	s_cbranch_vccz .LBB7_1496
; %bb.1492:
	global_load_ushort v8, v[14:15], off
	s_mov_b64 s[0:1], 0
	s_mov_b64 s[10:11], -1
	s_waitcnt vmcnt(0)
	v_lshlrev_b32_e32 v8, 16, v8
	v_cvt_f64_f32_e32 v[8:9], v8
	s_branch .LBB7_1497
.LBB7_1493:
	s_mov_b64 s[20:21], -1
                                        ; implicit-def: $vgpr8_vgpr9
	s_branch .LBB7_1498
.LBB7_1494:
	s_or_saveexec_b64 s[20:21], s[20:21]
	v_pk_mov_b32 v[8:9], s[10:11], s[10:11] op_sel:[0,1]
	s_xor_b64 exec, exec, s[20:21]
	s_cbranch_execz .LBB7_1475
.LBB7_1495:
	v_cmp_ne_u16_e32 vcc, 0, v21
	s_andn2_b64 s[4:5], s[4:5], exec
	s_and_b64 s[10:11], vcc, exec
	v_pk_mov_b32 v[8:9], 0, 0
	s_or_b64 s[4:5], s[4:5], s[10:11]
	s_or_b64 exec, exec, s[20:21]
	s_and_saveexec_b64 s[10:11], s[4:5]
	s_cbranch_execnz .LBB7_1476
	s_branch .LBB7_1477
.LBB7_1496:
	s_mov_b64 s[0:1], -1
                                        ; implicit-def: $vgpr8_vgpr9
.LBB7_1497:
	s_mov_b64 s[20:21], 0
.LBB7_1498:
	s_and_b64 vcc, exec, s[20:21]
	s_cbranch_vccz .LBB7_1500
; %bb.1499:
	v_cmp_ne_u16_e64 s[0:1], 11, v17
	s_mov_b64 s[4:5], -1
                                        ; implicit-def: $vgpr8_vgpr9
.LBB7_1500:
	s_and_b64 vcc, exec, s[0:1]
	s_cbranch_vccnz .LBB7_1566
; %bb.1501:
	s_andn2_b64 vcc, exec, s[4:5]
	s_cbranch_vccnz .LBB7_1503
.LBB7_1502:
	global_load_ubyte v9, v[14:15], off
	v_mov_b32_e32 v21, 0x3ff00000
	v_mov_b32_e32 v8, 0
	s_mov_b64 s[10:11], -1
	s_waitcnt vmcnt(0)
	v_cmp_ne_u16_e32 vcc, 0, v9
	v_cndmask_b32_e32 v9, 0, v21, vcc
.LBB7_1503:
	s_mov_b64 s[0:1], 0
.LBB7_1504:
	s_and_b64 vcc, exec, s[0:1]
	s_cbranch_vccz .LBB7_1553
; %bb.1505:
	v_cmp_gt_i16_e32 vcc, 5, v17
	s_cbranch_vccnz .LBB7_1510
; %bb.1506:
	v_cmp_gt_i16_e32 vcc, 8, v17
	s_cbranch_vccnz .LBB7_1511
	;; [unrolled: 3-line block ×3, first 2 shown]
; %bb.1508:
	v_cmp_lt_i16_e32 vcc, 9, v17
	s_cbranch_vccz .LBB7_1513
; %bb.1509:
	global_load_dwordx2 v[8:9], v[14:15], off
	s_mov_b64 s[0:1], 0
	s_branch .LBB7_1514
.LBB7_1510:
	s_mov_b64 s[0:1], -1
                                        ; implicit-def: $vgpr8_vgpr9
	s_branch .LBB7_1532
.LBB7_1511:
	s_mov_b64 s[0:1], -1
                                        ; implicit-def: $vgpr8_vgpr9
	s_branch .LBB7_1520
.LBB7_1512:
	s_mov_b64 s[0:1], -1
                                        ; implicit-def: $vgpr8_vgpr9
	s_branch .LBB7_1517
.LBB7_1513:
	s_mov_b64 s[0:1], -1
                                        ; implicit-def: $vgpr8_vgpr9
.LBB7_1514:
	s_andn2_b64 vcc, exec, s[0:1]
	s_cbranch_vccnz .LBB7_1516
; %bb.1515:
	global_load_dword v8, v[14:15], off
	s_waitcnt vmcnt(0)
	v_cvt_f64_f32_e32 v[8:9], v8
.LBB7_1516:
	s_mov_b64 s[0:1], 0
.LBB7_1517:
	s_andn2_b64 vcc, exec, s[0:1]
	s_cbranch_vccnz .LBB7_1519
; %bb.1518:
	global_load_dword v8, v[14:15], off
	s_waitcnt vmcnt(0)
	v_cvt_f32_f16_e32 v8, v8
	v_cvt_f64_f32_e32 v[8:9], v8
.LBB7_1519:
	s_mov_b64 s[0:1], 0
.LBB7_1520:
	s_andn2_b64 vcc, exec, s[0:1]
	s_cbranch_vccnz .LBB7_1531
; %bb.1521:
	v_cmp_gt_i16_e32 vcc, 6, v17
	s_cbranch_vccnz .LBB7_1524
; %bb.1522:
	v_cmp_lt_i16_e32 vcc, 6, v17
	s_cbranch_vccz .LBB7_1525
; %bb.1523:
	global_load_dwordx2 v[8:9], v[14:15], off
	s_mov_b64 s[0:1], 0
	s_branch .LBB7_1526
.LBB7_1524:
	s_mov_b64 s[0:1], -1
                                        ; implicit-def: $vgpr8_vgpr9
	s_branch .LBB7_1529
.LBB7_1525:
	s_mov_b64 s[0:1], -1
                                        ; implicit-def: $vgpr8_vgpr9
.LBB7_1526:
	s_andn2_b64 vcc, exec, s[0:1]
	s_cbranch_vccnz .LBB7_1528
; %bb.1527:
	global_load_dword v8, v[14:15], off
	s_waitcnt vmcnt(0)
	v_cvt_f64_f32_e32 v[8:9], v8
.LBB7_1528:
	s_mov_b64 s[0:1], 0
.LBB7_1529:
	s_andn2_b64 vcc, exec, s[0:1]
	s_cbranch_vccnz .LBB7_1531
; %bb.1530:
	global_load_ushort v8, v[14:15], off
	s_waitcnt vmcnt(0)
	v_cvt_f32_f16_e32 v8, v8
	v_cvt_f64_f32_e32 v[8:9], v8
.LBB7_1531:
	s_mov_b64 s[0:1], 0
.LBB7_1532:
	s_andn2_b64 vcc, exec, s[0:1]
	s_cbranch_vccnz .LBB7_1552
; %bb.1533:
	v_cmp_gt_i16_e32 vcc, 2, v17
	s_cbranch_vccnz .LBB7_1537
; %bb.1534:
	v_cmp_gt_i16_e32 vcc, 3, v17
	s_cbranch_vccnz .LBB7_1538
; %bb.1535:
	v_cmp_lt_i16_e32 vcc, 3, v17
	s_cbranch_vccz .LBB7_1539
; %bb.1536:
	global_load_dwordx2 v[8:9], v[14:15], off
	s_mov_b64 s[0:1], 0
	s_waitcnt vmcnt(0)
	v_cvt_f64_i32_e32 v[22:23], v9
	v_cvt_f64_u32_e32 v[8:9], v8
	v_ldexp_f64 v[22:23], v[22:23], 32
	v_add_f64 v[8:9], v[22:23], v[8:9]
	s_branch .LBB7_1540
.LBB7_1537:
	s_mov_b64 s[0:1], -1
                                        ; implicit-def: $vgpr8_vgpr9
	s_branch .LBB7_1546
.LBB7_1538:
	s_mov_b64 s[0:1], -1
                                        ; implicit-def: $vgpr8_vgpr9
	s_branch .LBB7_1543
.LBB7_1539:
	s_mov_b64 s[0:1], -1
                                        ; implicit-def: $vgpr8_vgpr9
.LBB7_1540:
	s_andn2_b64 vcc, exec, s[0:1]
	s_cbranch_vccnz .LBB7_1542
; %bb.1541:
	global_load_dword v8, v[14:15], off
	s_waitcnt vmcnt(0)
	v_cvt_f64_i32_e32 v[8:9], v8
.LBB7_1542:
	s_mov_b64 s[0:1], 0
.LBB7_1543:
	s_andn2_b64 vcc, exec, s[0:1]
	s_cbranch_vccnz .LBB7_1545
; %bb.1544:
	global_load_sshort v8, v[14:15], off
	s_waitcnt vmcnt(0)
	v_cvt_f64_i32_e32 v[8:9], v8
.LBB7_1545:
	s_mov_b64 s[0:1], 0
.LBB7_1546:
	s_andn2_b64 vcc, exec, s[0:1]
	s_cbranch_vccnz .LBB7_1552
; %bb.1547:
	v_cmp_lt_i16_e32 vcc, 0, v17
	s_cbranch_vccz .LBB7_1549
; %bb.1548:
	global_load_sbyte v8, v[14:15], off
	s_mov_b64 s[0:1], 0
	s_waitcnt vmcnt(0)
	v_cvt_f64_i32_e32 v[8:9], v8
	s_branch .LBB7_1550
.LBB7_1549:
	s_mov_b64 s[0:1], -1
                                        ; implicit-def: $vgpr8_vgpr9
.LBB7_1550:
	s_andn2_b64 vcc, exec, s[0:1]
	s_cbranch_vccnz .LBB7_1552
; %bb.1551:
	global_load_ubyte v8, v[14:15], off
	s_waitcnt vmcnt(0)
	v_cvt_f64_u32_e32 v[8:9], v8
.LBB7_1552:
	s_mov_b64 s[10:11], -1
.LBB7_1553:
	s_andn2_b64 vcc, exec, s[10:11]
	s_cbranch_vccnz .LBB7_2009
; %bb.1554:
	s_waitcnt vmcnt(0)
	v_cvt_f32_f64_e32 v14, v[8:9]
	s_mov_b32 s0, 0x7f800000
	v_cmp_nlg_f32_e64 s[4:5], |v14|, s0
	v_pk_mov_b32 v[14:15], v[12:13], v[12:13] op_sel:[0,1]
	v_mov_b32_e32 v21, v20
	s_and_saveexec_b64 s[0:1], s[4:5]
	s_cbranch_execz .LBB7_1556
; %bb.1555:
	v_mov_b32_e32 v14, 0
	v_mov_b32_e32 v15, 1.0
	global_store_dword v14, v15, s[12:13]
	global_load_dword v21, v14, s[14:15]
	s_waitcnt vmcnt(0)
	v_cvt_f64_f32_e32 v[14:15], v21
.LBB7_1556:
	s_or_b64 exec, exec, s[0:1]
	v_mul_f64 v[2:3], v[0:1], v[2:3]
	v_cmp_eq_f32_e32 vcc, 1.0, v18
	v_mul_lo_u32 v18, s2, v16
	v_cndmask_b32_e32 v1, v3, v1, vcc
	v_cndmask_b32_e32 v0, v2, v0, vcc
	v_ashrrev_i32_e32 v2, 31, v18
	v_mov_b32_e32 v3, s9
	v_add_co_u32_e32 v16, vcc, s8, v18
	v_addc_co_u32_e32 v17, vcc, v3, v2, vcc
	v_mov_b32_e32 v2, 11
	v_cmp_lt_i16_sdwa s[0:1], s33, v2 src0_sel:BYTE_0 src1_sel:DWORD
	s_and_b64 vcc, exec, s[0:1]
	s_cbranch_vccnz .LBB7_1563
; %bb.1557:
	v_mov_b32_e32 v2, 25
	v_cmp_gt_i16_sdwa s[0:1], s33, v2 src0_sel:BYTE_0 src1_sel:DWORD
	s_mov_b64 s[12:13], -1
	s_mov_b64 s[4:5], 0
	s_and_b64 vcc, exec, s[0:1]
	s_mov_b64 s[10:11], 0
	s_mov_b64 s[0:1], 0
	s_cbranch_vccz .LBB7_1595
; %bb.1558:
	v_mov_b32_e32 v2, 28
	v_cmp_gt_i16_sdwa s[0:1], s33, v2 src0_sel:BYTE_0 src1_sel:DWORD
	s_and_b64 vcc, exec, s[0:1]
	s_cbranch_vccz .LBB7_1564
; %bb.1559:
	v_mov_b32_e32 v2, 43
	v_cmp_gt_i16_sdwa s[0:1], s33, v2 src0_sel:BYTE_0 src1_sel:DWORD
	s_and_b64 vcc, exec, s[0:1]
	;; [unrolled: 5-line block ×3, first 2 shown]
	s_cbranch_vccz .LBB7_1567
; %bb.1561:
	v_mov_b32_e32 v2, 46
	v_cmp_eq_u16_sdwa s[10:11], s33, v2 src0_sel:BYTE_0 src1_sel:DWORD
	s_mov_b64 s[0:1], -1
	s_mov_b64 s[12:13], 0
	s_and_b64 vcc, exec, s[10:11]
	s_mov_b64 s[10:11], 0
	s_cbranch_vccz .LBB7_1568
; %bb.1562:
	v_cvt_f32_f64_e32 v2, v[0:1]
	v_bfe_u32 v3, v2, 16, 1
	s_movk_i32 s0, 0x7fff
	v_add3_u32 v3, v2, v3, s0
	v_lshrrev_b32_e32 v3, 16, v3
	v_mov_b32_e32 v22, 0x7fc0
	v_cmp_o_f32_e32 vcc, v2, v2
	v_cndmask_b32_e32 v2, v22, v3, vcc
	global_store_dword v[16:17], v2, off
	s_mov_b64 s[0:1], 0
	s_mov_b64 s[10:11], -1
	s_branch .LBB7_1568
.LBB7_1563:
	s_mov_b64 s[0:1], -1
	s_mov_b64 s[10:11], 0
	s_branch .LBB7_1639
.LBB7_1564:
	s_mov_b64 s[0:1], 0
	s_branch .LBB7_1578
.LBB7_1565:
	s_mov_b64 s[0:1], 0
	s_branch .LBB7_1574
.LBB7_1566:
	s_trap 2
	s_or_b64 s[18:19], s[18:19], exec
                                        ; implicit-def: $vgpr8_vgpr9
	s_cbranch_execz .LBB7_1502
	s_branch .LBB7_1503
.LBB7_1567:
	s_mov_b64 s[0:1], 0
.LBB7_1568:
	s_and_b64 vcc, exec, s[12:13]
	s_cbranch_vccz .LBB7_1573
; %bb.1569:
	v_mov_b32_e32 v2, 44
	v_cmp_eq_u16_sdwa s[12:13], s33, v2 src0_sel:BYTE_0 src1_sel:DWORD
	s_mov_b64 s[0:1], -1
	s_and_b64 vcc, exec, s[12:13]
	s_cbranch_vccz .LBB7_1573
; %bb.1570:
	v_cvt_f32_f64_e32 v2, v[0:1]
	v_bfe_u32 v3, v2, 23, 8
	s_movk_i32 s0, 0xff
	v_cmp_ne_u32_e32 vcc, s0, v3
	v_mov_b32_e32 v22, 0xff
	s_and_saveexec_b64 s[10:11], vcc
; %bb.1571:
	s_mov_b32 s0, 0x3fffff
	v_lshrrev_b32_e32 v22, 23, v2
	v_and_b32_e32 v23, 0x400000, v2
	v_and_or_b32 v2, v2, s0, v3
	v_cmp_ne_u32_e32 vcc, 0, v23
	v_cmp_ne_u32_e64 s[0:1], 0, v2
	s_and_b64 s[0:1], vcc, s[0:1]
	v_cndmask_b32_e64 v2, 0, 1, s[0:1]
	v_add_u32_e32 v22, v22, v2
; %bb.1572:
	s_or_b64 exec, exec, s[10:11]
	s_mov_b64 s[0:1], 0
	s_mov_b64 s[10:11], -1
	global_store_byte v[16:17], v22, off
.LBB7_1573:
	s_mov_b64 s[12:13], 0
.LBB7_1574:
	s_and_b64 vcc, exec, s[12:13]
	s_cbranch_vccz .LBB7_1577
; %bb.1575:
	v_mov_b32_e32 v2, 29
	v_cmp_eq_u16_sdwa s[12:13], s33, v2 src0_sel:BYTE_0 src1_sel:DWORD
	s_mov_b64 s[0:1], -1
	s_and_b64 vcc, exec, s[12:13]
	s_cbranch_vccz .LBB7_1577
; %bb.1576:
	v_trunc_f64_e32 v[2:3], v[0:1]
	s_movk_i32 s0, 0xffe0
	v_ldexp_f64 v[22:23], v[2:3], s0
	v_floor_f64_e32 v[22:23], v[22:23]
	v_fmac_f64_e32 v[2:3], 0xc1f00000, v[22:23]
	v_cvt_u32_f64_e32 v25, v[22:23]
	v_cvt_u32_f64_e32 v24, v[2:3]
	global_store_dwordx2 v[16:17], v[24:25], off
	s_mov_b64 s[0:1], 0
	s_mov_b64 s[10:11], -1
.LBB7_1577:
	s_mov_b64 s[12:13], 0
.LBB7_1578:
	s_and_b64 vcc, exec, s[12:13]
	s_cbranch_vccz .LBB7_1594
; %bb.1579:
	v_mov_b32_e32 v2, 27
	v_cmp_lt_i16_sdwa s[12:13], s33, v2 src0_sel:BYTE_0 src1_sel:DWORD
	s_mov_b64 s[10:11], -1
	s_and_b64 vcc, exec, s[12:13]
	s_cbranch_vccnz .LBB7_1585
; %bb.1580:
	v_cmp_gt_i16_sdwa s[12:13], s33, v2 src0_sel:BYTE_0 src1_sel:DWORD
	s_and_b64 vcc, exec, s[12:13]
	v_cvt_u32_f64_e32 v2, v[0:1]
	s_cbranch_vccz .LBB7_1582
; %bb.1581:
	s_mov_b64 s[10:11], 0
	global_store_dword v[16:17], v2, off
.LBB7_1582:
	s_andn2_b64 vcc, exec, s[10:11]
	s_cbranch_vccnz .LBB7_1584
; %bb.1583:
	global_store_short v[16:17], v2, off
.LBB7_1584:
	s_mov_b64 s[10:11], 0
.LBB7_1585:
	s_andn2_b64 vcc, exec, s[10:11]
	s_cbranch_vccnz .LBB7_1593
; %bb.1586:
	v_cvt_f32_f64_e32 v2, v[0:1]
	v_and_b32_e32 v3, 0x7fffffff, v2
	s_mov_b32 s3, 0x43800000
	v_cmp_gt_u32_e32 vcc, s3, v3
	v_mov_b32_e32 v22, 0x80
	s_and_saveexec_b64 s[10:11], vcc
	s_cbranch_execz .LBB7_1592
; %bb.1587:
	s_mov_b32 s3, 0x3bffffff
	v_cmp_lt_u32_e32 vcc, s3, v3
	s_mov_b64 s[12:13], 0
                                        ; implicit-def: $vgpr3
	s_and_saveexec_b64 s[14:15], vcc
	s_xor_b64 s[14:15], exec, s[14:15]
	s_cbranch_execz .LBB7_1688
; %bb.1588:
	v_bfe_u32 v3, v2, 20, 1
	s_mov_b32 s3, 0x487ffff
	v_add3_u32 v3, v2, v3, s3
	s_mov_b64 s[12:13], exec
	v_lshrrev_b32_e32 v3, 20, v3
	s_or_saveexec_b64 s[14:15], s[14:15]
                                        ; implicit-def: $sgpr3
	s_xor_b64 exec, exec, s[14:15]
	s_cbranch_execnz .LBB7_1689
.LBB7_1589:
	s_or_b64 exec, exec, s[14:15]
	v_mov_b32_e32 v22, s3
	s_and_saveexec_b64 s[14:15], s[12:13]
.LBB7_1590:
	v_lshrrev_b32_e32 v2, 24, v2
	s_movk_i32 s3, 0x80
	v_and_or_b32 v22, v2, s3, v3
.LBB7_1591:
	s_or_b64 exec, exec, s[14:15]
.LBB7_1592:
	s_or_b64 exec, exec, s[10:11]
	global_store_byte v[16:17], v22, off
.LBB7_1593:
	s_mov_b64 s[10:11], -1
.LBB7_1594:
	s_mov_b64 s[12:13], 0
.LBB7_1595:
	s_and_b64 vcc, exec, s[12:13]
	s_cbranch_vccz .LBB7_1635
; %bb.1596:
	v_mov_b32_e32 v2, 22
	v_cmp_gt_i16_sdwa s[12:13], s33, v2 src0_sel:BYTE_0 src1_sel:DWORD
	s_mov_b64 s[4:5], -1
	s_and_b64 vcc, exec, s[12:13]
	s_cbranch_vccz .LBB7_1628
; %bb.1597:
	v_mov_b32_e32 v2, 24
	v_cmp_lt_i16_sdwa s[10:11], s33, v2 src0_sel:BYTE_0 src1_sel:DWORD
	s_and_b64 vcc, exec, s[10:11]
	s_cbranch_vccnz .LBB7_1617
; %bb.1598:
	v_cmp_gt_i16_sdwa s[10:11], s33, v2 src0_sel:BYTE_0 src1_sel:DWORD
	s_and_b64 vcc, exec, s[10:11]
	s_cbranch_vccz .LBB7_1606
; %bb.1599:
	v_cvt_f32_f64_e32 v2, v[0:1]
	v_and_b32_e32 v3, 0x7fffffff, v2
	s_mov_b32 s3, 0x47800000
	v_cmp_gt_u32_e32 vcc, s3, v3
	v_mov_b32_e32 v22, 0x80
	s_and_saveexec_b64 s[4:5], vcc
	s_cbranch_execz .LBB7_1605
; %bb.1600:
	s_mov_b32 s3, 0x37ffffff
	v_cmp_lt_u32_e32 vcc, s3, v3
	s_mov_b64 s[10:11], 0
                                        ; implicit-def: $vgpr3
	s_and_saveexec_b64 s[12:13], vcc
	s_xor_b64 s[12:13], exec, s[12:13]
	s_cbranch_execz .LBB7_1692
; %bb.1601:
	v_bfe_u32 v3, v2, 21, 1
	s_mov_b32 s3, 0x88fffff
	v_add3_u32 v3, v2, v3, s3
	s_mov_b64 s[10:11], exec
	v_lshrrev_b32_e32 v3, 21, v3
	s_or_saveexec_b64 s[12:13], s[12:13]
                                        ; implicit-def: $sgpr3
	s_xor_b64 exec, exec, s[12:13]
	s_cbranch_execnz .LBB7_1693
.LBB7_1602:
	s_or_b64 exec, exec, s[12:13]
	v_mov_b32_e32 v22, s3
	s_and_saveexec_b64 s[12:13], s[10:11]
.LBB7_1603:
	v_lshrrev_b32_e32 v2, 24, v2
	s_movk_i32 s3, 0x80
	v_and_or_b32 v22, v2, s3, v3
.LBB7_1604:
	s_or_b64 exec, exec, s[12:13]
.LBB7_1605:
	s_or_b64 exec, exec, s[4:5]
	s_mov_b64 s[4:5], 0
	global_store_byte v[16:17], v22, off
.LBB7_1606:
	s_and_b64 vcc, exec, s[4:5]
	s_cbranch_vccz .LBB7_1616
; %bb.1607:
	v_cvt_f32_f64_e32 v2, v[0:1]
	v_and_b32_e32 v22, 0x7fffffff, v2
	s_mov_b32 s3, 0x43f00000
	v_cmp_gt_u32_e32 vcc, s3, v22
                                        ; implicit-def: $vgpr3
	s_and_saveexec_b64 s[4:5], vcc
	s_xor_b64 s[4:5], exec, s[4:5]
	s_cbranch_execz .LBB7_1613
; %bb.1608:
	s_mov_b32 s3, 0x3c7fffff
	v_cmp_lt_u32_e32 vcc, s3, v22
                                        ; implicit-def: $vgpr3
	s_and_saveexec_b64 s[10:11], vcc
	s_xor_b64 s[10:11], exec, s[10:11]
; %bb.1609:
	v_bfe_u32 v3, v2, 20, 1
	s_mov_b32 s3, 0x407ffff
	v_add3_u32 v3, v2, v3, s3
	v_lshrrev_b32_e32 v22, 20, v3
	v_and_b32_e32 v3, 0xff00000, v3
	s_mov_b32 s3, 0x7f00000
	v_mov_b32_e32 v23, 0x7e
	v_cmp_ne_u32_e32 vcc, s3, v3
	v_cndmask_b32_e32 v3, v23, v22, vcc
; %bb.1610:
	s_andn2_saveexec_b64 s[10:11], s[10:11]
; %bb.1611:
	s_mov_b32 s3, 0x46800000
	v_add_f32_e64 v3, |v2|, s3
; %bb.1612:
	s_or_b64 exec, exec, s[10:11]
                                        ; implicit-def: $vgpr22
.LBB7_1613:
	s_andn2_saveexec_b64 s[4:5], s[4:5]
; %bb.1614:
	s_mov_b32 s3, 0x7f800000
	v_mov_b32_e32 v3, 0x7e
	v_mov_b32_e32 v23, 0x7f
	v_cmp_lt_u32_e32 vcc, s3, v22
	v_cndmask_b32_e32 v3, v3, v23, vcc
; %bb.1615:
	s_or_b64 exec, exec, s[4:5]
	v_lshrrev_b32_e32 v2, 24, v2
	s_movk_i32 s3, 0x80
	v_and_or_b32 v2, v2, s3, v3
	global_store_byte v[16:17], v2, off
.LBB7_1616:
	s_mov_b64 s[4:5], 0
.LBB7_1617:
	s_andn2_b64 vcc, exec, s[4:5]
	s_cbranch_vccnz .LBB7_1627
; %bb.1618:
	v_cvt_f32_f64_e32 v2, v[0:1]
	v_and_b32_e32 v22, 0x7fffffff, v2
	s_mov_b32 s3, 0x47800000
	v_cmp_gt_u32_e32 vcc, s3, v22
                                        ; implicit-def: $vgpr3
	s_and_saveexec_b64 s[4:5], vcc
	s_xor_b64 s[4:5], exec, s[4:5]
	s_cbranch_execz .LBB7_1624
; %bb.1619:
	s_mov_b32 s3, 0x387fffff
	v_cmp_lt_u32_e32 vcc, s3, v22
                                        ; implicit-def: $vgpr3
	s_and_saveexec_b64 s[10:11], vcc
	s_xor_b64 s[10:11], exec, s[10:11]
; %bb.1620:
	v_bfe_u32 v3, v2, 21, 1
	s_mov_b32 s3, 0x80fffff
	v_add3_u32 v3, v2, v3, s3
	v_lshrrev_b32_e32 v3, 21, v3
; %bb.1621:
	s_andn2_saveexec_b64 s[10:11], s[10:11]
; %bb.1622:
	s_mov_b32 s3, 0x43000000
	v_add_f32_e64 v3, |v2|, s3
; %bb.1623:
	s_or_b64 exec, exec, s[10:11]
                                        ; implicit-def: $vgpr22
.LBB7_1624:
	s_andn2_saveexec_b64 s[4:5], s[4:5]
; %bb.1625:
	s_mov_b32 s3, 0x7f800000
	v_mov_b32_e32 v3, 0x7c
	v_mov_b32_e32 v23, 0x7f
	v_cmp_lt_u32_e32 vcc, s3, v22
	v_cndmask_b32_e32 v3, v3, v23, vcc
; %bb.1626:
	s_or_b64 exec, exec, s[4:5]
	v_lshrrev_b32_e32 v2, 24, v2
	s_movk_i32 s3, 0x80
	v_and_or_b32 v2, v2, s3, v3
	global_store_byte v[16:17], v2, off
.LBB7_1627:
	s_mov_b64 s[4:5], 0
	s_mov_b64 s[10:11], -1
.LBB7_1628:
	s_andn2_b64 vcc, exec, s[4:5]
	s_mov_b64 s[4:5], 0
	s_cbranch_vccnz .LBB7_1635
; %bb.1629:
	v_mov_b32_e32 v2, 14
	v_cmp_gt_i16_sdwa s[4:5], s33, v2 src0_sel:BYTE_0 src1_sel:DWORD
	s_mov_b64 s[12:13], -1
	s_and_b64 vcc, exec, s[4:5]
	s_cbranch_vccz .LBB7_1633
; %bb.1630:
	v_mov_b32_e32 v2, 15
	v_cmp_eq_u16_sdwa s[4:5], s33, v2 src0_sel:BYTE_0 src1_sel:DWORD
	s_mov_b64 s[0:1], -1
	s_and_b64 vcc, exec, s[4:5]
	s_cbranch_vccz .LBB7_1632
; %bb.1631:
	v_cvt_f32_f64_e32 v2, v[0:1]
	v_bfe_u32 v3, v2, 16, 1
	s_movk_i32 s0, 0x7fff
	v_add3_u32 v3, v2, v3, s0
	v_lshrrev_b32_e32 v3, 16, v3
	v_mov_b32_e32 v22, 0x7fc0
	v_cmp_o_f32_e32 vcc, v2, v2
	v_cndmask_b32_e32 v2, v22, v3, vcc
	global_store_short v[16:17], v2, off
	s_mov_b64 s[0:1], 0
	s_mov_b64 s[10:11], -1
.LBB7_1632:
	s_mov_b64 s[12:13], 0
.LBB7_1633:
	s_mov_b64 s[4:5], 0
	s_and_b64 vcc, exec, s[12:13]
	s_cbranch_vccz .LBB7_1635
; %bb.1634:
	v_mov_b32_e32 v2, 11
	v_cmp_ne_u16_sdwa s[0:1], s33, v2 src0_sel:BYTE_0 src1_sel:DWORD
	s_mov_b64 s[4:5], -1
.LBB7_1635:
	s_and_b64 vcc, exec, s[0:1]
	s_cbranch_vccnz .LBB7_1691
; %bb.1636:
	s_andn2_b64 vcc, exec, s[4:5]
	s_cbranch_vccnz .LBB7_1638
.LBB7_1637:
	v_cmp_neq_f64_e32 vcc, 0, v[0:1]
	v_cndmask_b32_e64 v2, 0, 1, vcc
	s_mov_b64 s[10:11], -1
	global_store_byte v[16:17], v2, off
.LBB7_1638:
	s_mov_b64 s[0:1], 0
.LBB7_1639:
	s_and_b64 vcc, exec, s[0:1]
	s_cbranch_vccz .LBB7_1678
; %bb.1640:
	v_mov_b32_e32 v2, 5
	v_cmp_lt_i16_sdwa s[4:5], s33, v2 src0_sel:BYTE_0 src1_sel:DWORD
	s_mov_b64 s[0:1], -1
	s_and_b64 vcc, exec, s[4:5]
	s_cbranch_vccnz .LBB7_1661
; %bb.1641:
	v_mov_b32_e32 v2, 8
	v_cmp_lt_i16_sdwa s[4:5], s33, v2 src0_sel:BYTE_0 src1_sel:DWORD
	s_and_b64 vcc, exec, s[4:5]
	s_cbranch_vccnz .LBB7_1651
; %bb.1642:
	v_mov_b32_e32 v2, 9
	v_cmp_lt_i16_sdwa s[4:5], s33, v2 src0_sel:BYTE_0 src1_sel:DWORD
	s_and_b64 vcc, exec, s[4:5]
	s_cbranch_vccnz .LBB7_1648
; %bb.1643:
	v_cmp_gt_i16_sdwa s[4:5], s33, v2 src0_sel:BYTE_0 src1_sel:DWORD
	s_and_b64 vcc, exec, s[4:5]
	s_cbranch_vccz .LBB7_1645
; %bb.1644:
	v_mov_b32_e32 v2, 0
	v_mov_b32_e32 v3, v2
	global_store_dwordx4 v[16:17], v[0:3], off
	s_mov_b64 s[0:1], 0
.LBB7_1645:
	s_andn2_b64 vcc, exec, s[0:1]
	s_cbranch_vccnz .LBB7_1647
; %bb.1646:
	v_cvt_f32_f64_e32 v2, v[0:1]
	v_mov_b32_e32 v3, 0
	global_store_dwordx2 v[16:17], v[2:3], off
.LBB7_1647:
	s_mov_b64 s[0:1], 0
.LBB7_1648:
	s_andn2_b64 vcc, exec, s[0:1]
	s_cbranch_vccnz .LBB7_1650
; %bb.1649:
	v_cvt_f32_f64_e32 v2, v[0:1]
	v_cvt_f16_f32_e32 v2, v2
	global_store_dword v[16:17], v2, off
.LBB7_1650:
	s_mov_b64 s[0:1], 0
.LBB7_1651:
	s_andn2_b64 vcc, exec, s[0:1]
	s_cbranch_vccnz .LBB7_1660
; %bb.1652:
	v_mov_b32_e32 v2, 6
	v_cmp_lt_i16_sdwa s[4:5], s33, v2 src0_sel:BYTE_0 src1_sel:DWORD
	s_mov_b64 s[0:1], -1
	s_and_b64 vcc, exec, s[4:5]
	s_cbranch_vccnz .LBB7_1658
; %bb.1653:
	v_cmp_gt_i16_sdwa s[4:5], s33, v2 src0_sel:BYTE_0 src1_sel:DWORD
	s_and_b64 vcc, exec, s[4:5]
	s_cbranch_vccz .LBB7_1655
; %bb.1654:
	global_store_dwordx2 v[16:17], v[0:1], off
	s_mov_b64 s[0:1], 0
.LBB7_1655:
	s_andn2_b64 vcc, exec, s[0:1]
	s_cbranch_vccnz .LBB7_1657
; %bb.1656:
	v_cvt_f32_f64_e32 v2, v[0:1]
	global_store_dword v[16:17], v2, off
.LBB7_1657:
	s_mov_b64 s[0:1], 0
.LBB7_1658:
	s_andn2_b64 vcc, exec, s[0:1]
	s_cbranch_vccnz .LBB7_1660
; %bb.1659:
	v_cvt_f32_f64_e32 v2, v[0:1]
	v_cvt_f16_f32_e32 v2, v2
	global_store_short v[16:17], v2, off
.LBB7_1660:
	s_mov_b64 s[0:1], 0
.LBB7_1661:
	s_andn2_b64 vcc, exec, s[0:1]
	s_cbranch_vccnz .LBB7_1677
; %bb.1662:
	v_mov_b32_e32 v2, 2
	v_cmp_lt_i16_sdwa s[4:5], s33, v2 src0_sel:BYTE_0 src1_sel:DWORD
	s_mov_b64 s[0:1], -1
	s_and_b64 vcc, exec, s[4:5]
	s_cbranch_vccnz .LBB7_1672
; %bb.1663:
	v_mov_b32_e32 v2, 3
	v_cmp_lt_i16_sdwa s[4:5], s33, v2 src0_sel:BYTE_0 src1_sel:DWORD
	s_and_b64 vcc, exec, s[4:5]
	s_cbranch_vccnz .LBB7_1669
; %bb.1664:
	v_cmp_gt_i16_sdwa s[4:5], s33, v2 src0_sel:BYTE_0 src1_sel:DWORD
	s_and_b64 vcc, exec, s[4:5]
	s_cbranch_vccz .LBB7_1666
; %bb.1665:
	v_trunc_f64_e32 v[2:3], v[0:1]
	s_movk_i32 s0, 0xffe0
	v_ldexp_f64 v[22:23], v[2:3], s0
	v_floor_f64_e32 v[22:23], v[22:23]
	v_fmac_f64_e32 v[2:3], 0xc1f00000, v[22:23]
	v_cvt_i32_f64_e32 v25, v[22:23]
	v_cvt_u32_f64_e32 v24, v[2:3]
	global_store_dwordx2 v[16:17], v[24:25], off
	s_mov_b64 s[0:1], 0
.LBB7_1666:
	s_andn2_b64 vcc, exec, s[0:1]
	s_cbranch_vccnz .LBB7_1668
; %bb.1667:
	v_cvt_i32_f64_e32 v2, v[0:1]
	global_store_dword v[16:17], v2, off
.LBB7_1668:
	s_mov_b64 s[0:1], 0
.LBB7_1669:
	s_andn2_b64 vcc, exec, s[0:1]
	s_cbranch_vccnz .LBB7_1671
; %bb.1670:
	v_cvt_i32_f64_e32 v2, v[0:1]
	global_store_short v[16:17], v2, off
.LBB7_1671:
	s_mov_b64 s[0:1], 0
.LBB7_1672:
	s_andn2_b64 vcc, exec, s[0:1]
	s_cbranch_vccnz .LBB7_1677
; %bb.1673:
	v_mov_b32_e32 v2, 0
	v_cmp_gt_i16_sdwa s[4:5], s33, v2 src0_sel:BYTE_0 src1_sel:DWORD
	s_mov_b64 s[0:1], -1
	s_and_b64 vcc, exec, s[4:5]
	s_cbranch_vccz .LBB7_1675
; %bb.1674:
	v_cvt_i32_f64_e32 v2, v[0:1]
	global_store_byte v[16:17], v2, off
	s_mov_b64 s[0:1], 0
.LBB7_1675:
	s_andn2_b64 vcc, exec, s[0:1]
	s_cbranch_vccnz .LBB7_1677
; %bb.1676:
	v_trunc_f64_e32 v[0:1], v[0:1]
	s_movk_i32 s0, 0xffe0
	v_ldexp_f64 v[2:3], v[0:1], s0
	v_floor_f64_e32 v[2:3], v[2:3]
	v_fmac_f64_e32 v[0:1], 0xc1f00000, v[2:3]
	v_cvt_u32_f64_e32 v0, v[0:1]
	global_store_byte v[16:17], v0, off
.LBB7_1677:
	s_mov_b64 s[10:11], -1
.LBB7_1678:
	s_andn2_b64 vcc, exec, s[10:11]
	s_cbranch_vccnz .LBB7_2009
; %bb.1679:
	s_lshl_b32 s14, s2, 7
	v_mul_f64 v[0:1], v[4:5], v[10:11]
	v_cmp_eq_f32_e32 vcc, 1.0, v19
	v_add_u32_e32 v10, s14, v18
	v_cndmask_b32_e32 v1, v1, v5, vcc
	v_cndmask_b32_e32 v0, v0, v4, vcc
	v_ashrrev_i32_e32 v2, 31, v10
	v_mov_b32_e32 v3, s9
	v_add_co_u32_e32 v4, vcc, s8, v10
	v_addc_co_u32_e32 v5, vcc, v3, v2, vcc
	v_mov_b32_e32 v2, 11
	v_cmp_lt_i16_sdwa s[0:1], s33, v2 src0_sel:BYTE_0 src1_sel:DWORD
	s_and_b64 vcc, exec, s[0:1]
	s_cbranch_vccnz .LBB7_1686
; %bb.1680:
	v_mov_b32_e32 v2, 25
	v_cmp_gt_i16_sdwa s[0:1], s33, v2 src0_sel:BYTE_0 src1_sel:DWORD
	s_mov_b64 s[10:11], -1
	s_mov_b64 s[2:3], 0
	s_and_b64 vcc, exec, s[0:1]
	s_mov_b64 s[4:5], 0
	s_mov_b64 s[0:1], 0
	s_cbranch_vccz .LBB7_1722
; %bb.1681:
	v_mov_b32_e32 v2, 28
	v_cmp_gt_i16_sdwa s[0:1], s33, v2 src0_sel:BYTE_0 src1_sel:DWORD
	s_and_b64 vcc, exec, s[0:1]
	s_cbranch_vccz .LBB7_1687
; %bb.1682:
	v_mov_b32_e32 v2, 43
	v_cmp_gt_i16_sdwa s[0:1], s33, v2 src0_sel:BYTE_0 src1_sel:DWORD
	s_and_b64 vcc, exec, s[0:1]
	;; [unrolled: 5-line block ×3, first 2 shown]
	s_cbranch_vccz .LBB7_1694
; %bb.1684:
	v_mov_b32_e32 v2, 46
	v_cmp_eq_u16_sdwa s[4:5], s33, v2 src0_sel:BYTE_0 src1_sel:DWORD
	s_mov_b64 s[0:1], -1
	s_mov_b64 s[10:11], 0
	s_and_b64 vcc, exec, s[4:5]
	s_mov_b64 s[4:5], 0
	s_cbranch_vccz .LBB7_1695
; %bb.1685:
	v_cvt_f32_f64_e32 v2, v[0:1]
	v_bfe_u32 v3, v2, 16, 1
	s_movk_i32 s0, 0x7fff
	v_add3_u32 v3, v2, v3, s0
	v_lshrrev_b32_e32 v3, 16, v3
	v_mov_b32_e32 v11, 0x7fc0
	v_cmp_o_f32_e32 vcc, v2, v2
	v_cndmask_b32_e32 v2, v11, v3, vcc
	global_store_dword v[4:5], v2, off
	s_mov_b64 s[0:1], 0
	s_mov_b64 s[4:5], -1
	s_branch .LBB7_1695
.LBB7_1686:
	s_mov_b64 s[0:1], -1
	s_mov_b64 s[4:5], 0
	s_branch .LBB7_1766
.LBB7_1687:
	s_mov_b64 s[0:1], 0
	s_branch .LBB7_1705
.LBB7_1688:
	s_or_saveexec_b64 s[14:15], s[14:15]
                                        ; implicit-def: $sgpr3
	s_xor_b64 exec, exec, s[14:15]
	s_cbranch_execz .LBB7_1589
.LBB7_1689:
	s_mov_b32 s3, 0x46000000
	v_add_f32_e64 v3, |v2|, s3
	v_and_b32_e32 v3, 0xff, v3
	v_cmp_ne_u32_e32 vcc, 0, v3
	s_andn2_b64 s[12:13], s[12:13], exec
	s_and_b64 s[20:21], vcc, exec
	s_mov_b32 s3, 0
	s_or_b64 s[12:13], s[12:13], s[20:21]
	s_or_b64 exec, exec, s[14:15]
	v_mov_b32_e32 v22, s3
	s_and_saveexec_b64 s[14:15], s[12:13]
	s_cbranch_execnz .LBB7_1590
	s_branch .LBB7_1591
.LBB7_1690:
	s_mov_b64 s[0:1], 0
	s_branch .LBB7_1701
.LBB7_1691:
	s_trap 2
	s_or_b64 s[18:19], s[18:19], exec
	s_cbranch_execz .LBB7_1637
	s_branch .LBB7_1638
.LBB7_1692:
	s_or_saveexec_b64 s[12:13], s[12:13]
                                        ; implicit-def: $sgpr3
	s_xor_b64 exec, exec, s[12:13]
	s_cbranch_execz .LBB7_1602
.LBB7_1693:
	s_mov_b32 s3, 0x42800000
	v_add_f32_e64 v3, |v2|, s3
	v_and_b32_e32 v3, 0xff, v3
	v_cmp_ne_u32_e32 vcc, 0, v3
	s_andn2_b64 s[10:11], s[10:11], exec
	s_and_b64 s[14:15], vcc, exec
	s_mov_b32 s3, 0
	s_or_b64 s[10:11], s[10:11], s[14:15]
	s_or_b64 exec, exec, s[12:13]
	v_mov_b32_e32 v22, s3
	s_and_saveexec_b64 s[12:13], s[10:11]
	s_cbranch_execnz .LBB7_1603
	s_branch .LBB7_1604
.LBB7_1694:
	s_mov_b64 s[0:1], 0
.LBB7_1695:
	s_and_b64 vcc, exec, s[10:11]
	s_cbranch_vccz .LBB7_1700
; %bb.1696:
	v_mov_b32_e32 v2, 44
	v_cmp_eq_u16_sdwa s[10:11], s33, v2 src0_sel:BYTE_0 src1_sel:DWORD
	s_mov_b64 s[0:1], -1
	s_and_b64 vcc, exec, s[10:11]
	s_cbranch_vccz .LBB7_1700
; %bb.1697:
	v_cvt_f32_f64_e32 v2, v[0:1]
	v_bfe_u32 v3, v2, 23, 8
	s_movk_i32 s0, 0xff
	v_cmp_ne_u32_e32 vcc, s0, v3
	v_mov_b32_e32 v11, 0xff
	s_and_saveexec_b64 s[4:5], vcc
; %bb.1698:
	s_mov_b32 s0, 0x3fffff
	v_lshrrev_b32_e32 v11, 23, v2
	v_and_b32_e32 v16, 0x400000, v2
	v_and_or_b32 v2, v2, s0, v3
	v_cmp_ne_u32_e32 vcc, 0, v16
	v_cmp_ne_u32_e64 s[0:1], 0, v2
	s_and_b64 s[0:1], vcc, s[0:1]
	v_cndmask_b32_e64 v2, 0, 1, s[0:1]
	v_add_u32_e32 v11, v11, v2
; %bb.1699:
	s_or_b64 exec, exec, s[4:5]
	s_mov_b64 s[0:1], 0
	s_mov_b64 s[4:5], -1
	global_store_byte v[4:5], v11, off
.LBB7_1700:
	s_mov_b64 s[10:11], 0
.LBB7_1701:
	s_and_b64 vcc, exec, s[10:11]
	s_cbranch_vccz .LBB7_1704
; %bb.1702:
	v_mov_b32_e32 v2, 29
	v_cmp_eq_u16_sdwa s[10:11], s33, v2 src0_sel:BYTE_0 src1_sel:DWORD
	s_mov_b64 s[0:1], -1
	s_and_b64 vcc, exec, s[10:11]
	s_cbranch_vccz .LBB7_1704
; %bb.1703:
	v_trunc_f64_e32 v[2:3], v[0:1]
	s_movk_i32 s0, 0xffe0
	v_ldexp_f64 v[16:17], v[2:3], s0
	v_floor_f64_e32 v[16:17], v[16:17]
	v_fmac_f64_e32 v[2:3], 0xc1f00000, v[16:17]
	v_cvt_u32_f64_e32 v19, v[16:17]
	v_cvt_u32_f64_e32 v18, v[2:3]
	global_store_dwordx2 v[4:5], v[18:19], off
	s_mov_b64 s[0:1], 0
	s_mov_b64 s[4:5], -1
.LBB7_1704:
	s_mov_b64 s[10:11], 0
.LBB7_1705:
	s_and_b64 vcc, exec, s[10:11]
	s_cbranch_vccz .LBB7_1721
; %bb.1706:
	v_mov_b32_e32 v2, 27
	v_cmp_lt_i16_sdwa s[10:11], s33, v2 src0_sel:BYTE_0 src1_sel:DWORD
	s_mov_b64 s[4:5], -1
	s_and_b64 vcc, exec, s[10:11]
	s_cbranch_vccnz .LBB7_1712
; %bb.1707:
	v_cmp_gt_i16_sdwa s[10:11], s33, v2 src0_sel:BYTE_0 src1_sel:DWORD
	s_and_b64 vcc, exec, s[10:11]
	v_cvt_u32_f64_e32 v2, v[0:1]
	s_cbranch_vccz .LBB7_1709
; %bb.1708:
	s_mov_b64 s[4:5], 0
	global_store_dword v[4:5], v2, off
.LBB7_1709:
	s_andn2_b64 vcc, exec, s[4:5]
	s_cbranch_vccnz .LBB7_1711
; %bb.1710:
	global_store_short v[4:5], v2, off
.LBB7_1711:
	s_mov_b64 s[4:5], 0
.LBB7_1712:
	s_andn2_b64 vcc, exec, s[4:5]
	s_cbranch_vccnz .LBB7_1720
; %bb.1713:
	v_cvt_f32_f64_e32 v2, v[0:1]
	v_and_b32_e32 v3, 0x7fffffff, v2
	s_mov_b32 s4, 0x43800000
	v_cmp_gt_u32_e32 vcc, s4, v3
	v_mov_b32_e32 v11, 0x80
	s_and_saveexec_b64 s[4:5], vcc
	s_cbranch_execz .LBB7_1719
; %bb.1714:
	s_mov_b32 s10, 0x3bffffff
	v_cmp_lt_u32_e32 vcc, s10, v3
	s_mov_b64 s[10:11], 0
                                        ; implicit-def: $vgpr3
	s_and_saveexec_b64 s[12:13], vcc
	s_xor_b64 s[12:13], exec, s[12:13]
	s_cbranch_execz .LBB7_1815
; %bb.1715:
	v_bfe_u32 v3, v2, 20, 1
	s_mov_b32 s15, 0x487ffff
	v_add3_u32 v3, v2, v3, s15
	s_mov_b64 s[10:11], exec
	v_lshrrev_b32_e32 v3, 20, v3
	s_or_saveexec_b64 s[12:13], s[12:13]
                                        ; implicit-def: $sgpr15
	s_xor_b64 exec, exec, s[12:13]
	s_cbranch_execnz .LBB7_1816
.LBB7_1716:
	s_or_b64 exec, exec, s[12:13]
	v_mov_b32_e32 v11, s15
	s_and_saveexec_b64 s[12:13], s[10:11]
.LBB7_1717:
	v_lshrrev_b32_e32 v2, 24, v2
	s_movk_i32 s10, 0x80
	v_and_or_b32 v11, v2, s10, v3
.LBB7_1718:
	s_or_b64 exec, exec, s[12:13]
.LBB7_1719:
	s_or_b64 exec, exec, s[4:5]
	global_store_byte v[4:5], v11, off
.LBB7_1720:
	s_mov_b64 s[4:5], -1
.LBB7_1721:
	s_mov_b64 s[10:11], 0
.LBB7_1722:
	s_and_b64 vcc, exec, s[10:11]
	s_cbranch_vccz .LBB7_1762
; %bb.1723:
	v_mov_b32_e32 v2, 22
	v_cmp_gt_i16_sdwa s[10:11], s33, v2 src0_sel:BYTE_0 src1_sel:DWORD
	s_mov_b64 s[2:3], -1
	s_and_b64 vcc, exec, s[10:11]
	s_cbranch_vccz .LBB7_1755
; %bb.1724:
	v_mov_b32_e32 v2, 24
	v_cmp_lt_i16_sdwa s[4:5], s33, v2 src0_sel:BYTE_0 src1_sel:DWORD
	s_and_b64 vcc, exec, s[4:5]
	s_cbranch_vccnz .LBB7_1744
; %bb.1725:
	v_cmp_gt_i16_sdwa s[4:5], s33, v2 src0_sel:BYTE_0 src1_sel:DWORD
	s_and_b64 vcc, exec, s[4:5]
	s_cbranch_vccz .LBB7_1733
; %bb.1726:
	v_cvt_f32_f64_e32 v2, v[0:1]
	v_and_b32_e32 v3, 0x7fffffff, v2
	s_mov_b32 s2, 0x47800000
	v_cmp_gt_u32_e32 vcc, s2, v3
	v_mov_b32_e32 v11, 0x80
	s_and_saveexec_b64 s[2:3], vcc
	s_cbranch_execz .LBB7_1732
; %bb.1727:
	s_mov_b32 s4, 0x37ffffff
	v_cmp_lt_u32_e32 vcc, s4, v3
	s_mov_b64 s[4:5], 0
                                        ; implicit-def: $vgpr3
	s_and_saveexec_b64 s[10:11], vcc
	s_xor_b64 s[10:11], exec, s[10:11]
	s_cbranch_execz .LBB7_1819
; %bb.1728:
	v_bfe_u32 v3, v2, 21, 1
	s_mov_b32 s12, 0x88fffff
	v_add3_u32 v3, v2, v3, s12
	s_mov_b64 s[4:5], exec
	v_lshrrev_b32_e32 v3, 21, v3
	s_or_saveexec_b64 s[10:11], s[10:11]
                                        ; implicit-def: $sgpr12
	s_xor_b64 exec, exec, s[10:11]
	s_cbranch_execnz .LBB7_1820
.LBB7_1729:
	s_or_b64 exec, exec, s[10:11]
	v_mov_b32_e32 v11, s12
	s_and_saveexec_b64 s[10:11], s[4:5]
.LBB7_1730:
	v_lshrrev_b32_e32 v2, 24, v2
	s_movk_i32 s4, 0x80
	v_and_or_b32 v11, v2, s4, v3
.LBB7_1731:
	s_or_b64 exec, exec, s[10:11]
.LBB7_1732:
	s_or_b64 exec, exec, s[2:3]
	s_mov_b64 s[2:3], 0
	global_store_byte v[4:5], v11, off
.LBB7_1733:
	s_and_b64 vcc, exec, s[2:3]
	s_cbranch_vccz .LBB7_1743
; %bb.1734:
	v_cvt_f32_f64_e32 v2, v[0:1]
	v_and_b32_e32 v11, 0x7fffffff, v2
	s_mov_b32 s2, 0x43f00000
	v_cmp_gt_u32_e32 vcc, s2, v11
                                        ; implicit-def: $vgpr3
	s_and_saveexec_b64 s[2:3], vcc
	s_xor_b64 s[2:3], exec, s[2:3]
	s_cbranch_execz .LBB7_1740
; %bb.1735:
	s_mov_b32 s4, 0x3c7fffff
	v_cmp_lt_u32_e32 vcc, s4, v11
                                        ; implicit-def: $vgpr3
	s_and_saveexec_b64 s[4:5], vcc
	s_xor_b64 s[4:5], exec, s[4:5]
; %bb.1736:
	v_bfe_u32 v3, v2, 20, 1
	s_mov_b32 s10, 0x407ffff
	v_add3_u32 v3, v2, v3, s10
	v_lshrrev_b32_e32 v11, 20, v3
	v_and_b32_e32 v3, 0xff00000, v3
	s_mov_b32 s10, 0x7f00000
	v_mov_b32_e32 v16, 0x7e
	v_cmp_ne_u32_e32 vcc, s10, v3
	v_cndmask_b32_e32 v3, v16, v11, vcc
; %bb.1737:
	s_andn2_saveexec_b64 s[4:5], s[4:5]
; %bb.1738:
	s_mov_b32 s10, 0x46800000
	v_add_f32_e64 v3, |v2|, s10
; %bb.1739:
	s_or_b64 exec, exec, s[4:5]
                                        ; implicit-def: $vgpr11
.LBB7_1740:
	s_andn2_saveexec_b64 s[2:3], s[2:3]
; %bb.1741:
	s_mov_b32 s4, 0x7f800000
	v_mov_b32_e32 v3, 0x7e
	v_mov_b32_e32 v16, 0x7f
	v_cmp_lt_u32_e32 vcc, s4, v11
	v_cndmask_b32_e32 v3, v3, v16, vcc
; %bb.1742:
	s_or_b64 exec, exec, s[2:3]
	v_lshrrev_b32_e32 v2, 24, v2
	s_movk_i32 s2, 0x80
	v_and_or_b32 v2, v2, s2, v3
	global_store_byte v[4:5], v2, off
.LBB7_1743:
	s_mov_b64 s[2:3], 0
.LBB7_1744:
	s_andn2_b64 vcc, exec, s[2:3]
	s_cbranch_vccnz .LBB7_1754
; %bb.1745:
	v_cvt_f32_f64_e32 v2, v[0:1]
	v_and_b32_e32 v11, 0x7fffffff, v2
	s_mov_b32 s2, 0x47800000
	v_cmp_gt_u32_e32 vcc, s2, v11
                                        ; implicit-def: $vgpr3
	s_and_saveexec_b64 s[2:3], vcc
	s_xor_b64 s[2:3], exec, s[2:3]
	s_cbranch_execz .LBB7_1751
; %bb.1746:
	s_mov_b32 s4, 0x387fffff
	v_cmp_lt_u32_e32 vcc, s4, v11
                                        ; implicit-def: $vgpr3
	s_and_saveexec_b64 s[4:5], vcc
	s_xor_b64 s[4:5], exec, s[4:5]
; %bb.1747:
	v_bfe_u32 v3, v2, 21, 1
	s_mov_b32 s10, 0x80fffff
	v_add3_u32 v3, v2, v3, s10
	v_lshrrev_b32_e32 v3, 21, v3
; %bb.1748:
	s_andn2_saveexec_b64 s[4:5], s[4:5]
; %bb.1749:
	s_mov_b32 s10, 0x43000000
	v_add_f32_e64 v3, |v2|, s10
; %bb.1750:
	s_or_b64 exec, exec, s[4:5]
                                        ; implicit-def: $vgpr11
.LBB7_1751:
	s_andn2_saveexec_b64 s[2:3], s[2:3]
; %bb.1752:
	s_mov_b32 s4, 0x7f800000
	v_mov_b32_e32 v3, 0x7c
	v_mov_b32_e32 v16, 0x7f
	v_cmp_lt_u32_e32 vcc, s4, v11
	v_cndmask_b32_e32 v3, v3, v16, vcc
; %bb.1753:
	s_or_b64 exec, exec, s[2:3]
	v_lshrrev_b32_e32 v2, 24, v2
	s_movk_i32 s2, 0x80
	v_and_or_b32 v2, v2, s2, v3
	global_store_byte v[4:5], v2, off
.LBB7_1754:
	s_mov_b64 s[2:3], 0
	s_mov_b64 s[4:5], -1
.LBB7_1755:
	s_andn2_b64 vcc, exec, s[2:3]
	s_mov_b64 s[2:3], 0
	s_cbranch_vccnz .LBB7_1762
; %bb.1756:
	v_mov_b32_e32 v2, 14
	v_cmp_gt_i16_sdwa s[2:3], s33, v2 src0_sel:BYTE_0 src1_sel:DWORD
	s_mov_b64 s[10:11], -1
	s_and_b64 vcc, exec, s[2:3]
	s_cbranch_vccz .LBB7_1760
; %bb.1757:
	v_mov_b32_e32 v2, 15
	v_cmp_eq_u16_sdwa s[2:3], s33, v2 src0_sel:BYTE_0 src1_sel:DWORD
	s_mov_b64 s[0:1], -1
	s_and_b64 vcc, exec, s[2:3]
	s_cbranch_vccz .LBB7_1759
; %bb.1758:
	v_cvt_f32_f64_e32 v2, v[0:1]
	v_bfe_u32 v3, v2, 16, 1
	s_movk_i32 s0, 0x7fff
	v_add3_u32 v3, v2, v3, s0
	v_lshrrev_b32_e32 v3, 16, v3
	v_mov_b32_e32 v11, 0x7fc0
	v_cmp_o_f32_e32 vcc, v2, v2
	v_cndmask_b32_e32 v2, v11, v3, vcc
	global_store_short v[4:5], v2, off
	s_mov_b64 s[0:1], 0
	s_mov_b64 s[4:5], -1
.LBB7_1759:
	s_mov_b64 s[10:11], 0
.LBB7_1760:
	s_mov_b64 s[2:3], 0
	s_and_b64 vcc, exec, s[10:11]
	s_cbranch_vccz .LBB7_1762
; %bb.1761:
	v_mov_b32_e32 v2, 11
	v_cmp_ne_u16_sdwa s[0:1], s33, v2 src0_sel:BYTE_0 src1_sel:DWORD
	s_mov_b64 s[2:3], -1
.LBB7_1762:
	s_and_b64 vcc, exec, s[0:1]
	s_cbranch_vccnz .LBB7_1818
; %bb.1763:
	s_andn2_b64 vcc, exec, s[2:3]
	s_cbranch_vccnz .LBB7_1765
.LBB7_1764:
	v_cmp_neq_f64_e32 vcc, 0, v[0:1]
	v_cndmask_b32_e64 v2, 0, 1, vcc
	s_mov_b64 s[4:5], -1
	global_store_byte v[4:5], v2, off
.LBB7_1765:
	s_mov_b64 s[0:1], 0
.LBB7_1766:
	s_and_b64 vcc, exec, s[0:1]
	s_cbranch_vccz .LBB7_1805
; %bb.1767:
	v_mov_b32_e32 v2, 5
	v_cmp_lt_i16_sdwa s[2:3], s33, v2 src0_sel:BYTE_0 src1_sel:DWORD
	s_mov_b64 s[0:1], -1
	s_and_b64 vcc, exec, s[2:3]
	s_cbranch_vccnz .LBB7_1788
; %bb.1768:
	v_mov_b32_e32 v2, 8
	v_cmp_lt_i16_sdwa s[2:3], s33, v2 src0_sel:BYTE_0 src1_sel:DWORD
	s_and_b64 vcc, exec, s[2:3]
	s_cbranch_vccnz .LBB7_1778
; %bb.1769:
	v_mov_b32_e32 v2, 9
	v_cmp_lt_i16_sdwa s[2:3], s33, v2 src0_sel:BYTE_0 src1_sel:DWORD
	s_and_b64 vcc, exec, s[2:3]
	s_cbranch_vccnz .LBB7_1775
; %bb.1770:
	v_cmp_gt_i16_sdwa s[2:3], s33, v2 src0_sel:BYTE_0 src1_sel:DWORD
	s_and_b64 vcc, exec, s[2:3]
	s_cbranch_vccz .LBB7_1772
; %bb.1771:
	v_mov_b32_e32 v2, 0
	v_mov_b32_e32 v3, v2
	global_store_dwordx4 v[4:5], v[0:3], off
	s_mov_b64 s[0:1], 0
.LBB7_1772:
	s_andn2_b64 vcc, exec, s[0:1]
	s_cbranch_vccnz .LBB7_1774
; %bb.1773:
	v_cvt_f32_f64_e32 v2, v[0:1]
	v_mov_b32_e32 v3, 0
	global_store_dwordx2 v[4:5], v[2:3], off
.LBB7_1774:
	s_mov_b64 s[0:1], 0
.LBB7_1775:
	s_andn2_b64 vcc, exec, s[0:1]
	s_cbranch_vccnz .LBB7_1777
; %bb.1776:
	v_cvt_f32_f64_e32 v2, v[0:1]
	v_cvt_f16_f32_e32 v2, v2
	global_store_dword v[4:5], v2, off
.LBB7_1777:
	s_mov_b64 s[0:1], 0
.LBB7_1778:
	s_andn2_b64 vcc, exec, s[0:1]
	s_cbranch_vccnz .LBB7_1787
; %bb.1779:
	v_mov_b32_e32 v2, 6
	v_cmp_lt_i16_sdwa s[2:3], s33, v2 src0_sel:BYTE_0 src1_sel:DWORD
	s_mov_b64 s[0:1], -1
	s_and_b64 vcc, exec, s[2:3]
	s_cbranch_vccnz .LBB7_1785
; %bb.1780:
	v_cmp_gt_i16_sdwa s[2:3], s33, v2 src0_sel:BYTE_0 src1_sel:DWORD
	s_and_b64 vcc, exec, s[2:3]
	s_cbranch_vccz .LBB7_1782
; %bb.1781:
	global_store_dwordx2 v[4:5], v[0:1], off
	s_mov_b64 s[0:1], 0
.LBB7_1782:
	s_andn2_b64 vcc, exec, s[0:1]
	s_cbranch_vccnz .LBB7_1784
; %bb.1783:
	v_cvt_f32_f64_e32 v2, v[0:1]
	global_store_dword v[4:5], v2, off
.LBB7_1784:
	s_mov_b64 s[0:1], 0
.LBB7_1785:
	s_andn2_b64 vcc, exec, s[0:1]
	s_cbranch_vccnz .LBB7_1787
; %bb.1786:
	v_cvt_f32_f64_e32 v2, v[0:1]
	v_cvt_f16_f32_e32 v2, v2
	global_store_short v[4:5], v2, off
.LBB7_1787:
	s_mov_b64 s[0:1], 0
.LBB7_1788:
	s_andn2_b64 vcc, exec, s[0:1]
	s_cbranch_vccnz .LBB7_1804
; %bb.1789:
	v_mov_b32_e32 v2, 2
	v_cmp_lt_i16_sdwa s[2:3], s33, v2 src0_sel:BYTE_0 src1_sel:DWORD
	s_mov_b64 s[0:1], -1
	s_and_b64 vcc, exec, s[2:3]
	s_cbranch_vccnz .LBB7_1799
; %bb.1790:
	v_mov_b32_e32 v2, 3
	v_cmp_lt_i16_sdwa s[2:3], s33, v2 src0_sel:BYTE_0 src1_sel:DWORD
	s_and_b64 vcc, exec, s[2:3]
	s_cbranch_vccnz .LBB7_1796
; %bb.1791:
	v_cmp_gt_i16_sdwa s[2:3], s33, v2 src0_sel:BYTE_0 src1_sel:DWORD
	s_and_b64 vcc, exec, s[2:3]
	s_cbranch_vccz .LBB7_1793
; %bb.1792:
	v_trunc_f64_e32 v[2:3], v[0:1]
	s_movk_i32 s0, 0xffe0
	v_ldexp_f64 v[16:17], v[2:3], s0
	v_floor_f64_e32 v[16:17], v[16:17]
	v_fmac_f64_e32 v[2:3], 0xc1f00000, v[16:17]
	v_cvt_i32_f64_e32 v19, v[16:17]
	v_cvt_u32_f64_e32 v18, v[2:3]
	global_store_dwordx2 v[4:5], v[18:19], off
	s_mov_b64 s[0:1], 0
.LBB7_1793:
	s_andn2_b64 vcc, exec, s[0:1]
	s_cbranch_vccnz .LBB7_1795
; %bb.1794:
	v_cvt_i32_f64_e32 v2, v[0:1]
	global_store_dword v[4:5], v2, off
.LBB7_1795:
	s_mov_b64 s[0:1], 0
.LBB7_1796:
	s_andn2_b64 vcc, exec, s[0:1]
	s_cbranch_vccnz .LBB7_1798
; %bb.1797:
	v_cvt_i32_f64_e32 v2, v[0:1]
	global_store_short v[4:5], v2, off
.LBB7_1798:
	s_mov_b64 s[0:1], 0
.LBB7_1799:
	s_andn2_b64 vcc, exec, s[0:1]
	s_cbranch_vccnz .LBB7_1804
; %bb.1800:
	v_mov_b32_e32 v2, 0
	v_cmp_gt_i16_sdwa s[2:3], s33, v2 src0_sel:BYTE_0 src1_sel:DWORD
	s_mov_b64 s[0:1], -1
	s_and_b64 vcc, exec, s[2:3]
	s_cbranch_vccz .LBB7_1802
; %bb.1801:
	v_cvt_i32_f64_e32 v2, v[0:1]
	global_store_byte v[4:5], v2, off
	s_mov_b64 s[0:1], 0
.LBB7_1802:
	s_andn2_b64 vcc, exec, s[0:1]
	s_cbranch_vccnz .LBB7_1804
; %bb.1803:
	v_trunc_f64_e32 v[0:1], v[0:1]
	s_movk_i32 s0, 0xffe0
	v_ldexp_f64 v[2:3], v[0:1], s0
	v_floor_f64_e32 v[2:3], v[2:3]
	v_fmac_f64_e32 v[0:1], 0xc1f00000, v[2:3]
	v_cvt_u32_f64_e32 v0, v[0:1]
	global_store_byte v[4:5], v0, off
.LBB7_1804:
	s_mov_b64 s[4:5], -1
.LBB7_1805:
	s_andn2_b64 vcc, exec, s[4:5]
	s_cbranch_vccnz .LBB7_2009
; %bb.1806:
	v_mul_f64 v[0:1], v[6:7], v[12:13]
	v_cmp_eq_f32_e32 vcc, 1.0, v20
	v_cndmask_b32_e32 v0, v0, v6, vcc
	v_add_u32_e32 v6, s14, v10
	v_cndmask_b32_e32 v1, v1, v7, vcc
	v_ashrrev_i32_e32 v2, 31, v6
	v_mov_b32_e32 v3, s9
	v_add_co_u32_e32 v4, vcc, s8, v6
	v_addc_co_u32_e32 v5, vcc, v3, v2, vcc
	v_mov_b32_e32 v2, 11
	v_cmp_lt_i16_sdwa s[0:1], s33, v2 src0_sel:BYTE_0 src1_sel:DWORD
	s_and_b64 vcc, exec, s[0:1]
	s_cbranch_vccnz .LBB7_1813
; %bb.1807:
	v_mov_b32_e32 v2, 25
	v_cmp_gt_i16_sdwa s[0:1], s33, v2 src0_sel:BYTE_0 src1_sel:DWORD
	s_mov_b64 s[10:11], -1
	s_mov_b64 s[2:3], 0
	s_and_b64 vcc, exec, s[0:1]
	s_mov_b64 s[4:5], 0
	s_mov_b64 s[0:1], 0
	s_cbranch_vccz .LBB7_1849
; %bb.1808:
	v_mov_b32_e32 v2, 28
	v_cmp_gt_i16_sdwa s[0:1], s33, v2 src0_sel:BYTE_0 src1_sel:DWORD
	s_and_b64 vcc, exec, s[0:1]
	s_cbranch_vccz .LBB7_1814
; %bb.1809:
	v_mov_b32_e32 v2, 43
	v_cmp_gt_i16_sdwa s[0:1], s33, v2 src0_sel:BYTE_0 src1_sel:DWORD
	s_and_b64 vcc, exec, s[0:1]
	;; [unrolled: 5-line block ×3, first 2 shown]
	s_cbranch_vccz .LBB7_1821
; %bb.1811:
	v_mov_b32_e32 v2, 46
	v_cmp_eq_u16_sdwa s[4:5], s33, v2 src0_sel:BYTE_0 src1_sel:DWORD
	s_mov_b64 s[0:1], -1
	s_mov_b64 s[10:11], 0
	s_and_b64 vcc, exec, s[4:5]
	s_mov_b64 s[4:5], 0
	s_cbranch_vccz .LBB7_1822
; %bb.1812:
	v_cvt_f32_f64_e32 v2, v[0:1]
	v_bfe_u32 v3, v2, 16, 1
	s_movk_i32 s0, 0x7fff
	v_add3_u32 v3, v2, v3, s0
	v_lshrrev_b32_e32 v3, 16, v3
	v_mov_b32_e32 v7, 0x7fc0
	v_cmp_o_f32_e32 vcc, v2, v2
	v_cndmask_b32_e32 v2, v7, v3, vcc
	global_store_dword v[4:5], v2, off
	s_mov_b64 s[0:1], 0
	s_mov_b64 s[4:5], -1
	s_branch .LBB7_1822
.LBB7_1813:
	s_mov_b64 s[0:1], -1
	s_mov_b64 s[4:5], 0
	s_branch .LBB7_1893
.LBB7_1814:
	s_mov_b64 s[0:1], 0
	s_branch .LBB7_1832
.LBB7_1815:
	s_or_saveexec_b64 s[12:13], s[12:13]
                                        ; implicit-def: $sgpr15
	s_xor_b64 exec, exec, s[12:13]
	s_cbranch_execz .LBB7_1716
.LBB7_1816:
	s_mov_b32 s15, 0x46000000
	v_add_f32_e64 v3, |v2|, s15
	v_and_b32_e32 v3, 0xff, v3
	v_cmp_ne_u32_e32 vcc, 0, v3
	s_andn2_b64 s[10:11], s[10:11], exec
	s_and_b64 s[20:21], vcc, exec
	s_mov_b32 s15, 0
	s_or_b64 s[10:11], s[10:11], s[20:21]
	s_or_b64 exec, exec, s[12:13]
	v_mov_b32_e32 v11, s15
	s_and_saveexec_b64 s[12:13], s[10:11]
	s_cbranch_execnz .LBB7_1717
	s_branch .LBB7_1718
.LBB7_1817:
	s_mov_b64 s[0:1], 0
	s_branch .LBB7_1828
.LBB7_1818:
	s_trap 2
	s_or_b64 s[18:19], s[18:19], exec
	s_cbranch_execz .LBB7_1764
	s_branch .LBB7_1765
.LBB7_1819:
	s_or_saveexec_b64 s[10:11], s[10:11]
                                        ; implicit-def: $sgpr12
	s_xor_b64 exec, exec, s[10:11]
	s_cbranch_execz .LBB7_1729
.LBB7_1820:
	s_mov_b32 s12, 0x42800000
	v_add_f32_e64 v3, |v2|, s12
	v_and_b32_e32 v3, 0xff, v3
	v_cmp_ne_u32_e32 vcc, 0, v3
	s_andn2_b64 s[4:5], s[4:5], exec
	s_and_b64 s[20:21], vcc, exec
	s_mov_b32 s12, 0
	s_or_b64 s[4:5], s[4:5], s[20:21]
	s_or_b64 exec, exec, s[10:11]
	v_mov_b32_e32 v11, s12
	s_and_saveexec_b64 s[10:11], s[4:5]
	s_cbranch_execnz .LBB7_1730
	s_branch .LBB7_1731
.LBB7_1821:
	s_mov_b64 s[0:1], 0
.LBB7_1822:
	s_and_b64 vcc, exec, s[10:11]
	s_cbranch_vccz .LBB7_1827
; %bb.1823:
	v_mov_b32_e32 v2, 44
	v_cmp_eq_u16_sdwa s[10:11], s33, v2 src0_sel:BYTE_0 src1_sel:DWORD
	s_mov_b64 s[0:1], -1
	s_and_b64 vcc, exec, s[10:11]
	s_cbranch_vccz .LBB7_1827
; %bb.1824:
	v_cvt_f32_f64_e32 v2, v[0:1]
	v_bfe_u32 v3, v2, 23, 8
	s_movk_i32 s0, 0xff
	v_cmp_ne_u32_e32 vcc, s0, v3
	v_mov_b32_e32 v7, 0xff
	s_and_saveexec_b64 s[4:5], vcc
; %bb.1825:
	s_mov_b32 s0, 0x3fffff
	v_lshrrev_b32_e32 v7, 23, v2
	v_and_b32_e32 v10, 0x400000, v2
	v_and_or_b32 v2, v2, s0, v3
	v_cmp_ne_u32_e32 vcc, 0, v10
	v_cmp_ne_u32_e64 s[0:1], 0, v2
	s_and_b64 s[0:1], vcc, s[0:1]
	v_cndmask_b32_e64 v2, 0, 1, s[0:1]
	v_add_u32_e32 v7, v7, v2
; %bb.1826:
	s_or_b64 exec, exec, s[4:5]
	s_mov_b64 s[0:1], 0
	s_mov_b64 s[4:5], -1
	global_store_byte v[4:5], v7, off
.LBB7_1827:
	s_mov_b64 s[10:11], 0
.LBB7_1828:
	s_and_b64 vcc, exec, s[10:11]
	s_cbranch_vccz .LBB7_1831
; %bb.1829:
	v_mov_b32_e32 v2, 29
	v_cmp_eq_u16_sdwa s[10:11], s33, v2 src0_sel:BYTE_0 src1_sel:DWORD
	s_mov_b64 s[0:1], -1
	s_and_b64 vcc, exec, s[10:11]
	s_cbranch_vccz .LBB7_1831
; %bb.1830:
	v_trunc_f64_e32 v[2:3], v[0:1]
	s_movk_i32 s0, 0xffe0
	v_ldexp_f64 v[10:11], v[2:3], s0
	v_floor_f64_e32 v[10:11], v[10:11]
	v_fmac_f64_e32 v[2:3], 0xc1f00000, v[10:11]
	v_cvt_u32_f64_e32 v13, v[10:11]
	v_cvt_u32_f64_e32 v12, v[2:3]
	global_store_dwordx2 v[4:5], v[12:13], off
	s_mov_b64 s[0:1], 0
	s_mov_b64 s[4:5], -1
.LBB7_1831:
	s_mov_b64 s[10:11], 0
.LBB7_1832:
	s_and_b64 vcc, exec, s[10:11]
	s_cbranch_vccz .LBB7_1848
; %bb.1833:
	v_mov_b32_e32 v2, 27
	v_cmp_lt_i16_sdwa s[10:11], s33, v2 src0_sel:BYTE_0 src1_sel:DWORD
	s_mov_b64 s[4:5], -1
	s_and_b64 vcc, exec, s[10:11]
	s_cbranch_vccnz .LBB7_1839
; %bb.1834:
	v_cmp_gt_i16_sdwa s[10:11], s33, v2 src0_sel:BYTE_0 src1_sel:DWORD
	s_and_b64 vcc, exec, s[10:11]
	v_cvt_u32_f64_e32 v2, v[0:1]
	s_cbranch_vccz .LBB7_1836
; %bb.1835:
	s_mov_b64 s[4:5], 0
	global_store_dword v[4:5], v2, off
.LBB7_1836:
	s_andn2_b64 vcc, exec, s[4:5]
	s_cbranch_vccnz .LBB7_1838
; %bb.1837:
	global_store_short v[4:5], v2, off
.LBB7_1838:
	s_mov_b64 s[4:5], 0
.LBB7_1839:
	s_andn2_b64 vcc, exec, s[4:5]
	s_cbranch_vccnz .LBB7_1847
; %bb.1840:
	v_cvt_f32_f64_e32 v2, v[0:1]
	v_and_b32_e32 v3, 0x7fffffff, v2
	s_mov_b32 s4, 0x43800000
	v_cmp_gt_u32_e32 vcc, s4, v3
	v_mov_b32_e32 v7, 0x80
	s_and_saveexec_b64 s[4:5], vcc
	s_cbranch_execz .LBB7_1846
; %bb.1841:
	s_mov_b32 s10, 0x3bffffff
	v_cmp_lt_u32_e32 vcc, s10, v3
	s_mov_b64 s[10:11], 0
                                        ; implicit-def: $vgpr3
	s_and_saveexec_b64 s[12:13], vcc
	s_xor_b64 s[12:13], exec, s[12:13]
	s_cbranch_execz .LBB7_2055
; %bb.1842:
	v_bfe_u32 v3, v2, 20, 1
	s_mov_b32 s15, 0x487ffff
	v_add3_u32 v3, v2, v3, s15
	s_mov_b64 s[10:11], exec
	v_lshrrev_b32_e32 v3, 20, v3
	s_or_saveexec_b64 s[12:13], s[12:13]
                                        ; implicit-def: $sgpr15
	s_xor_b64 exec, exec, s[12:13]
	s_cbranch_execnz .LBB7_2056
.LBB7_1843:
	s_or_b64 exec, exec, s[12:13]
	v_mov_b32_e32 v7, s15
	s_and_saveexec_b64 s[12:13], s[10:11]
.LBB7_1844:
	v_lshrrev_b32_e32 v2, 24, v2
	s_movk_i32 s10, 0x80
	v_and_or_b32 v7, v2, s10, v3
.LBB7_1845:
	s_or_b64 exec, exec, s[12:13]
.LBB7_1846:
	s_or_b64 exec, exec, s[4:5]
	global_store_byte v[4:5], v7, off
.LBB7_1847:
	s_mov_b64 s[4:5], -1
.LBB7_1848:
	s_mov_b64 s[10:11], 0
.LBB7_1849:
	s_and_b64 vcc, exec, s[10:11]
	s_cbranch_vccz .LBB7_1889
; %bb.1850:
	v_mov_b32_e32 v2, 22
	v_cmp_gt_i16_sdwa s[10:11], s33, v2 src0_sel:BYTE_0 src1_sel:DWORD
	s_mov_b64 s[2:3], -1
	s_and_b64 vcc, exec, s[10:11]
	s_cbranch_vccz .LBB7_1882
; %bb.1851:
	v_mov_b32_e32 v2, 24
	v_cmp_lt_i16_sdwa s[4:5], s33, v2 src0_sel:BYTE_0 src1_sel:DWORD
	s_and_b64 vcc, exec, s[4:5]
	s_cbranch_vccnz .LBB7_1871
; %bb.1852:
	v_cmp_gt_i16_sdwa s[4:5], s33, v2 src0_sel:BYTE_0 src1_sel:DWORD
	s_and_b64 vcc, exec, s[4:5]
	s_cbranch_vccz .LBB7_1860
; %bb.1853:
	v_cvt_f32_f64_e32 v2, v[0:1]
	v_and_b32_e32 v3, 0x7fffffff, v2
	s_mov_b32 s2, 0x47800000
	v_cmp_gt_u32_e32 vcc, s2, v3
	v_mov_b32_e32 v7, 0x80
	s_and_saveexec_b64 s[2:3], vcc
	s_cbranch_execz .LBB7_1859
; %bb.1854:
	s_mov_b32 s4, 0x37ffffff
	v_cmp_lt_u32_e32 vcc, s4, v3
	s_mov_b64 s[4:5], 0
                                        ; implicit-def: $vgpr3
	s_and_saveexec_b64 s[10:11], vcc
	s_xor_b64 s[10:11], exec, s[10:11]
	s_cbranch_execz .LBB7_2058
; %bb.1855:
	v_bfe_u32 v3, v2, 21, 1
	s_mov_b32 s12, 0x88fffff
	v_add3_u32 v3, v2, v3, s12
	s_mov_b64 s[4:5], exec
	v_lshrrev_b32_e32 v3, 21, v3
	s_or_saveexec_b64 s[10:11], s[10:11]
                                        ; implicit-def: $sgpr12
	s_xor_b64 exec, exec, s[10:11]
	s_cbranch_execnz .LBB7_2059
.LBB7_1856:
	s_or_b64 exec, exec, s[10:11]
	v_mov_b32_e32 v7, s12
	s_and_saveexec_b64 s[10:11], s[4:5]
.LBB7_1857:
	v_lshrrev_b32_e32 v2, 24, v2
	s_movk_i32 s4, 0x80
	v_and_or_b32 v7, v2, s4, v3
.LBB7_1858:
	s_or_b64 exec, exec, s[10:11]
.LBB7_1859:
	s_or_b64 exec, exec, s[2:3]
	s_mov_b64 s[2:3], 0
	global_store_byte v[4:5], v7, off
.LBB7_1860:
	s_and_b64 vcc, exec, s[2:3]
	s_cbranch_vccz .LBB7_1870
; %bb.1861:
	v_cvt_f32_f64_e32 v2, v[0:1]
	v_and_b32_e32 v7, 0x7fffffff, v2
	s_mov_b32 s2, 0x43f00000
	v_cmp_gt_u32_e32 vcc, s2, v7
                                        ; implicit-def: $vgpr3
	s_and_saveexec_b64 s[2:3], vcc
	s_xor_b64 s[2:3], exec, s[2:3]
	s_cbranch_execz .LBB7_1867
; %bb.1862:
	s_mov_b32 s4, 0x3c7fffff
	v_cmp_lt_u32_e32 vcc, s4, v7
                                        ; implicit-def: $vgpr3
	s_and_saveexec_b64 s[4:5], vcc
	s_xor_b64 s[4:5], exec, s[4:5]
; %bb.1863:
	v_bfe_u32 v3, v2, 20, 1
	s_mov_b32 s10, 0x407ffff
	v_add3_u32 v3, v2, v3, s10
	v_lshrrev_b32_e32 v7, 20, v3
	v_and_b32_e32 v3, 0xff00000, v3
	s_mov_b32 s10, 0x7f00000
	v_mov_b32_e32 v10, 0x7e
	v_cmp_ne_u32_e32 vcc, s10, v3
	v_cndmask_b32_e32 v3, v10, v7, vcc
; %bb.1864:
	s_andn2_saveexec_b64 s[4:5], s[4:5]
; %bb.1865:
	s_mov_b32 s10, 0x46800000
	v_add_f32_e64 v3, |v2|, s10
; %bb.1866:
	s_or_b64 exec, exec, s[4:5]
                                        ; implicit-def: $vgpr7
.LBB7_1867:
	s_andn2_saveexec_b64 s[2:3], s[2:3]
; %bb.1868:
	s_mov_b32 s4, 0x7f800000
	v_mov_b32_e32 v3, 0x7e
	v_mov_b32_e32 v10, 0x7f
	v_cmp_lt_u32_e32 vcc, s4, v7
	v_cndmask_b32_e32 v3, v3, v10, vcc
; %bb.1869:
	s_or_b64 exec, exec, s[2:3]
	v_lshrrev_b32_e32 v2, 24, v2
	s_movk_i32 s2, 0x80
	v_and_or_b32 v2, v2, s2, v3
	global_store_byte v[4:5], v2, off
.LBB7_1870:
	s_mov_b64 s[2:3], 0
.LBB7_1871:
	s_andn2_b64 vcc, exec, s[2:3]
	s_cbranch_vccnz .LBB7_1881
; %bb.1872:
	v_cvt_f32_f64_e32 v2, v[0:1]
	v_and_b32_e32 v7, 0x7fffffff, v2
	s_mov_b32 s2, 0x47800000
	v_cmp_gt_u32_e32 vcc, s2, v7
                                        ; implicit-def: $vgpr3
	s_and_saveexec_b64 s[2:3], vcc
	s_xor_b64 s[2:3], exec, s[2:3]
	s_cbranch_execz .LBB7_1878
; %bb.1873:
	s_mov_b32 s4, 0x387fffff
	v_cmp_lt_u32_e32 vcc, s4, v7
                                        ; implicit-def: $vgpr3
	s_and_saveexec_b64 s[4:5], vcc
	s_xor_b64 s[4:5], exec, s[4:5]
; %bb.1874:
	v_bfe_u32 v3, v2, 21, 1
	s_mov_b32 s10, 0x80fffff
	v_add3_u32 v3, v2, v3, s10
	v_lshrrev_b32_e32 v3, 21, v3
; %bb.1875:
	s_andn2_saveexec_b64 s[4:5], s[4:5]
; %bb.1876:
	s_mov_b32 s10, 0x43000000
	v_add_f32_e64 v3, |v2|, s10
; %bb.1877:
	s_or_b64 exec, exec, s[4:5]
                                        ; implicit-def: $vgpr7
.LBB7_1878:
	s_andn2_saveexec_b64 s[2:3], s[2:3]
; %bb.1879:
	s_mov_b32 s4, 0x7f800000
	v_mov_b32_e32 v3, 0x7c
	v_mov_b32_e32 v10, 0x7f
	v_cmp_lt_u32_e32 vcc, s4, v7
	v_cndmask_b32_e32 v3, v3, v10, vcc
; %bb.1880:
	s_or_b64 exec, exec, s[2:3]
	v_lshrrev_b32_e32 v2, 24, v2
	s_movk_i32 s2, 0x80
	v_and_or_b32 v2, v2, s2, v3
	global_store_byte v[4:5], v2, off
.LBB7_1881:
	s_mov_b64 s[2:3], 0
	s_mov_b64 s[4:5], -1
.LBB7_1882:
	s_andn2_b64 vcc, exec, s[2:3]
	s_mov_b64 s[2:3], 0
	s_cbranch_vccnz .LBB7_1889
; %bb.1883:
	v_mov_b32_e32 v2, 14
	v_cmp_gt_i16_sdwa s[2:3], s33, v2 src0_sel:BYTE_0 src1_sel:DWORD
	s_mov_b64 s[10:11], -1
	s_and_b64 vcc, exec, s[2:3]
	s_cbranch_vccz .LBB7_1887
; %bb.1884:
	v_mov_b32_e32 v2, 15
	v_cmp_eq_u16_sdwa s[2:3], s33, v2 src0_sel:BYTE_0 src1_sel:DWORD
	s_mov_b64 s[0:1], -1
	s_and_b64 vcc, exec, s[2:3]
	s_cbranch_vccz .LBB7_1886
; %bb.1885:
	v_cvt_f32_f64_e32 v2, v[0:1]
	v_bfe_u32 v3, v2, 16, 1
	s_movk_i32 s0, 0x7fff
	v_add3_u32 v3, v2, v3, s0
	v_lshrrev_b32_e32 v3, 16, v3
	v_mov_b32_e32 v7, 0x7fc0
	v_cmp_o_f32_e32 vcc, v2, v2
	v_cndmask_b32_e32 v2, v7, v3, vcc
	global_store_short v[4:5], v2, off
	s_mov_b64 s[0:1], 0
	s_mov_b64 s[4:5], -1
.LBB7_1886:
	s_mov_b64 s[10:11], 0
.LBB7_1887:
	s_mov_b64 s[2:3], 0
	s_and_b64 vcc, exec, s[10:11]
	s_cbranch_vccz .LBB7_1889
; %bb.1888:
	v_mov_b32_e32 v2, 11
	v_cmp_ne_u16_sdwa s[0:1], s33, v2 src0_sel:BYTE_0 src1_sel:DWORD
	s_mov_b64 s[2:3], -1
.LBB7_1889:
	s_and_b64 vcc, exec, s[0:1]
	s_cbranch_vccnz .LBB7_2057
; %bb.1890:
	s_andn2_b64 vcc, exec, s[2:3]
	s_cbranch_vccnz .LBB7_1892
.LBB7_1891:
	v_cmp_neq_f64_e32 vcc, 0, v[0:1]
	v_cndmask_b32_e64 v2, 0, 1, vcc
	s_mov_b64 s[4:5], -1
	global_store_byte v[4:5], v2, off
.LBB7_1892:
	s_mov_b64 s[0:1], 0
.LBB7_1893:
	s_and_b64 vcc, exec, s[0:1]
	s_cbranch_vccz .LBB7_1932
; %bb.1894:
	v_mov_b32_e32 v2, 5
	v_cmp_lt_i16_sdwa s[2:3], s33, v2 src0_sel:BYTE_0 src1_sel:DWORD
	s_mov_b64 s[0:1], -1
	s_and_b64 vcc, exec, s[2:3]
	s_cbranch_vccnz .LBB7_1915
; %bb.1895:
	v_mov_b32_e32 v2, 8
	v_cmp_lt_i16_sdwa s[2:3], s33, v2 src0_sel:BYTE_0 src1_sel:DWORD
	s_and_b64 vcc, exec, s[2:3]
	s_cbranch_vccnz .LBB7_1905
; %bb.1896:
	v_mov_b32_e32 v2, 9
	v_cmp_lt_i16_sdwa s[2:3], s33, v2 src0_sel:BYTE_0 src1_sel:DWORD
	s_and_b64 vcc, exec, s[2:3]
	s_cbranch_vccnz .LBB7_1902
; %bb.1897:
	v_cmp_gt_i16_sdwa s[2:3], s33, v2 src0_sel:BYTE_0 src1_sel:DWORD
	s_and_b64 vcc, exec, s[2:3]
	s_cbranch_vccz .LBB7_1899
; %bb.1898:
	v_mov_b32_e32 v2, 0
	v_mov_b32_e32 v3, v2
	global_store_dwordx4 v[4:5], v[0:3], off
	s_mov_b64 s[0:1], 0
.LBB7_1899:
	s_andn2_b64 vcc, exec, s[0:1]
	s_cbranch_vccnz .LBB7_1901
; %bb.1900:
	v_cvt_f32_f64_e32 v2, v[0:1]
	v_mov_b32_e32 v3, 0
	global_store_dwordx2 v[4:5], v[2:3], off
.LBB7_1901:
	s_mov_b64 s[0:1], 0
.LBB7_1902:
	s_andn2_b64 vcc, exec, s[0:1]
	s_cbranch_vccnz .LBB7_1904
; %bb.1903:
	v_cvt_f32_f64_e32 v2, v[0:1]
	v_cvt_f16_f32_e32 v2, v2
	global_store_dword v[4:5], v2, off
.LBB7_1904:
	s_mov_b64 s[0:1], 0
.LBB7_1905:
	s_andn2_b64 vcc, exec, s[0:1]
	s_cbranch_vccnz .LBB7_1914
; %bb.1906:
	v_mov_b32_e32 v2, 6
	v_cmp_lt_i16_sdwa s[2:3], s33, v2 src0_sel:BYTE_0 src1_sel:DWORD
	s_mov_b64 s[0:1], -1
	s_and_b64 vcc, exec, s[2:3]
	s_cbranch_vccnz .LBB7_1912
; %bb.1907:
	v_cmp_gt_i16_sdwa s[2:3], s33, v2 src0_sel:BYTE_0 src1_sel:DWORD
	s_and_b64 vcc, exec, s[2:3]
	s_cbranch_vccz .LBB7_1909
; %bb.1908:
	global_store_dwordx2 v[4:5], v[0:1], off
	s_mov_b64 s[0:1], 0
.LBB7_1909:
	s_andn2_b64 vcc, exec, s[0:1]
	s_cbranch_vccnz .LBB7_1911
; %bb.1910:
	v_cvt_f32_f64_e32 v2, v[0:1]
	global_store_dword v[4:5], v2, off
.LBB7_1911:
	s_mov_b64 s[0:1], 0
.LBB7_1912:
	s_andn2_b64 vcc, exec, s[0:1]
	s_cbranch_vccnz .LBB7_1914
; %bb.1913:
	v_cvt_f32_f64_e32 v2, v[0:1]
	v_cvt_f16_f32_e32 v2, v2
	global_store_short v[4:5], v2, off
.LBB7_1914:
	s_mov_b64 s[0:1], 0
.LBB7_1915:
	s_andn2_b64 vcc, exec, s[0:1]
	s_cbranch_vccnz .LBB7_1931
; %bb.1916:
	v_mov_b32_e32 v2, 2
	v_cmp_lt_i16_sdwa s[2:3], s33, v2 src0_sel:BYTE_0 src1_sel:DWORD
	s_mov_b64 s[0:1], -1
	s_and_b64 vcc, exec, s[2:3]
	s_cbranch_vccnz .LBB7_1926
; %bb.1917:
	v_mov_b32_e32 v2, 3
	v_cmp_lt_i16_sdwa s[2:3], s33, v2 src0_sel:BYTE_0 src1_sel:DWORD
	s_and_b64 vcc, exec, s[2:3]
	s_cbranch_vccnz .LBB7_1923
; %bb.1918:
	v_cmp_gt_i16_sdwa s[2:3], s33, v2 src0_sel:BYTE_0 src1_sel:DWORD
	s_and_b64 vcc, exec, s[2:3]
	s_cbranch_vccz .LBB7_1920
; %bb.1919:
	v_trunc_f64_e32 v[2:3], v[0:1]
	s_movk_i32 s0, 0xffe0
	v_ldexp_f64 v[10:11], v[2:3], s0
	v_floor_f64_e32 v[10:11], v[10:11]
	v_fmac_f64_e32 v[2:3], 0xc1f00000, v[10:11]
	v_cvt_i32_f64_e32 v13, v[10:11]
	v_cvt_u32_f64_e32 v12, v[2:3]
	global_store_dwordx2 v[4:5], v[12:13], off
	s_mov_b64 s[0:1], 0
.LBB7_1920:
	s_andn2_b64 vcc, exec, s[0:1]
	s_cbranch_vccnz .LBB7_1922
; %bb.1921:
	v_cvt_i32_f64_e32 v2, v[0:1]
	global_store_dword v[4:5], v2, off
.LBB7_1922:
	s_mov_b64 s[0:1], 0
.LBB7_1923:
	s_andn2_b64 vcc, exec, s[0:1]
	s_cbranch_vccnz .LBB7_1925
; %bb.1924:
	v_cvt_i32_f64_e32 v2, v[0:1]
	global_store_short v[4:5], v2, off
.LBB7_1925:
	s_mov_b64 s[0:1], 0
.LBB7_1926:
	s_andn2_b64 vcc, exec, s[0:1]
	s_cbranch_vccnz .LBB7_1931
; %bb.1927:
	v_mov_b32_e32 v2, 0
	v_cmp_gt_i16_sdwa s[2:3], s33, v2 src0_sel:BYTE_0 src1_sel:DWORD
	s_mov_b64 s[0:1], -1
	s_and_b64 vcc, exec, s[2:3]
	s_cbranch_vccz .LBB7_1929
; %bb.1928:
	v_cvt_i32_f64_e32 v2, v[0:1]
	global_store_byte v[4:5], v2, off
	s_mov_b64 s[0:1], 0
.LBB7_1929:
	s_andn2_b64 vcc, exec, s[0:1]
	s_cbranch_vccnz .LBB7_1931
; %bb.1930:
	v_trunc_f64_e32 v[0:1], v[0:1]
	s_movk_i32 s0, 0xffe0
	v_ldexp_f64 v[2:3], v[0:1], s0
	v_floor_f64_e32 v[2:3], v[2:3]
	v_fmac_f64_e32 v[0:1], 0xc1f00000, v[2:3]
	v_cvt_u32_f64_e32 v0, v[0:1]
	global_store_byte v[4:5], v0, off
.LBB7_1931:
	s_mov_b64 s[4:5], -1
.LBB7_1932:
	s_andn2_b64 vcc, exec, s[4:5]
	s_cbranch_vccnz .LBB7_2009
; %bb.1933:
	v_mul_f64 v[0:1], v[8:9], v[14:15]
	v_cmp_eq_f32_e32 vcc, 1.0, v21
	v_add_u32_e32 v2, s14, v6
	v_cndmask_b32_e32 v1, v1, v9, vcc
	v_cndmask_b32_e32 v0, v0, v8, vcc
	v_ashrrev_i32_e32 v3, 31, v2
	v_mov_b32_e32 v5, s9
	v_add_co_u32_e32 v4, vcc, s8, v2
	v_mov_b32_e32 v2, 0xff
	v_addc_co_u32_e32 v5, vcc, v5, v3, vcc
	v_and_b32_e32 v6, s33, v2
	v_cmp_gt_i16_e32 vcc, 11, v6
	s_cbranch_vccnz .LBB7_2054
; %bb.1934:
	v_cmp_lt_i16_e32 vcc, 25, v6
	s_mov_b64 s[4:5], -1
	s_mov_b64 s[2:3], 0
	s_mov_b64 s[0:1], 0
	s_cbranch_vccz .LBB7_1967
; %bb.1935:
	v_cmp_lt_i16_e32 vcc, 28, v6
	s_cbranch_vccz .LBB7_1951
; %bb.1936:
	v_cmp_lt_i16_e32 vcc, 43, v6
	;; [unrolled: 3-line block ×3, first 2 shown]
	s_cbranch_vccz .LBB7_1941
; %bb.1938:
	v_cmp_eq_u16_e32 vcc, 46, v6
	s_mov_b64 s[0:1], -1
	s_cbranch_vccz .LBB7_1940
; %bb.1939:
	v_cvt_f32_f64_e32 v2, v[0:1]
	v_bfe_u32 v3, v2, 16, 1
	s_movk_i32 s0, 0x7fff
	v_add3_u32 v3, v2, v3, s0
	v_lshrrev_b32_e32 v3, 16, v3
	v_mov_b32_e32 v7, 0x7fc0
	v_cmp_o_f32_e32 vcc, v2, v2
	v_cndmask_b32_e32 v2, v7, v3, vcc
	global_store_dword v[4:5], v2, off
	s_mov_b64 s[0:1], 0
.LBB7_1940:
	s_mov_b64 s[4:5], 0
.LBB7_1941:
	s_and_b64 vcc, exec, s[4:5]
	s_cbranch_vccz .LBB7_1946
; %bb.1942:
	v_cmp_eq_u16_e32 vcc, 44, v6
	s_mov_b64 s[0:1], -1
	s_cbranch_vccz .LBB7_1946
; %bb.1943:
	v_cvt_f32_f64_e32 v2, v[0:1]
	v_bfe_u32 v3, v2, 23, 8
	s_movk_i32 s0, 0xff
	v_cmp_ne_u32_e32 vcc, s0, v3
	v_mov_b32_e32 v7, 0xff
	s_and_saveexec_b64 s[4:5], vcc
; %bb.1944:
	s_mov_b32 s0, 0x3fffff
	v_lshrrev_b32_e32 v7, 23, v2
	v_and_b32_e32 v8, 0x400000, v2
	v_and_or_b32 v2, v2, s0, v3
	v_cmp_ne_u32_e32 vcc, 0, v8
	v_cmp_ne_u32_e64 s[0:1], 0, v2
	s_and_b64 s[0:1], vcc, s[0:1]
	v_cndmask_b32_e64 v2, 0, 1, s[0:1]
	v_add_u32_e32 v7, v7, v2
; %bb.1945:
	s_or_b64 exec, exec, s[4:5]
	s_mov_b64 s[0:1], 0
	global_store_byte v[4:5], v7, off
.LBB7_1946:
	s_mov_b64 s[4:5], 0
.LBB7_1947:
	s_and_b64 vcc, exec, s[4:5]
	s_cbranch_vccz .LBB7_1950
; %bb.1948:
	v_cmp_eq_u16_e32 vcc, 29, v6
	s_mov_b64 s[0:1], -1
	s_cbranch_vccz .LBB7_1950
; %bb.1949:
	v_trunc_f64_e32 v[2:3], v[0:1]
	s_movk_i32 s0, 0xffe0
	v_ldexp_f64 v[8:9], v[2:3], s0
	v_floor_f64_e32 v[8:9], v[8:9]
	v_fmac_f64_e32 v[2:3], 0xc1f00000, v[8:9]
	v_cvt_u32_f64_e32 v11, v[8:9]
	v_cvt_u32_f64_e32 v10, v[2:3]
	global_store_dwordx2 v[4:5], v[10:11], off
	s_mov_b64 s[0:1], 0
.LBB7_1950:
	s_mov_b64 s[4:5], 0
.LBB7_1951:
	s_and_b64 vcc, exec, s[4:5]
	s_cbranch_vccz .LBB7_1966
; %bb.1952:
	v_cmp_gt_i16_e32 vcc, 27, v6
	s_mov_b64 s[4:5], -1
	s_cbranch_vccnz .LBB7_1958
; %bb.1953:
	v_cmp_lt_i16_e32 vcc, 27, v6
	v_cvt_u32_f64_e32 v2, v[0:1]
	s_cbranch_vccz .LBB7_1955
; %bb.1954:
	global_store_dword v[4:5], v2, off
	s_mov_b64 s[4:5], 0
.LBB7_1955:
	s_andn2_b64 vcc, exec, s[4:5]
	s_cbranch_vccnz .LBB7_1957
; %bb.1956:
	global_store_short v[4:5], v2, off
.LBB7_1957:
	s_mov_b64 s[4:5], 0
.LBB7_1958:
	s_andn2_b64 vcc, exec, s[4:5]
	s_cbranch_vccnz .LBB7_1966
; %bb.1959:
	v_cvt_f32_f64_e32 v2, v[0:1]
	v_and_b32_e32 v3, 0x7fffffff, v2
	s_mov_b32 s4, 0x43800000
	v_cmp_gt_u32_e32 vcc, s4, v3
	v_mov_b32_e32 v7, 0x80
	s_and_saveexec_b64 s[4:5], vcc
	s_cbranch_execz .LBB7_1965
; %bb.1960:
	s_mov_b32 s8, 0x3bffffff
	v_cmp_lt_u32_e32 vcc, s8, v3
	s_mov_b64 s[8:9], 0
                                        ; implicit-def: $vgpr3
	s_and_saveexec_b64 s[10:11], vcc
	s_xor_b64 s[10:11], exec, s[10:11]
	s_cbranch_execz .LBB7_2060
; %bb.1961:
	v_bfe_u32 v3, v2, 20, 1
	s_mov_b32 s12, 0x487ffff
	v_add3_u32 v3, v2, v3, s12
	s_mov_b64 s[8:9], exec
	v_lshrrev_b32_e32 v3, 20, v3
	s_or_saveexec_b64 s[10:11], s[10:11]
                                        ; implicit-def: $sgpr12
	s_xor_b64 exec, exec, s[10:11]
	s_cbranch_execnz .LBB7_2061
.LBB7_1962:
	s_or_b64 exec, exec, s[10:11]
	v_mov_b32_e32 v7, s12
	s_and_saveexec_b64 s[10:11], s[8:9]
.LBB7_1963:
	v_lshrrev_b32_e32 v2, 24, v2
	s_movk_i32 s8, 0x80
	v_and_or_b32 v7, v2, s8, v3
.LBB7_1964:
	s_or_b64 exec, exec, s[10:11]
.LBB7_1965:
	s_or_b64 exec, exec, s[4:5]
	global_store_byte v[4:5], v7, off
.LBB7_1966:
	s_mov_b64 s[4:5], 0
.LBB7_1967:
	s_and_b64 vcc, exec, s[4:5]
	s_cbranch_vccz .LBB7_2007
; %bb.1968:
	v_cmp_lt_i16_e32 vcc, 22, v6
	s_mov_b64 s[2:3], -1
	s_cbranch_vccz .LBB7_2000
; %bb.1969:
	v_cmp_gt_i16_e32 vcc, 24, v6
	s_cbranch_vccnz .LBB7_1989
; %bb.1970:
	v_cmp_lt_i16_e32 vcc, 24, v6
	s_cbranch_vccz .LBB7_1978
; %bb.1971:
	v_cvt_f32_f64_e32 v2, v[0:1]
	v_and_b32_e32 v3, 0x7fffffff, v2
	s_mov_b32 s2, 0x47800000
	v_cmp_gt_u32_e32 vcc, s2, v3
	v_mov_b32_e32 v7, 0x80
	s_and_saveexec_b64 s[2:3], vcc
	s_cbranch_execz .LBB7_1977
; %bb.1972:
	s_mov_b32 s4, 0x37ffffff
	v_cmp_lt_u32_e32 vcc, s4, v3
	s_mov_b64 s[4:5], 0
                                        ; implicit-def: $vgpr3
	s_and_saveexec_b64 s[8:9], vcc
	s_xor_b64 s[8:9], exec, s[8:9]
	s_cbranch_execz .LBB7_2063
; %bb.1973:
	v_bfe_u32 v3, v2, 21, 1
	s_mov_b32 s10, 0x88fffff
	v_add3_u32 v3, v2, v3, s10
	s_mov_b64 s[4:5], exec
	v_lshrrev_b32_e32 v3, 21, v3
	s_or_saveexec_b64 s[8:9], s[8:9]
                                        ; implicit-def: $sgpr10
	s_xor_b64 exec, exec, s[8:9]
	s_cbranch_execnz .LBB7_2064
.LBB7_1974:
	s_or_b64 exec, exec, s[8:9]
	v_mov_b32_e32 v7, s10
	s_and_saveexec_b64 s[8:9], s[4:5]
.LBB7_1975:
	v_lshrrev_b32_e32 v2, 24, v2
	s_movk_i32 s4, 0x80
	v_and_or_b32 v7, v2, s4, v3
.LBB7_1976:
	s_or_b64 exec, exec, s[8:9]
.LBB7_1977:
	s_or_b64 exec, exec, s[2:3]
	s_mov_b64 s[2:3], 0
	global_store_byte v[4:5], v7, off
.LBB7_1978:
	s_and_b64 vcc, exec, s[2:3]
	s_cbranch_vccz .LBB7_1988
; %bb.1979:
	v_cvt_f32_f64_e32 v2, v[0:1]
	v_and_b32_e32 v7, 0x7fffffff, v2
	s_mov_b32 s2, 0x43f00000
	v_cmp_gt_u32_e32 vcc, s2, v7
                                        ; implicit-def: $vgpr3
	s_and_saveexec_b64 s[2:3], vcc
	s_xor_b64 s[2:3], exec, s[2:3]
	s_cbranch_execz .LBB7_1985
; %bb.1980:
	s_mov_b32 s4, 0x3c7fffff
	v_cmp_lt_u32_e32 vcc, s4, v7
                                        ; implicit-def: $vgpr3
	s_and_saveexec_b64 s[4:5], vcc
	s_xor_b64 s[4:5], exec, s[4:5]
; %bb.1981:
	v_bfe_u32 v3, v2, 20, 1
	s_mov_b32 s8, 0x407ffff
	v_add3_u32 v3, v2, v3, s8
	v_lshrrev_b32_e32 v7, 20, v3
	v_and_b32_e32 v3, 0xff00000, v3
	s_mov_b32 s8, 0x7f00000
	v_mov_b32_e32 v8, 0x7e
	v_cmp_ne_u32_e32 vcc, s8, v3
	v_cndmask_b32_e32 v3, v8, v7, vcc
; %bb.1982:
	s_andn2_saveexec_b64 s[4:5], s[4:5]
; %bb.1983:
	s_mov_b32 s8, 0x46800000
	v_add_f32_e64 v3, |v2|, s8
; %bb.1984:
	s_or_b64 exec, exec, s[4:5]
                                        ; implicit-def: $vgpr7
.LBB7_1985:
	s_andn2_saveexec_b64 s[2:3], s[2:3]
; %bb.1986:
	s_mov_b32 s4, 0x7f800000
	v_mov_b32_e32 v3, 0x7e
	v_mov_b32_e32 v8, 0x7f
	v_cmp_lt_u32_e32 vcc, s4, v7
	v_cndmask_b32_e32 v3, v3, v8, vcc
; %bb.1987:
	s_or_b64 exec, exec, s[2:3]
	v_lshrrev_b32_e32 v2, 24, v2
	s_movk_i32 s2, 0x80
	v_and_or_b32 v2, v2, s2, v3
	global_store_byte v[4:5], v2, off
.LBB7_1988:
	s_mov_b64 s[2:3], 0
.LBB7_1989:
	s_andn2_b64 vcc, exec, s[2:3]
	s_cbranch_vccnz .LBB7_1999
; %bb.1990:
	v_cvt_f32_f64_e32 v2, v[0:1]
	v_and_b32_e32 v7, 0x7fffffff, v2
	s_mov_b32 s2, 0x47800000
	v_cmp_gt_u32_e32 vcc, s2, v7
                                        ; implicit-def: $vgpr3
	s_and_saveexec_b64 s[2:3], vcc
	s_xor_b64 s[2:3], exec, s[2:3]
	s_cbranch_execz .LBB7_1996
; %bb.1991:
	s_mov_b32 s4, 0x387fffff
	v_cmp_lt_u32_e32 vcc, s4, v7
                                        ; implicit-def: $vgpr3
	s_and_saveexec_b64 s[4:5], vcc
	s_xor_b64 s[4:5], exec, s[4:5]
; %bb.1992:
	v_bfe_u32 v3, v2, 21, 1
	s_mov_b32 s8, 0x80fffff
	v_add3_u32 v3, v2, v3, s8
	v_lshrrev_b32_e32 v3, 21, v3
; %bb.1993:
	s_andn2_saveexec_b64 s[4:5], s[4:5]
; %bb.1994:
	s_mov_b32 s8, 0x43000000
	v_add_f32_e64 v3, |v2|, s8
; %bb.1995:
	s_or_b64 exec, exec, s[4:5]
                                        ; implicit-def: $vgpr7
.LBB7_1996:
	s_andn2_saveexec_b64 s[2:3], s[2:3]
; %bb.1997:
	s_mov_b32 s4, 0x7f800000
	v_mov_b32_e32 v3, 0x7c
	v_mov_b32_e32 v8, 0x7f
	v_cmp_lt_u32_e32 vcc, s4, v7
	v_cndmask_b32_e32 v3, v3, v8, vcc
; %bb.1998:
	s_or_b64 exec, exec, s[2:3]
	v_lshrrev_b32_e32 v2, 24, v2
	s_movk_i32 s2, 0x80
	v_and_or_b32 v2, v2, s2, v3
	global_store_byte v[4:5], v2, off
.LBB7_1999:
	s_mov_b64 s[2:3], 0
.LBB7_2000:
	s_andn2_b64 vcc, exec, s[2:3]
	s_mov_b64 s[2:3], 0
	s_cbranch_vccnz .LBB7_2007
; %bb.2001:
	v_cmp_lt_i16_e32 vcc, 14, v6
	s_mov_b64 s[4:5], -1
	s_cbranch_vccz .LBB7_2005
; %bb.2002:
	v_cmp_eq_u16_e32 vcc, 15, v6
	s_mov_b64 s[0:1], -1
	s_cbranch_vccz .LBB7_2004
; %bb.2003:
	v_cvt_f32_f64_e32 v2, v[0:1]
	v_bfe_u32 v3, v2, 16, 1
	s_movk_i32 s0, 0x7fff
	v_add3_u32 v3, v2, v3, s0
	v_lshrrev_b32_e32 v3, 16, v3
	v_mov_b32_e32 v7, 0x7fc0
	v_cmp_o_f32_e32 vcc, v2, v2
	v_cndmask_b32_e32 v2, v7, v3, vcc
	global_store_short v[4:5], v2, off
	s_mov_b64 s[0:1], 0
.LBB7_2004:
	s_mov_b64 s[4:5], 0
.LBB7_2005:
	s_and_b64 vcc, exec, s[4:5]
	s_cbranch_vccz .LBB7_2007
; %bb.2006:
	v_cmp_ne_u16_e64 s[0:1], 11, v6
	s_mov_b64 s[2:3], -1
.LBB7_2007:
	s_and_b64 vcc, exec, s[0:1]
	s_cbranch_vccnz .LBB7_2062
.LBB7_2008:
	s_mov_b64 s[0:1], 0
	s_branch .LBB7_2010
.LBB7_2009:
	s_mov_b64 s[0:1], 0
	s_mov_b64 s[2:3], 0
                                        ; implicit-def: $vgpr6
                                        ; implicit-def: $vgpr4_vgpr5
                                        ; implicit-def: $vgpr0_vgpr1
.LBB7_2010:
	s_and_b64 s[4:5], s[2:3], exec
	s_andn2_b64 s[2:3], s[16:17], exec
	s_and_b64 s[8:9], s[18:19], exec
	s_and_b64 s[0:1], s[0:1], exec
	s_or_b64 s[16:17], s[2:3], s[8:9]
.LBB7_2011:
	s_or_b64 exec, exec, s[6:7]
	s_and_saveexec_b64 s[2:3], s[16:17]
	s_cbranch_execz .LBB7_2014
; %bb.2012:
	; divergent unreachable
	s_or_b64 exec, exec, s[2:3]
	s_and_saveexec_b64 s[2:3], s[4:5]
	s_xor_b64 s[2:3], exec, s[2:3]
	s_cbranch_execnz .LBB7_2015
.LBB7_2013:
	s_or_b64 exec, exec, s[2:3]
	s_and_saveexec_b64 s[2:3], s[0:1]
	s_cbranch_execnz .LBB7_2016
	s_branch .LBB7_2053
.LBB7_2014:
	s_or_b64 exec, exec, s[2:3]
	s_and_saveexec_b64 s[2:3], s[4:5]
	s_xor_b64 s[2:3], exec, s[2:3]
	s_cbranch_execz .LBB7_2013
.LBB7_2015:
	s_waitcnt vmcnt(0)
	v_cmp_neq_f64_e32 vcc, 0, v[0:1]
	v_cndmask_b32_e64 v2, 0, 1, vcc
	global_store_byte v[4:5], v2, off
	s_or_b64 exec, exec, s[2:3]
	s_and_saveexec_b64 s[2:3], s[0:1]
	s_cbranch_execz .LBB7_2053
.LBB7_2016:
	s_waitcnt vmcnt(0)
	v_cmp_gt_i16_e32 vcc, 5, v6
	s_mov_b64 s[0:1], -1
	s_cbranch_vccnz .LBB7_2037
; %bb.2017:
	v_cmp_gt_i16_e32 vcc, 8, v6
	s_cbranch_vccnz .LBB7_2027
; %bb.2018:
	v_cmp_gt_i16_e32 vcc, 9, v6
	s_cbranch_vccnz .LBB7_2024
; %bb.2019:
	v_cmp_lt_i16_e32 vcc, 9, v6
	s_cbranch_vccz .LBB7_2021
; %bb.2020:
	v_mov_b32_e32 v2, 0
	v_mov_b32_e32 v3, v2
	global_store_dwordx4 v[4:5], v[0:3], off
	s_mov_b64 s[0:1], 0
.LBB7_2021:
	s_andn2_b64 vcc, exec, s[0:1]
	s_cbranch_vccnz .LBB7_2023
; %bb.2022:
	v_cvt_f32_f64_e32 v2, v[0:1]
	v_mov_b32_e32 v3, 0
	global_store_dwordx2 v[4:5], v[2:3], off
.LBB7_2023:
	s_mov_b64 s[0:1], 0
.LBB7_2024:
	s_andn2_b64 vcc, exec, s[0:1]
	s_cbranch_vccnz .LBB7_2026
; %bb.2025:
	v_cvt_f32_f64_e32 v2, v[0:1]
	v_cvt_f16_f32_e32 v2, v2
	global_store_dword v[4:5], v2, off
.LBB7_2026:
	s_mov_b64 s[0:1], 0
.LBB7_2027:
	s_andn2_b64 vcc, exec, s[0:1]
	s_cbranch_vccnz .LBB7_2036
; %bb.2028:
	v_cmp_gt_i16_e32 vcc, 6, v6
	s_mov_b64 s[0:1], -1
	s_cbranch_vccnz .LBB7_2034
; %bb.2029:
	v_cmp_lt_i16_e32 vcc, 6, v6
	s_cbranch_vccz .LBB7_2031
; %bb.2030:
	global_store_dwordx2 v[4:5], v[0:1], off
	s_mov_b64 s[0:1], 0
.LBB7_2031:
	s_andn2_b64 vcc, exec, s[0:1]
	s_cbranch_vccnz .LBB7_2033
; %bb.2032:
	v_cvt_f32_f64_e32 v2, v[0:1]
	global_store_dword v[4:5], v2, off
.LBB7_2033:
	s_mov_b64 s[0:1], 0
.LBB7_2034:
	s_andn2_b64 vcc, exec, s[0:1]
	s_cbranch_vccnz .LBB7_2036
; %bb.2035:
	v_cvt_f32_f64_e32 v2, v[0:1]
	v_cvt_f16_f32_e32 v2, v2
	global_store_short v[4:5], v2, off
.LBB7_2036:
	s_mov_b64 s[0:1], 0
.LBB7_2037:
	s_andn2_b64 vcc, exec, s[0:1]
	s_cbranch_vccnz .LBB7_2053
; %bb.2038:
	v_cmp_gt_i16_e32 vcc, 2, v6
	s_mov_b64 s[0:1], -1
	s_cbranch_vccnz .LBB7_2048
; %bb.2039:
	v_cmp_gt_i16_e32 vcc, 3, v6
	s_cbranch_vccnz .LBB7_2045
; %bb.2040:
	v_cmp_lt_i16_e32 vcc, 3, v6
	s_cbranch_vccz .LBB7_2042
; %bb.2041:
	v_trunc_f64_e32 v[2:3], v[0:1]
	s_movk_i32 s0, 0xffe0
	v_ldexp_f64 v[8:9], v[2:3], s0
	v_floor_f64_e32 v[8:9], v[8:9]
	v_fmac_f64_e32 v[2:3], 0xc1f00000, v[8:9]
	v_cvt_i32_f64_e32 v11, v[8:9]
	v_cvt_u32_f64_e32 v10, v[2:3]
	global_store_dwordx2 v[4:5], v[10:11], off
	s_mov_b64 s[0:1], 0
.LBB7_2042:
	s_andn2_b64 vcc, exec, s[0:1]
	s_cbranch_vccnz .LBB7_2044
; %bb.2043:
	v_cvt_i32_f64_e32 v2, v[0:1]
	global_store_dword v[4:5], v2, off
.LBB7_2044:
	s_mov_b64 s[0:1], 0
.LBB7_2045:
	s_andn2_b64 vcc, exec, s[0:1]
	s_cbranch_vccnz .LBB7_2047
; %bb.2046:
	v_cvt_i32_f64_e32 v2, v[0:1]
	global_store_short v[4:5], v2, off
.LBB7_2047:
	s_mov_b64 s[0:1], 0
.LBB7_2048:
	s_andn2_b64 vcc, exec, s[0:1]
	s_cbranch_vccnz .LBB7_2053
; %bb.2049:
	v_cmp_lt_i16_e32 vcc, 0, v6
	s_mov_b64 s[0:1], -1
	s_cbranch_vccz .LBB7_2051
; %bb.2050:
	v_cvt_i32_f64_e32 v2, v[0:1]
	global_store_byte v[4:5], v2, off
	s_mov_b64 s[0:1], 0
.LBB7_2051:
	s_andn2_b64 vcc, exec, s[0:1]
	s_cbranch_vccnz .LBB7_2053
; %bb.2052:
	v_trunc_f64_e32 v[0:1], v[0:1]
	s_movk_i32 s0, 0xffe0
	v_ldexp_f64 v[2:3], v[0:1], s0
	v_floor_f64_e32 v[2:3], v[2:3]
	v_fmac_f64_e32 v[0:1], 0xc1f00000, v[2:3]
	v_cvt_u32_f64_e32 v0, v[0:1]
	global_store_byte v[4:5], v0, off
	s_endpgm
.LBB7_2053:
	s_endpgm
.LBB7_2054:
	s_mov_b64 s[2:3], 0
	s_mov_b64 s[0:1], -1
	s_branch .LBB7_2010
.LBB7_2055:
	s_or_saveexec_b64 s[12:13], s[12:13]
                                        ; implicit-def: $sgpr15
	s_xor_b64 exec, exec, s[12:13]
	s_cbranch_execz .LBB7_1843
.LBB7_2056:
	s_mov_b32 s15, 0x46000000
	v_add_f32_e64 v3, |v2|, s15
	v_and_b32_e32 v3, 0xff, v3
	v_cmp_ne_u32_e32 vcc, 0, v3
	s_andn2_b64 s[10:11], s[10:11], exec
	s_and_b64 s[20:21], vcc, exec
	s_mov_b32 s15, 0
	s_or_b64 s[10:11], s[10:11], s[20:21]
	s_or_b64 exec, exec, s[12:13]
	v_mov_b32_e32 v7, s15
	s_and_saveexec_b64 s[12:13], s[10:11]
	s_cbranch_execnz .LBB7_1844
	s_branch .LBB7_1845
.LBB7_2057:
	s_trap 2
	s_or_b64 s[18:19], s[18:19], exec
	s_cbranch_execz .LBB7_1891
	s_branch .LBB7_1892
.LBB7_2058:
	s_or_saveexec_b64 s[10:11], s[10:11]
                                        ; implicit-def: $sgpr12
	s_xor_b64 exec, exec, s[10:11]
	s_cbranch_execz .LBB7_1856
.LBB7_2059:
	s_mov_b32 s12, 0x42800000
	v_add_f32_e64 v3, |v2|, s12
	v_and_b32_e32 v3, 0xff, v3
	v_cmp_ne_u32_e32 vcc, 0, v3
	s_andn2_b64 s[4:5], s[4:5], exec
	s_and_b64 s[20:21], vcc, exec
	s_mov_b32 s12, 0
	s_or_b64 s[4:5], s[4:5], s[20:21]
	s_or_b64 exec, exec, s[10:11]
	v_mov_b32_e32 v7, s12
	s_and_saveexec_b64 s[10:11], s[4:5]
	s_cbranch_execnz .LBB7_1857
	s_branch .LBB7_1858
.LBB7_2060:
	s_or_saveexec_b64 s[10:11], s[10:11]
                                        ; implicit-def: $sgpr12
	s_xor_b64 exec, exec, s[10:11]
	s_cbranch_execz .LBB7_1962
.LBB7_2061:
	s_mov_b32 s12, 0x46000000
	v_add_f32_e64 v3, |v2|, s12
	v_and_b32_e32 v3, 0xff, v3
	v_cmp_ne_u32_e32 vcc, 0, v3
	s_andn2_b64 s[8:9], s[8:9], exec
	s_and_b64 s[14:15], vcc, exec
	s_mov_b32 s12, 0
	s_or_b64 s[8:9], s[8:9], s[14:15]
	s_or_b64 exec, exec, s[10:11]
	v_mov_b32_e32 v7, s12
	s_and_saveexec_b64 s[10:11], s[8:9]
	s_cbranch_execnz .LBB7_1963
	s_branch .LBB7_1964
.LBB7_2062:
	s_mov_b64 s[2:3], 0
	s_or_b64 s[18:19], s[18:19], exec
	s_trap 2
	s_branch .LBB7_2008
.LBB7_2063:
	s_or_saveexec_b64 s[8:9], s[8:9]
                                        ; implicit-def: $sgpr10
	s_xor_b64 exec, exec, s[8:9]
	s_cbranch_execz .LBB7_1974
.LBB7_2064:
	s_mov_b32 s10, 0x42800000
	v_add_f32_e64 v3, |v2|, s10
	v_and_b32_e32 v3, 0xff, v3
	v_cmp_ne_u32_e32 vcc, 0, v3
	s_andn2_b64 s[4:5], s[4:5], exec
	s_and_b64 s[12:13], vcc, exec
	s_mov_b32 s10, 0
	s_or_b64 s[4:5], s[4:5], s[12:13]
	s_or_b64 exec, exec, s[8:9]
	v_mov_b32_e32 v7, s10
	s_and_saveexec_b64 s[8:9], s[4:5]
	s_cbranch_execnz .LBB7_1975
	s_branch .LBB7_1976
	.section	.rodata,"a",@progbits
	.p2align	6, 0x0
	.amdhsa_kernel _ZN2at6native32elementwise_kernel_manual_unrollILi128ELi4EZNS0_15gpu_kernel_implIZZZNS0_12_GLOBAL__N_139_amp_non_finite_check_and_unscale_cuda_ERNS_6TensorES5_RKS4_ENKUlvE_clEvENKUlvE_clEvEUldE_EEvRNS_18TensorIteratorBaseERKT_EUlibE_EEviT1_
		.amdhsa_group_segment_fixed_size 0
		.amdhsa_private_segment_fixed_size 0
		.amdhsa_kernarg_size 56
		.amdhsa_user_sgpr_count 6
		.amdhsa_user_sgpr_private_segment_buffer 1
		.amdhsa_user_sgpr_dispatch_ptr 0
		.amdhsa_user_sgpr_queue_ptr 0
		.amdhsa_user_sgpr_kernarg_segment_ptr 1
		.amdhsa_user_sgpr_dispatch_id 0
		.amdhsa_user_sgpr_flat_scratch_init 0
		.amdhsa_user_sgpr_kernarg_preload_length 0
		.amdhsa_user_sgpr_kernarg_preload_offset 0
		.amdhsa_user_sgpr_private_segment_size 0
		.amdhsa_uses_dynamic_stack 0
		.amdhsa_system_sgpr_private_segment_wavefront_offset 0
		.amdhsa_system_sgpr_workgroup_id_x 1
		.amdhsa_system_sgpr_workgroup_id_y 0
		.amdhsa_system_sgpr_workgroup_id_z 0
		.amdhsa_system_sgpr_workgroup_info 0
		.amdhsa_system_vgpr_workitem_id 0
		.amdhsa_next_free_vgpr 26
		.amdhsa_next_free_sgpr 48
		.amdhsa_accum_offset 28
		.amdhsa_reserve_vcc 1
		.amdhsa_reserve_flat_scratch 0
		.amdhsa_float_round_mode_32 0
		.amdhsa_float_round_mode_16_64 0
		.amdhsa_float_denorm_mode_32 3
		.amdhsa_float_denorm_mode_16_64 3
		.amdhsa_dx10_clamp 1
		.amdhsa_ieee_mode 1
		.amdhsa_fp16_overflow 0
		.amdhsa_tg_split 0
		.amdhsa_exception_fp_ieee_invalid_op 0
		.amdhsa_exception_fp_denorm_src 0
		.amdhsa_exception_fp_ieee_div_zero 0
		.amdhsa_exception_fp_ieee_overflow 0
		.amdhsa_exception_fp_ieee_underflow 0
		.amdhsa_exception_fp_ieee_inexact 0
		.amdhsa_exception_int_div_zero 0
	.end_amdhsa_kernel
	.section	.text._ZN2at6native32elementwise_kernel_manual_unrollILi128ELi4EZNS0_15gpu_kernel_implIZZZNS0_12_GLOBAL__N_139_amp_non_finite_check_and_unscale_cuda_ERNS_6TensorES5_RKS4_ENKUlvE_clEvENKUlvE_clEvEUldE_EEvRNS_18TensorIteratorBaseERKT_EUlibE_EEviT1_,"axG",@progbits,_ZN2at6native32elementwise_kernel_manual_unrollILi128ELi4EZNS0_15gpu_kernel_implIZZZNS0_12_GLOBAL__N_139_amp_non_finite_check_and_unscale_cuda_ERNS_6TensorES5_RKS4_ENKUlvE_clEvENKUlvE_clEvEUldE_EEvRNS_18TensorIteratorBaseERKT_EUlibE_EEviT1_,comdat
.Lfunc_end7:
	.size	_ZN2at6native32elementwise_kernel_manual_unrollILi128ELi4EZNS0_15gpu_kernel_implIZZZNS0_12_GLOBAL__N_139_amp_non_finite_check_and_unscale_cuda_ERNS_6TensorES5_RKS4_ENKUlvE_clEvENKUlvE_clEvEUldE_EEvRNS_18TensorIteratorBaseERKT_EUlibE_EEviT1_, .Lfunc_end7-_ZN2at6native32elementwise_kernel_manual_unrollILi128ELi4EZNS0_15gpu_kernel_implIZZZNS0_12_GLOBAL__N_139_amp_non_finite_check_and_unscale_cuda_ERNS_6TensorES5_RKS4_ENKUlvE_clEvENKUlvE_clEvEUldE_EEvRNS_18TensorIteratorBaseERKT_EUlibE_EEviT1_
                                        ; -- End function
	.section	.AMDGPU.csdata,"",@progbits
; Kernel info:
; codeLenInByte = 34852
; NumSgprs: 52
; NumVgprs: 26
; NumAgprs: 0
; TotalNumVgprs: 26
; ScratchSize: 0
; MemoryBound: 1
; FloatMode: 240
; IeeeMode: 1
; LDSByteSize: 0 bytes/workgroup (compile time only)
; SGPRBlocks: 6
; VGPRBlocks: 3
; NumSGPRsForWavesPerEU: 52
; NumVGPRsForWavesPerEU: 26
; AccumOffset: 28
; Occupancy: 8
; WaveLimiterHint : 0
; COMPUTE_PGM_RSRC2:SCRATCH_EN: 0
; COMPUTE_PGM_RSRC2:USER_SGPR: 6
; COMPUTE_PGM_RSRC2:TRAP_HANDLER: 0
; COMPUTE_PGM_RSRC2:TGID_X_EN: 1
; COMPUTE_PGM_RSRC2:TGID_Y_EN: 0
; COMPUTE_PGM_RSRC2:TGID_Z_EN: 0
; COMPUTE_PGM_RSRC2:TIDIG_COMP_CNT: 0
; COMPUTE_PGM_RSRC3_GFX90A:ACCUM_OFFSET: 6
; COMPUTE_PGM_RSRC3_GFX90A:TG_SPLIT: 0
	.section	.text._ZN2at6native32elementwise_kernel_manual_unrollILi128ELi4EZNS0_15gpu_kernel_implIZZZNS0_12_GLOBAL__N_139_amp_non_finite_check_and_unscale_cuda_ERNS_6TensorES5_RKS4_ENKUlvE_clEvENKUlvE_clEvEUldE_EEvRNS_18TensorIteratorBaseERKT_EUlibE0_EEviT1_,"axG",@progbits,_ZN2at6native32elementwise_kernel_manual_unrollILi128ELi4EZNS0_15gpu_kernel_implIZZZNS0_12_GLOBAL__N_139_amp_non_finite_check_and_unscale_cuda_ERNS_6TensorES5_RKS4_ENKUlvE_clEvENKUlvE_clEvEUldE_EEvRNS_18TensorIteratorBaseERKT_EUlibE0_EEviT1_,comdat
	.globl	_ZN2at6native32elementwise_kernel_manual_unrollILi128ELi4EZNS0_15gpu_kernel_implIZZZNS0_12_GLOBAL__N_139_amp_non_finite_check_and_unscale_cuda_ERNS_6TensorES5_RKS4_ENKUlvE_clEvENKUlvE_clEvEUldE_EEvRNS_18TensorIteratorBaseERKT_EUlibE0_EEviT1_ ; -- Begin function _ZN2at6native32elementwise_kernel_manual_unrollILi128ELi4EZNS0_15gpu_kernel_implIZZZNS0_12_GLOBAL__N_139_amp_non_finite_check_and_unscale_cuda_ERNS_6TensorES5_RKS4_ENKUlvE_clEvENKUlvE_clEvEUldE_EEvRNS_18TensorIteratorBaseERKT_EUlibE0_EEviT1_
	.p2align	8
	.type	_ZN2at6native32elementwise_kernel_manual_unrollILi128ELi4EZNS0_15gpu_kernel_implIZZZNS0_12_GLOBAL__N_139_amp_non_finite_check_and_unscale_cuda_ERNS_6TensorES5_RKS4_ENKUlvE_clEvENKUlvE_clEvEUldE_EEvRNS_18TensorIteratorBaseERKT_EUlibE0_EEviT1_,@function
_ZN2at6native32elementwise_kernel_manual_unrollILi128ELi4EZNS0_15gpu_kernel_implIZZZNS0_12_GLOBAL__N_139_amp_non_finite_check_and_unscale_cuda_ERNS_6TensorES5_RKS4_ENKUlvE_clEvENKUlvE_clEvEUldE_EEvRNS_18TensorIteratorBaseERKT_EUlibE0_EEviT1_: ; @_ZN2at6native32elementwise_kernel_manual_unrollILi128ELi4EZNS0_15gpu_kernel_implIZZZNS0_12_GLOBAL__N_139_amp_non_finite_check_and_unscale_cuda_ERNS_6TensorES5_RKS4_ENKUlvE_clEvENKUlvE_clEvEUldE_EEvRNS_18TensorIteratorBaseERKT_EUlibE0_EEviT1_
; %bb.0:
	s_load_dword s76, s[4:5], 0x0
	s_load_dword s33, s[4:5], 0x8
	s_or_b32 s34, s4, 8
	v_lshl_or_b32 v12, s6, 9, v0
	v_or_b32_e32 v15, 0x180, v12
	s_mov_b32 s35, s5
	s_waitcnt lgkmcnt(0)
	s_add_i32 s78, s33, -1
	s_cmp_gt_u32 s78, 1
	v_cmp_le_i32_e32 vcc, s76, v15
	s_cselect_b64 s[44:45], -1, 0
	s_mov_b64 s[6:7], 0
	s_mov_b64 s[28:29], 0
	s_and_saveexec_b64 s[0:1], vcc
	s_xor_b64 s[46:47], exec, s[0:1]
	s_cbranch_execz .LBB8_1098
; %bb.1:
	s_load_dwordx4 s[36:39], s[34:35], 0x4
	s_load_dwordx2 s[48:49], s[34:35], 0x14
	s_load_dword s79, s[34:35], 0x168
	s_cmp_lg_u32 s33, 0
	s_load_dwordx4 s[40:43], s[34:35], 0xc4
	s_load_dwordx8 s[8:15], s[34:35], 0x148
	s_cselect_b64 s[54:55], -1, 0
	s_add_u32 s52, s34, 0xc4
	s_addc_u32 s53, s35, 0
	s_min_u32 s77, s78, 15
	s_cmp_gt_u32 s33, 1
	s_cselect_b64 s[50:51], -1, 0
	s_waitcnt lgkmcnt(0)
	v_lshrrev_b16_e64 v8, 8, s79
	v_cmp_gt_i32_e32 vcc, s76, v12
	s_mov_b64 s[2:3], -1
	s_mov_b64 s[64:65], 0
	s_mov_b64 s[58:59], 0
	;; [unrolled: 1-line block ×3, first 2 shown]
	s_and_saveexec_b64 s[60:61], vcc
	s_cbranch_execz .LBB8_269
; %bb.2:
	s_andn2_b64 vcc, exec, s[44:45]
	s_cbranch_vccnz .LBB8_8
; %bb.3:
	s_mov_b32 s56, 0
	s_andn2_b64 vcc, exec, s[54:55]
	v_mov_b32_e32 v2, 0
	v_mov_b32_e32 v0, 0
	s_cbranch_vccnz .LBB8_14
; %bb.4:
	s_add_i32 s66, s77, 1
	s_cmp_eq_u32 s78, 2
	s_cbranch_scc1 .LBB8_9
; %bb.5:
	s_and_b32 s56, s66, 28
	s_mov_b32 s57, 0
	v_mov_b32_e32 v0, 0
	s_mov_b64 s[58:59], s[34:35]
	s_mov_b64 s[62:63], s[52:53]
	v_mov_b32_e32 v3, v12
	v_mov_b32_e32 v2, 0
.LBB8_6:                                ; =>This Inner Loop Header: Depth=1
	s_load_dwordx8 s[24:31], s[58:59], 0x4
	s_load_dwordx4 s[0:3], s[58:59], 0x24
	s_load_dwordx8 s[16:23], s[62:63], 0x0
	s_add_u32 s58, s58, 48
	s_addc_u32 s59, s59, 0
	s_waitcnt lgkmcnt(0)
	v_mul_hi_u32 v1, s25, v3
	v_add_u32_e32 v1, v3, v1
	v_lshrrev_b32_e32 v1, s26, v1
	v_mul_lo_u32 v4, v1, s24
	v_mul_hi_u32 v5, s28, v1
	v_sub_u32_e32 v3, v3, v4
	v_add_u32_e32 v4, v1, v5
	v_lshrrev_b32_e32 v4, s29, v4
	v_mul_lo_u32 v6, v4, s27
	v_mul_hi_u32 v7, s31, v4
	v_sub_u32_e32 v1, v1, v6
	v_add_u32_e32 v6, v4, v7
	v_mul_lo_u32 v5, v3, s17
	v_mul_lo_u32 v3, v3, s16
	;; [unrolled: 1-line block ×4, first 2 shown]
	v_lshrrev_b32_e32 v6, s0, v6
	v_add3_u32 v0, v3, v0, v1
	v_mul_hi_u32 v3, s2, v6
	v_add_u32_e32 v3, v6, v3
	v_lshrrev_b32_e32 v3, s3, v3
	s_add_i32 s57, s57, 4
	v_add3_u32 v1, v5, v2, v7
	v_mul_lo_u32 v2, v6, s30
	v_mul_lo_u32 v5, v3, s1
	s_add_u32 s62, s62, 32
	v_sub_u32_e32 v2, v4, v2
	v_sub_u32_e32 v5, v6, v5
	s_addc_u32 s63, s63, 0
	v_mul_lo_u32 v4, v2, s20
	v_mul_lo_u32 v2, v2, s21
	;; [unrolled: 1-line block ×4, first 2 shown]
	s_cmp_lg_u32 s56, s57
	v_add3_u32 v2, v2, v1, v5
	v_add3_u32 v0, v4, v0, v6
	s_cbranch_scc1 .LBB8_6
; %bb.7:
	v_mov_b32_e32 v1, v2
	s_branch .LBB8_10
.LBB8_8:
                                        ; implicit-def: $vgpr2
                                        ; implicit-def: $vgpr0
	s_branch .LBB8_15
.LBB8_9:
	s_mov_b32 s57, s56
	v_pk_mov_b32 v[0:1], s[56:57], s[56:57] op_sel:[0,1]
                                        ; implicit-def: $vgpr2
	v_mov_b32_e32 v3, v12
.LBB8_10:
	s_and_b32 s16, s66, 3
	s_cmp_eq_u32 s16, 0
	s_cbranch_scc1 .LBB8_14
; %bb.11:
	s_lshl_b32 s0, s56, 3
	s_add_u32 s0, s0, s34
	s_addc_u32 s1, s35, 0
	s_add_u32 s0, s0, 0xc4
	s_addc_u32 s1, s1, 0
	s_mul_i32 s2, s56, 12
	s_add_u32 s2, s34, s2
	s_addc_u32 s3, s35, 0
.LBB8_12:                               ; =>This Inner Loop Header: Depth=1
	s_load_dwordx2 s[18:19], s[2:3], 0x4
	s_load_dword s17, s[2:3], 0xc
	s_load_dwordx2 s[20:21], s[0:1], 0x0
	v_mov_b32_e32 v2, v1
	s_add_u32 s2, s2, 12
	s_waitcnt lgkmcnt(0)
	v_mul_hi_u32 v1, s19, v3
	v_add_u32_e32 v1, v3, v1
	v_lshrrev_b32_e32 v1, s17, v1
	s_addc_u32 s3, s3, 0
	v_mul_lo_u32 v4, v1, s18
	s_add_u32 s0, s0, 8
	v_sub_u32_e32 v6, v3, v4
	v_mov_b32_e32 v3, v1
	s_addc_u32 s1, s1, 0
	s_add_i32 s16, s16, -1
	v_mad_u64_u32 v[4:5], s[18:19], v6, s21, v[2:3]
	v_mad_u64_u32 v[0:1], s[18:19], v6, s20, v[0:1]
	s_cmp_lg_u32 s16, 0
	v_mov_b32_e32 v1, v4
	s_cbranch_scc1 .LBB8_12
; %bb.13:
	v_mov_b32_e32 v2, v1
.LBB8_14:
	s_cbranch_execnz .LBB8_17
.LBB8_15:
	v_mul_hi_u32 v0, s37, v12
	v_add_u32_e32 v0, v12, v0
	v_lshrrev_b32_e32 v1, s38, v0
	v_mul_lo_u32 v0, v1, s36
	v_sub_u32_e32 v0, v12, v0
	v_mul_lo_u32 v2, v0, s41
	s_andn2_b64 vcc, exec, s[50:51]
	v_mul_lo_u32 v0, v0, s40
	s_cbranch_vccnz .LBB8_17
; %bb.16:
	v_mul_hi_u32 v3, s48, v1
	v_add_u32_e32 v3, v1, v3
	v_lshrrev_b32_e32 v3, s49, v3
	v_mul_lo_u32 v3, v3, s39
	v_sub_u32_e32 v3, v1, v3
	v_mad_u64_u32 v[0:1], s[0:1], v3, s42, v[0:1]
	v_mad_u64_u32 v[2:3], s[0:1], v3, s43, v[2:3]
.LBB8_17:
	v_mov_b32_e32 v1, s11
	v_add_co_u32_e32 v2, vcc, s10, v2
	v_addc_co_u32_e32 v3, vcc, 0, v1, vcc
	v_cmp_gt_i16_e32 vcc, 11, v8
	s_cbranch_vccnz .LBB8_24
; %bb.18:
	v_cmp_lt_i16_e32 vcc, 25, v8
	s_cbranch_vccz .LBB8_35
; %bb.19:
	v_cmp_lt_i16_e32 vcc, 28, v8
	s_cbranch_vccz .LBB8_38
	;; [unrolled: 3-line block ×4, first 2 shown]
; %bb.22:
	v_cmp_eq_u16_e32 vcc, 46, v8
	s_mov_b64 s[16:17], 0
	s_cbranch_vccz .LBB8_44
; %bb.23:
	global_load_dword v1, v[2:3], off
	s_mov_b64 s[0:1], -1
	s_mov_b64 s[2:3], 0
	s_waitcnt vmcnt(0)
	v_lshlrev_b32_e32 v1, 16, v1
	v_cvt_f64_f32_e32 v[6:7], v1
	s_branch .LBB8_46
.LBB8_24:
	s_mov_b64 s[2:3], 0
                                        ; implicit-def: $vgpr6_vgpr7
	s_mov_b64 s[0:1], 0
	s_cbranch_execnz .LBB8_219
.LBB8_25:
	s_andn2_b64 vcc, exec, s[0:1]
	s_cbranch_vccnz .LBB8_266
.LBB8_26:
	s_waitcnt vmcnt(0)
	v_cvt_f32_f64_e32 v1, v[6:7]
	s_mov_b32 s0, 0x7f800000
	v_cmp_nlg_f32_e64 s[16:17], |v1|, s0
	s_and_saveexec_b64 s[0:1], s[16:17]
	s_cbranch_execz .LBB8_28
; %bb.27:
	v_mov_b32_e32 v1, 0
	v_mov_b32_e32 v2, 1.0
	global_store_dword v1, v2, s[12:13]
.LBB8_28:
	s_or_b64 exec, exec, s[0:1]
	v_mov_b32_e32 v1, 0
	global_load_dword v2, v1, s[14:15]
	v_mov_b32_e32 v1, s9
	v_mov_b32_e32 v3, 11
	v_add_co_u32_e32 v4, vcc, s8, v0
	v_addc_co_u32_e32 v5, vcc, 0, v1, vcc
	v_cmp_lt_i16_sdwa s[0:1], s79, v3 src0_sel:BYTE_0 src1_sel:DWORD
	s_and_b64 vcc, exec, s[0:1]
	s_waitcnt vmcnt(0)
	v_cvt_f64_f32_e32 v[0:1], v2
	v_mul_f64 v[0:1], v[6:7], v[0:1]
	v_cmp_eq_f32_e64 s[0:1], 1.0, v2
	v_cndmask_b32_e64 v1, v1, v7, s[0:1]
	v_cndmask_b32_e64 v0, v0, v6, s[0:1]
	s_cbranch_vccnz .LBB8_36
; %bb.29:
	v_mov_b32_e32 v2, 25
	v_cmp_gt_i16_sdwa s[0:1], s79, v2 src0_sel:BYTE_0 src1_sel:DWORD
	s_and_b64 vcc, exec, s[0:1]
	s_cbranch_vccz .LBB8_39
; %bb.30:
	v_mov_b32_e32 v2, 28
	v_cmp_gt_i16_sdwa s[0:1], s79, v2 src0_sel:BYTE_0 src1_sel:DWORD
	s_and_b64 vcc, exec, s[0:1]
	s_cbranch_vccz .LBB8_41
	;; [unrolled: 5-line block ×4, first 2 shown]
; %bb.33:
	v_mov_b32_e32 v2, 46
	v_cmp_eq_u16_sdwa s[16:17], s79, v2 src0_sel:BYTE_0 src1_sel:DWORD
	s_mov_b64 s[18:19], 0
	s_mov_b64 s[0:1], -1
	s_and_b64 vcc, exec, s[16:17]
	s_mov_b64 s[16:17], 0
	s_cbranch_vccz .LBB8_50
; %bb.34:
	v_cvt_f32_f64_e32 v2, v[0:1]
	v_bfe_u32 v3, v2, 16, 1
	s_movk_i32 s0, 0x7fff
	v_add3_u32 v3, v2, v3, s0
	v_lshrrev_b32_e32 v3, 16, v3
	v_mov_b32_e32 v6, 0x7fc0
	v_cmp_o_f32_e32 vcc, v2, v2
	v_cndmask_b32_e32 v2, v6, v3, vcc
	global_store_dword v[4:5], v2, off
	s_mov_b64 s[16:17], -1
	s_mov_b64 s[0:1], 0
	s_branch .LBB8_50
.LBB8_35:
	s_mov_b64 s[2:3], 0
	s_mov_b64 s[0:1], 0
                                        ; implicit-def: $vgpr6_vgpr7
	s_cbranch_execnz .LBB8_184
	s_branch .LBB8_218
.LBB8_36:
	s_mov_b64 s[0:1], 0
	s_mov_b64 s[16:17], 0
	s_cbranch_execnz .LBB8_119
.LBB8_37:
	s_andn2_b64 vcc, exec, s[16:17]
	s_cbranch_vccnz .LBB8_267
	s_branch .LBB8_157
.LBB8_38:
	s_mov_b64 s[16:17], -1
	s_mov_b64 s[2:3], 0
	s_mov_b64 s[0:1], 0
                                        ; implicit-def: $vgpr6_vgpr7
	s_branch .LBB8_165
.LBB8_39:
	s_mov_b64 s[18:19], -1
	s_mov_b64 s[0:1], 0
	s_mov_b64 s[16:17], 0
	s_branch .LBB8_77
.LBB8_40:
	s_mov_b64 s[16:17], -1
	s_mov_b64 s[2:3], 0
	s_mov_b64 s[0:1], 0
                                        ; implicit-def: $vgpr6_vgpr7
	s_branch .LBB8_160
.LBB8_41:
	s_mov_b64 s[18:19], -1
	s_mov_b64 s[0:1], 0
	s_mov_b64 s[16:17], 0
	s_branch .LBB8_60
.LBB8_42:
	s_mov_b64 s[16:17], -1
	s_mov_b64 s[2:3], 0
	s_branch .LBB8_45
.LBB8_43:
	s_mov_b64 s[18:19], -1
	s_mov_b64 s[0:1], 0
	s_mov_b64 s[16:17], 0
	s_branch .LBB8_56
.LBB8_44:
	s_mov_b64 s[2:3], -1
.LBB8_45:
	s_mov_b64 s[0:1], 0
                                        ; implicit-def: $vgpr6_vgpr7
.LBB8_46:
	s_and_b64 vcc, exec, s[16:17]
	s_cbranch_vccz .LBB8_159
; %bb.47:
	v_cmp_eq_u16_e32 vcc, 44, v8
	s_cbranch_vccz .LBB8_158
; %bb.48:
	global_load_ubyte v1, v[2:3], off
	s_movk_i32 s2, 0xff
	v_bfrev_b32_e32 v6, 4
	v_mov_b32_e32 v7, 0x7ff80000
	v_bfrev_b32_e32 v9, 28
	s_mov_b64 s[0:1], -1
	s_waitcnt vmcnt(0)
	v_lshlrev_b32_e32 v4, 23, v1
	v_cvt_f64_f32_e32 v[4:5], v4
	v_cmp_ne_u32_e32 vcc, s2, v1
	v_cndmask_b32_e32 v4, v6, v4, vcc
	v_cndmask_b32_e32 v5, v7, v5, vcc
	v_cmp_ne_u32_e32 vcc, 0, v1
	v_cndmask_b32_e32 v7, v9, v5, vcc
	v_cndmask_b32_e32 v6, 0, v4, vcc
	s_mov_b64 s[2:3], 0
	s_branch .LBB8_159
.LBB8_49:
	s_mov_b64 s[18:19], -1
	s_mov_b64 s[0:1], 0
	s_mov_b64 s[16:17], 0
.LBB8_50:
	s_and_b64 vcc, exec, s[18:19]
	s_cbranch_vccz .LBB8_55
; %bb.51:
	v_mov_b32_e32 v2, 44
	v_cmp_eq_u16_sdwa s[18:19], s79, v2 src0_sel:BYTE_0 src1_sel:DWORD
	s_mov_b64 s[0:1], -1
	s_and_b64 vcc, exec, s[18:19]
	s_cbranch_vccz .LBB8_55
; %bb.52:
	v_cvt_f32_f64_e32 v2, v[0:1]
	v_bfe_u32 v3, v2, 23, 8
	s_movk_i32 s0, 0xff
	v_cmp_ne_u32_e32 vcc, s0, v3
	v_mov_b32_e32 v6, 0xff
	s_and_saveexec_b64 s[16:17], vcc
; %bb.53:
	s_mov_b32 s0, 0x3fffff
	v_lshrrev_b32_e32 v6, 23, v2
	v_and_b32_e32 v7, 0x400000, v2
	v_and_or_b32 v2, v2, s0, v3
	v_cmp_ne_u32_e32 vcc, 0, v7
	v_cmp_ne_u32_e64 s[0:1], 0, v2
	s_and_b64 s[0:1], vcc, s[0:1]
	v_cndmask_b32_e64 v2, 0, 1, s[0:1]
	v_add_u32_e32 v6, v6, v2
; %bb.54:
	s_or_b64 exec, exec, s[16:17]
	s_mov_b64 s[16:17], -1
	s_mov_b64 s[0:1], 0
	global_store_byte v[4:5], v6, off
.LBB8_55:
	s_mov_b64 s[18:19], 0
.LBB8_56:
	s_and_b64 vcc, exec, s[18:19]
	s_cbranch_vccz .LBB8_59
; %bb.57:
	v_mov_b32_e32 v2, 29
	v_cmp_eq_u16_sdwa s[18:19], s79, v2 src0_sel:BYTE_0 src1_sel:DWORD
	s_mov_b64 s[0:1], -1
	s_and_b64 vcc, exec, s[18:19]
	s_cbranch_vccz .LBB8_59
; %bb.58:
	v_trunc_f64_e32 v[2:3], v[0:1]
	s_movk_i32 s0, 0xffe0
	v_ldexp_f64 v[6:7], v[2:3], s0
	v_floor_f64_e32 v[6:7], v[6:7]
	v_fmac_f64_e32 v[2:3], 0xc1f00000, v[6:7]
	v_cvt_u32_f64_e32 v11, v[6:7]
	v_cvt_u32_f64_e32 v10, v[2:3]
	global_store_dwordx2 v[4:5], v[10:11], off
	s_mov_b64 s[16:17], -1
	s_mov_b64 s[0:1], 0
.LBB8_59:
	s_mov_b64 s[18:19], 0
.LBB8_60:
	s_and_b64 vcc, exec, s[18:19]
	s_cbranch_vccz .LBB8_76
; %bb.61:
	v_mov_b32_e32 v2, 27
	v_cmp_lt_i16_sdwa s[18:19], s79, v2 src0_sel:BYTE_0 src1_sel:DWORD
	s_mov_b64 s[16:17], -1
	s_and_b64 vcc, exec, s[18:19]
	s_cbranch_vccnz .LBB8_67
; %bb.62:
	v_cmp_gt_i16_sdwa s[18:19], s79, v2 src0_sel:BYTE_0 src1_sel:DWORD
	s_and_b64 vcc, exec, s[18:19]
	v_cvt_u32_f64_e32 v2, v[0:1]
	s_cbranch_vccz .LBB8_64
; %bb.63:
	s_mov_b64 s[16:17], 0
	global_store_dword v[4:5], v2, off
.LBB8_64:
	s_andn2_b64 vcc, exec, s[16:17]
	s_cbranch_vccnz .LBB8_66
; %bb.65:
	global_store_short v[4:5], v2, off
.LBB8_66:
	s_mov_b64 s[16:17], 0
.LBB8_67:
	s_andn2_b64 vcc, exec, s[16:17]
	s_cbranch_vccnz .LBB8_75
; %bb.68:
	v_cvt_f32_f64_e32 v2, v[0:1]
	v_and_b32_e32 v3, 0x7fffffff, v2
	s_mov_b32 s16, 0x43800000
	v_cmp_gt_u32_e32 vcc, s16, v3
	v_mov_b32_e32 v6, 0x80
	s_and_saveexec_b64 s[16:17], vcc
	s_cbranch_execz .LBB8_74
; %bb.69:
	s_mov_b32 s18, 0x3bffffff
	v_cmp_lt_u32_e32 vcc, s18, v3
	s_mov_b64 s[18:19], 0
                                        ; implicit-def: $vgpr3
	s_and_saveexec_b64 s[20:21], vcc
	s_xor_b64 s[20:21], exec, s[20:21]
	s_cbranch_execz .LBB8_313
; %bb.70:
	v_bfe_u32 v3, v2, 20, 1
	s_mov_b32 s22, 0x487ffff
	v_add3_u32 v3, v2, v3, s22
	s_mov_b64 s[18:19], exec
	v_lshrrev_b32_e32 v3, 20, v3
	s_or_saveexec_b64 s[20:21], s[20:21]
                                        ; implicit-def: $sgpr22
	s_xor_b64 exec, exec, s[20:21]
	s_cbranch_execnz .LBB8_314
.LBB8_71:
	s_or_b64 exec, exec, s[20:21]
	v_mov_b32_e32 v6, s22
	s_and_saveexec_b64 s[20:21], s[18:19]
.LBB8_72:
	v_lshrrev_b32_e32 v2, 24, v2
	s_movk_i32 s18, 0x80
	v_and_or_b32 v6, v2, s18, v3
.LBB8_73:
	s_or_b64 exec, exec, s[20:21]
.LBB8_74:
	s_or_b64 exec, exec, s[16:17]
	global_store_byte v[4:5], v6, off
.LBB8_75:
	s_mov_b64 s[16:17], -1
.LBB8_76:
	s_mov_b64 s[18:19], 0
.LBB8_77:
	s_and_b64 vcc, exec, s[18:19]
	s_cbranch_vccz .LBB8_118
; %bb.78:
	v_mov_b32_e32 v2, 22
	v_cmp_gt_i16_sdwa s[20:21], s79, v2 src0_sel:BYTE_0 src1_sel:DWORD
	s_mov_b64 s[18:19], -1
	s_and_b64 vcc, exec, s[20:21]
	s_cbranch_vccz .LBB8_110
; %bb.79:
	v_mov_b32_e32 v2, 24
	v_cmp_lt_i16_sdwa s[18:19], s79, v2 src0_sel:BYTE_0 src1_sel:DWORD
	s_mov_b64 s[16:17], -1
	s_and_b64 vcc, exec, s[18:19]
	s_cbranch_vccnz .LBB8_99
; %bb.80:
	v_cmp_gt_i16_sdwa s[18:19], s79, v2 src0_sel:BYTE_0 src1_sel:DWORD
	s_and_b64 vcc, exec, s[18:19]
	s_cbranch_vccz .LBB8_88
; %bb.81:
	v_cvt_f32_f64_e32 v2, v[0:1]
	v_and_b32_e32 v3, 0x7fffffff, v2
	s_mov_b32 s16, 0x47800000
	v_cmp_gt_u32_e32 vcc, s16, v3
	v_mov_b32_e32 v6, 0x80
	s_and_saveexec_b64 s[16:17], vcc
	s_cbranch_execz .LBB8_87
; %bb.82:
	s_mov_b32 s18, 0x37ffffff
	v_cmp_lt_u32_e32 vcc, s18, v3
	s_mov_b64 s[18:19], 0
                                        ; implicit-def: $vgpr3
	s_and_saveexec_b64 s[20:21], vcc
	s_xor_b64 s[20:21], exec, s[20:21]
	s_cbranch_execz .LBB8_317
; %bb.83:
	v_bfe_u32 v3, v2, 21, 1
	s_mov_b32 s22, 0x88fffff
	v_add3_u32 v3, v2, v3, s22
	s_mov_b64 s[18:19], exec
	v_lshrrev_b32_e32 v3, 21, v3
	s_or_saveexec_b64 s[20:21], s[20:21]
                                        ; implicit-def: $sgpr22
	s_xor_b64 exec, exec, s[20:21]
	s_cbranch_execnz .LBB8_318
.LBB8_84:
	s_or_b64 exec, exec, s[20:21]
	v_mov_b32_e32 v6, s22
	s_and_saveexec_b64 s[20:21], s[18:19]
.LBB8_85:
	v_lshrrev_b32_e32 v2, 24, v2
	s_movk_i32 s18, 0x80
	v_and_or_b32 v6, v2, s18, v3
.LBB8_86:
	s_or_b64 exec, exec, s[20:21]
.LBB8_87:
	s_or_b64 exec, exec, s[16:17]
	s_mov_b64 s[16:17], 0
	global_store_byte v[4:5], v6, off
.LBB8_88:
	s_and_b64 vcc, exec, s[16:17]
	s_cbranch_vccz .LBB8_98
; %bb.89:
	v_cvt_f32_f64_e32 v2, v[0:1]
	v_and_b32_e32 v6, 0x7fffffff, v2
	s_mov_b32 s16, 0x43f00000
	v_cmp_gt_u32_e32 vcc, s16, v6
                                        ; implicit-def: $vgpr3
	s_and_saveexec_b64 s[16:17], vcc
	s_xor_b64 s[16:17], exec, s[16:17]
	s_cbranch_execz .LBB8_95
; %bb.90:
	s_mov_b32 s18, 0x3c7fffff
	v_cmp_lt_u32_e32 vcc, s18, v6
                                        ; implicit-def: $vgpr3
	s_and_saveexec_b64 s[18:19], vcc
	s_xor_b64 s[18:19], exec, s[18:19]
; %bb.91:
	v_bfe_u32 v3, v2, 20, 1
	s_mov_b32 s20, 0x407ffff
	v_add3_u32 v3, v2, v3, s20
	v_lshrrev_b32_e32 v6, 20, v3
	v_and_b32_e32 v3, 0xff00000, v3
	s_mov_b32 s20, 0x7f00000
	v_mov_b32_e32 v7, 0x7e
	v_cmp_ne_u32_e32 vcc, s20, v3
	v_cndmask_b32_e32 v3, v7, v6, vcc
; %bb.92:
	s_andn2_saveexec_b64 s[18:19], s[18:19]
; %bb.93:
	s_mov_b32 s20, 0x46800000
	v_add_f32_e64 v3, |v2|, s20
; %bb.94:
	s_or_b64 exec, exec, s[18:19]
                                        ; implicit-def: $vgpr6
.LBB8_95:
	s_andn2_saveexec_b64 s[16:17], s[16:17]
; %bb.96:
	s_mov_b32 s18, 0x7f800000
	v_mov_b32_e32 v3, 0x7e
	v_mov_b32_e32 v7, 0x7f
	v_cmp_lt_u32_e32 vcc, s18, v6
	v_cndmask_b32_e32 v3, v3, v7, vcc
; %bb.97:
	s_or_b64 exec, exec, s[16:17]
	v_lshrrev_b32_e32 v2, 24, v2
	s_movk_i32 s16, 0x80
	v_and_or_b32 v2, v2, s16, v3
	global_store_byte v[4:5], v2, off
.LBB8_98:
	s_mov_b64 s[16:17], 0
.LBB8_99:
	s_andn2_b64 vcc, exec, s[16:17]
	s_cbranch_vccnz .LBB8_109
; %bb.100:
	v_cvt_f32_f64_e32 v2, v[0:1]
	v_and_b32_e32 v6, 0x7fffffff, v2
	s_mov_b32 s16, 0x47800000
	v_cmp_gt_u32_e32 vcc, s16, v6
                                        ; implicit-def: $vgpr3
	s_and_saveexec_b64 s[16:17], vcc
	s_xor_b64 s[16:17], exec, s[16:17]
	s_cbranch_execz .LBB8_106
; %bb.101:
	s_mov_b32 s18, 0x387fffff
	v_cmp_lt_u32_e32 vcc, s18, v6
                                        ; implicit-def: $vgpr3
	s_and_saveexec_b64 s[18:19], vcc
	s_xor_b64 s[18:19], exec, s[18:19]
; %bb.102:
	v_bfe_u32 v3, v2, 21, 1
	s_mov_b32 s20, 0x80fffff
	v_add3_u32 v3, v2, v3, s20
	v_lshrrev_b32_e32 v3, 21, v3
; %bb.103:
	s_andn2_saveexec_b64 s[18:19], s[18:19]
; %bb.104:
	s_mov_b32 s20, 0x43000000
	v_add_f32_e64 v3, |v2|, s20
; %bb.105:
	s_or_b64 exec, exec, s[18:19]
                                        ; implicit-def: $vgpr6
.LBB8_106:
	s_andn2_saveexec_b64 s[16:17], s[16:17]
; %bb.107:
	s_mov_b32 s18, 0x7f800000
	v_mov_b32_e32 v3, 0x7c
	v_mov_b32_e32 v7, 0x7f
	v_cmp_lt_u32_e32 vcc, s18, v6
	v_cndmask_b32_e32 v3, v3, v7, vcc
; %bb.108:
	s_or_b64 exec, exec, s[16:17]
	v_lshrrev_b32_e32 v2, 24, v2
	s_movk_i32 s16, 0x80
	v_and_or_b32 v2, v2, s16, v3
	global_store_byte v[4:5], v2, off
.LBB8_109:
	s_mov_b64 s[18:19], 0
	s_mov_b64 s[16:17], -1
.LBB8_110:
	s_andn2_b64 vcc, exec, s[18:19]
	s_cbranch_vccnz .LBB8_118
; %bb.111:
	v_mov_b32_e32 v2, 14
	v_cmp_gt_i16_sdwa s[20:21], s79, v2 src0_sel:BYTE_0 src1_sel:DWORD
	s_mov_b64 s[18:19], -1
	s_and_b64 vcc, exec, s[20:21]
	s_cbranch_vccz .LBB8_115
; %bb.112:
	v_mov_b32_e32 v2, 15
	v_cmp_eq_u16_sdwa s[18:19], s79, v2 src0_sel:BYTE_0 src1_sel:DWORD
	s_mov_b64 s[0:1], -1
	s_and_b64 vcc, exec, s[18:19]
	s_cbranch_vccz .LBB8_114
; %bb.113:
	v_cvt_f32_f64_e32 v2, v[0:1]
	v_bfe_u32 v3, v2, 16, 1
	s_movk_i32 s0, 0x7fff
	v_add3_u32 v3, v2, v3, s0
	v_lshrrev_b32_e32 v3, 16, v3
	v_mov_b32_e32 v6, 0x7fc0
	v_cmp_o_f32_e32 vcc, v2, v2
	v_cndmask_b32_e32 v2, v6, v3, vcc
	global_store_short v[4:5], v2, off
	s_mov_b64 s[16:17], -1
	s_mov_b64 s[0:1], 0
.LBB8_114:
	s_mov_b64 s[18:19], 0
.LBB8_115:
	s_and_b64 vcc, exec, s[18:19]
	s_cbranch_vccz .LBB8_118
; %bb.116:
	v_mov_b32_e32 v2, 11
	v_cmp_eq_u16_sdwa s[18:19], s79, v2 src0_sel:BYTE_0 src1_sel:DWORD
	s_mov_b64 s[0:1], -1
	s_and_b64 vcc, exec, s[18:19]
	s_cbranch_vccz .LBB8_118
; %bb.117:
	v_cmp_neq_f64_e32 vcc, 0, v[0:1]
	s_mov_b64 s[0:1], 0
	v_cndmask_b32_e64 v2, 0, 1, vcc
	s_mov_b64 s[16:17], -1
	global_store_byte v[4:5], v2, off
.LBB8_118:
	s_branch .LBB8_37
.LBB8_119:
	v_mov_b32_e32 v2, 5
	v_cmp_lt_i16_sdwa s[18:19], s79, v2 src0_sel:BYTE_0 src1_sel:DWORD
	s_mov_b64 s[16:17], -1
	s_and_b64 vcc, exec, s[18:19]
	s_cbranch_vccnz .LBB8_140
; %bb.120:
	v_mov_b32_e32 v2, 8
	v_cmp_lt_i16_sdwa s[18:19], s79, v2 src0_sel:BYTE_0 src1_sel:DWORD
	s_and_b64 vcc, exec, s[18:19]
	s_cbranch_vccnz .LBB8_130
; %bb.121:
	v_mov_b32_e32 v2, 9
	v_cmp_lt_i16_sdwa s[18:19], s79, v2 src0_sel:BYTE_0 src1_sel:DWORD
	s_and_b64 vcc, exec, s[18:19]
	s_cbranch_vccnz .LBB8_127
; %bb.122:
	v_cmp_gt_i16_sdwa s[18:19], s79, v2 src0_sel:BYTE_0 src1_sel:DWORD
	s_and_b64 vcc, exec, s[18:19]
	s_cbranch_vccz .LBB8_124
; %bb.123:
	v_mov_b32_e32 v2, 0
	v_mov_b32_e32 v3, v2
	global_store_dwordx4 v[4:5], v[0:3], off
	s_mov_b64 s[16:17], 0
.LBB8_124:
	s_andn2_b64 vcc, exec, s[16:17]
	s_cbranch_vccnz .LBB8_126
; %bb.125:
	v_cvt_f32_f64_e32 v2, v[0:1]
	v_mov_b32_e32 v3, 0
	global_store_dwordx2 v[4:5], v[2:3], off
.LBB8_126:
	s_mov_b64 s[16:17], 0
.LBB8_127:
	s_andn2_b64 vcc, exec, s[16:17]
	s_cbranch_vccnz .LBB8_129
; %bb.128:
	v_cvt_f32_f64_e32 v2, v[0:1]
	v_cvt_f16_f32_e32 v2, v2
	global_store_dword v[4:5], v2, off
.LBB8_129:
	s_mov_b64 s[16:17], 0
.LBB8_130:
	s_andn2_b64 vcc, exec, s[16:17]
	s_cbranch_vccnz .LBB8_139
; %bb.131:
	v_mov_b32_e32 v2, 6
	v_cmp_lt_i16_sdwa s[18:19], s79, v2 src0_sel:BYTE_0 src1_sel:DWORD
	s_mov_b64 s[16:17], -1
	s_and_b64 vcc, exec, s[18:19]
	s_cbranch_vccnz .LBB8_137
; %bb.132:
	v_cmp_gt_i16_sdwa s[18:19], s79, v2 src0_sel:BYTE_0 src1_sel:DWORD
	s_and_b64 vcc, exec, s[18:19]
	s_cbranch_vccz .LBB8_134
; %bb.133:
	global_store_dwordx2 v[4:5], v[0:1], off
	s_mov_b64 s[16:17], 0
.LBB8_134:
	s_andn2_b64 vcc, exec, s[16:17]
	s_cbranch_vccnz .LBB8_136
; %bb.135:
	v_cvt_f32_f64_e32 v2, v[0:1]
	global_store_dword v[4:5], v2, off
.LBB8_136:
	s_mov_b64 s[16:17], 0
.LBB8_137:
	s_andn2_b64 vcc, exec, s[16:17]
	s_cbranch_vccnz .LBB8_139
; %bb.138:
	v_cvt_f32_f64_e32 v2, v[0:1]
	v_cvt_f16_f32_e32 v2, v2
	global_store_short v[4:5], v2, off
.LBB8_139:
	s_mov_b64 s[16:17], 0
.LBB8_140:
	s_andn2_b64 vcc, exec, s[16:17]
	s_cbranch_vccnz .LBB8_156
; %bb.141:
	v_mov_b32_e32 v2, 2
	v_cmp_lt_i16_sdwa s[18:19], s79, v2 src0_sel:BYTE_0 src1_sel:DWORD
	s_mov_b64 s[16:17], -1
	s_and_b64 vcc, exec, s[18:19]
	s_cbranch_vccnz .LBB8_151
; %bb.142:
	v_mov_b32_e32 v2, 3
	v_cmp_lt_i16_sdwa s[18:19], s79, v2 src0_sel:BYTE_0 src1_sel:DWORD
	s_and_b64 vcc, exec, s[18:19]
	s_cbranch_vccnz .LBB8_148
; %bb.143:
	v_cmp_gt_i16_sdwa s[18:19], s79, v2 src0_sel:BYTE_0 src1_sel:DWORD
	s_and_b64 vcc, exec, s[18:19]
	s_cbranch_vccz .LBB8_145
; %bb.144:
	v_trunc_f64_e32 v[2:3], v[0:1]
	s_movk_i32 s16, 0xffe0
	v_ldexp_f64 v[6:7], v[2:3], s16
	v_floor_f64_e32 v[6:7], v[6:7]
	v_fmac_f64_e32 v[2:3], 0xc1f00000, v[6:7]
	v_cvt_i32_f64_e32 v11, v[6:7]
	v_cvt_u32_f64_e32 v10, v[2:3]
	global_store_dwordx2 v[4:5], v[10:11], off
	s_mov_b64 s[16:17], 0
.LBB8_145:
	s_andn2_b64 vcc, exec, s[16:17]
	s_cbranch_vccnz .LBB8_147
; %bb.146:
	v_cvt_i32_f64_e32 v2, v[0:1]
	global_store_dword v[4:5], v2, off
.LBB8_147:
	s_mov_b64 s[16:17], 0
.LBB8_148:
	s_andn2_b64 vcc, exec, s[16:17]
	s_cbranch_vccnz .LBB8_150
; %bb.149:
	v_cvt_i32_f64_e32 v2, v[0:1]
	global_store_short v[4:5], v2, off
.LBB8_150:
	s_mov_b64 s[16:17], 0
.LBB8_151:
	s_andn2_b64 vcc, exec, s[16:17]
	s_cbranch_vccnz .LBB8_156
; %bb.152:
	v_mov_b32_e32 v2, 0
	v_cmp_gt_i16_sdwa s[18:19], s79, v2 src0_sel:BYTE_0 src1_sel:DWORD
	s_mov_b64 s[16:17], -1
	s_and_b64 vcc, exec, s[18:19]
	s_cbranch_vccz .LBB8_154
; %bb.153:
	v_cvt_i32_f64_e32 v2, v[0:1]
	global_store_byte v[4:5], v2, off
	s_mov_b64 s[16:17], 0
.LBB8_154:
	s_andn2_b64 vcc, exec, s[16:17]
	s_cbranch_vccnz .LBB8_156
; %bb.155:
	v_trunc_f64_e32 v[0:1], v[0:1]
	s_movk_i32 s16, 0xffe0
	v_ldexp_f64 v[2:3], v[0:1], s16
	v_floor_f64_e32 v[2:3], v[2:3]
	v_fmac_f64_e32 v[0:1], 0xc1f00000, v[2:3]
	v_cvt_u32_f64_e32 v0, v[0:1]
	global_store_byte v[4:5], v0, off
.LBB8_156:
.LBB8_157:
	v_add_u32_e32 v12, 0x80, v12
	s_mov_b64 s[16:17], -1
	s_branch .LBB8_268
.LBB8_158:
	s_mov_b64 s[2:3], -1
                                        ; implicit-def: $vgpr6_vgpr7
.LBB8_159:
	s_mov_b64 s[16:17], 0
.LBB8_160:
	s_and_b64 vcc, exec, s[16:17]
	s_cbranch_vccz .LBB8_164
; %bb.161:
	v_cmp_eq_u16_e32 vcc, 29, v8
	s_cbranch_vccz .LBB8_163
; %bb.162:
	global_load_dwordx2 v[4:5], v[2:3], off
	s_mov_b64 s[0:1], -1
	s_mov_b64 s[2:3], 0
	s_mov_b64 s[16:17], 0
	s_waitcnt vmcnt(0)
	v_cvt_f64_u32_e32 v[6:7], v5
	v_cvt_f64_u32_e32 v[4:5], v4
	v_ldexp_f64 v[6:7], v[6:7], 32
	v_add_f64 v[6:7], v[6:7], v[4:5]
	s_branch .LBB8_165
.LBB8_163:
	s_mov_b64 s[2:3], -1
                                        ; implicit-def: $vgpr6_vgpr7
.LBB8_164:
	s_mov_b64 s[16:17], 0
.LBB8_165:
	s_and_b64 vcc, exec, s[16:17]
	s_cbranch_vccz .LBB8_183
; %bb.166:
	v_cmp_gt_i16_e32 vcc, 27, v8
	s_cbranch_vccnz .LBB8_169
; %bb.167:
	v_cmp_lt_i16_e32 vcc, 27, v8
	s_cbranch_vccz .LBB8_170
; %bb.168:
	global_load_dword v1, v[2:3], off
	s_mov_b64 s[0:1], 0
	s_waitcnt vmcnt(0)
	v_cvt_f64_u32_e32 v[6:7], v1
	s_branch .LBB8_171
.LBB8_169:
	s_mov_b64 s[0:1], -1
                                        ; implicit-def: $vgpr6_vgpr7
	s_branch .LBB8_174
.LBB8_170:
	s_mov_b64 s[0:1], -1
                                        ; implicit-def: $vgpr6_vgpr7
.LBB8_171:
	s_andn2_b64 vcc, exec, s[0:1]
	s_cbranch_vccnz .LBB8_173
; %bb.172:
	global_load_ushort v1, v[2:3], off
	s_waitcnt vmcnt(0)
	v_cvt_f64_u32_e32 v[6:7], v1
.LBB8_173:
	s_mov_b64 s[0:1], 0
.LBB8_174:
	s_andn2_b64 vcc, exec, s[0:1]
	s_cbranch_vccnz .LBB8_182
; %bb.175:
	global_load_ubyte v1, v[2:3], off
	s_movk_i32 s0, 0x7f
                                        ; implicit-def: $sgpr16_sgpr17
	s_waitcnt vmcnt(0)
	v_cmp_lt_i16_e32 vcc, s0, v1
	s_mov_b64 s[0:1], 0
	s_and_saveexec_b64 s[18:19], vcc
	s_xor_b64 s[18:19], exec, s[18:19]
	s_cbranch_execz .LBB8_195
; %bb.176:
	s_movk_i32 s0, 0x80
	v_cmp_eq_u16_e32 vcc, s0, v1
	s_mov_b64 s[20:21], -1
                                        ; implicit-def: $sgpr16_sgpr17
	s_and_saveexec_b64 s[0:1], vcc
; %bb.177:
	s_mov_b32 s17, 0x7ff80000
	s_brev_b32 s16, 4
	s_xor_b64 s[20:21], exec, -1
; %bb.178:
	s_or_b64 exec, exec, s[0:1]
	s_and_b64 s[0:1], s[20:21], exec
	s_or_saveexec_b64 s[18:19], s[18:19]
	v_pk_mov_b32 v[6:7], s[16:17], s[16:17] op_sel:[0,1]
	s_xor_b64 exec, exec, s[18:19]
	s_cbranch_execnz .LBB8_196
.LBB8_179:
	s_or_b64 exec, exec, s[18:19]
	s_and_saveexec_b64 s[16:17], s[0:1]
	s_cbranch_execz .LBB8_181
.LBB8_180:
	v_lshlrev_b32_e32 v4, 24, v1
	v_and_b32_e32 v1, 0xffff, v1
	v_and_b32_e32 v5, 7, v1
	v_ffbh_u32_e32 v7, v5
	v_min_u32_e32 v7, 32, v7
	v_subrev_u32_e32 v9, 28, v7
	v_bfe_u32 v6, v1, 3, 4
	v_lshlrev_b32_e32 v1, v9, v1
	v_sub_u32_e32 v7, 29, v7
	v_and_b32_e32 v1, 7, v1
	v_cmp_eq_u32_e32 vcc, 0, v6
	v_cndmask_b32_e32 v6, v6, v7, vcc
	v_cndmask_b32_e32 v1, v5, v1, vcc
	v_mov_b32_e32 v5, 0x3b800000
	v_lshlrev_b32_e32 v1, 20, v1
	v_and_b32_e32 v4, 0x80000000, v4
	v_lshl_add_u32 v5, v6, 23, v5
	v_or3_b32 v1, v4, v5, v1
	v_cvt_f64_f32_e32 v[6:7], v1
.LBB8_181:
	s_or_b64 exec, exec, s[16:17]
.LBB8_182:
	s_mov_b64 s[0:1], -1
.LBB8_183:
	s_branch .LBB8_218
.LBB8_184:
	v_cmp_lt_i16_e32 vcc, 22, v8
	s_cbranch_vccz .LBB8_194
; %bb.185:
	v_cmp_gt_i16_e32 vcc, 24, v8
	s_cbranch_vccnz .LBB8_197
; %bb.186:
	v_cmp_lt_i16_e32 vcc, 24, v8
	s_cbranch_vccz .LBB8_198
; %bb.187:
	global_load_ubyte v1, v[2:3], off
	s_movk_i32 s0, 0x7f
                                        ; implicit-def: $sgpr16_sgpr17
	s_waitcnt vmcnt(0)
	v_cmp_lt_i16_e32 vcc, s0, v1
	s_mov_b64 s[0:1], 0
	s_and_saveexec_b64 s[18:19], vcc
	s_xor_b64 s[18:19], exec, s[18:19]
	s_cbranch_execz .LBB8_210
; %bb.188:
	s_movk_i32 s0, 0x80
	v_cmp_eq_u16_e32 vcc, s0, v1
	s_mov_b64 s[20:21], -1
                                        ; implicit-def: $sgpr16_sgpr17
	s_and_saveexec_b64 s[0:1], vcc
; %bb.189:
	s_mov_b32 s17, 0x7ff80000
	s_brev_b32 s16, 4
	s_xor_b64 s[20:21], exec, -1
; %bb.190:
	s_or_b64 exec, exec, s[0:1]
	s_and_b64 s[0:1], s[20:21], exec
	s_or_saveexec_b64 s[18:19], s[18:19]
	v_pk_mov_b32 v[6:7], s[16:17], s[16:17] op_sel:[0,1]
	s_xor_b64 exec, exec, s[18:19]
	s_cbranch_execnz .LBB8_211
.LBB8_191:
	s_or_b64 exec, exec, s[18:19]
	s_and_saveexec_b64 s[16:17], s[0:1]
	s_cbranch_execz .LBB8_193
.LBB8_192:
	v_lshlrev_b32_e32 v4, 24, v1
	v_and_b32_e32 v1, 0xffff, v1
	v_and_b32_e32 v5, 3, v1
	v_ffbh_u32_e32 v7, v5
	v_min_u32_e32 v7, 32, v7
	v_subrev_u32_e32 v9, 29, v7
	v_bfe_u32 v6, v1, 2, 5
	v_lshlrev_b32_e32 v1, v9, v1
	v_sub_u32_e32 v7, 30, v7
	v_and_b32_e32 v1, 3, v1
	v_cmp_eq_u32_e32 vcc, 0, v6
	v_cndmask_b32_e32 v6, v6, v7, vcc
	v_cndmask_b32_e32 v1, v5, v1, vcc
	v_mov_b32_e32 v5, 0x37800000
	v_lshlrev_b32_e32 v1, 21, v1
	v_and_b32_e32 v4, 0x80000000, v4
	v_lshl_add_u32 v5, v6, 23, v5
	v_or3_b32 v1, v4, v5, v1
	v_cvt_f64_f32_e32 v[6:7], v1
.LBB8_193:
	s_or_b64 exec, exec, s[16:17]
	s_mov_b64 s[0:1], 0
	s_branch .LBB8_199
.LBB8_194:
	s_mov_b64 s[16:17], -1
                                        ; implicit-def: $vgpr6_vgpr7
	s_branch .LBB8_205
.LBB8_195:
	s_or_saveexec_b64 s[18:19], s[18:19]
	v_pk_mov_b32 v[6:7], s[16:17], s[16:17] op_sel:[0,1]
	s_xor_b64 exec, exec, s[18:19]
	s_cbranch_execz .LBB8_179
.LBB8_196:
	v_cmp_ne_u16_e32 vcc, 0, v1
	s_andn2_b64 s[0:1], s[0:1], exec
	s_and_b64 s[16:17], vcc, exec
	v_pk_mov_b32 v[6:7], 0, 0
	s_or_b64 s[0:1], s[0:1], s[16:17]
	s_or_b64 exec, exec, s[18:19]
	s_and_saveexec_b64 s[16:17], s[0:1]
	s_cbranch_execnz .LBB8_180
	s_branch .LBB8_181
.LBB8_197:
	s_mov_b64 s[0:1], -1
                                        ; implicit-def: $vgpr6_vgpr7
	s_branch .LBB8_202
.LBB8_198:
	s_mov_b64 s[0:1], -1
                                        ; implicit-def: $vgpr6_vgpr7
.LBB8_199:
	s_and_b64 vcc, exec, s[0:1]
	s_cbranch_vccz .LBB8_201
; %bb.200:
	global_load_ubyte v1, v[2:3], off
	s_mov_b32 s0, 0x7f800000
	s_waitcnt vmcnt(0)
	v_lshlrev_b32_e32 v1, 24, v1
	v_and_b32_e32 v4, 0x7f000000, v1
	v_ffbh_u32_e32 v5, v4
	v_min_u32_e32 v5, 32, v5
	v_sub_u32_e64 v5, v5, 4 clamp
	v_lshlrev_b32_e32 v7, v5, v4
	v_lshlrev_b32_e32 v5, 23, v5
	v_lshrrev_b32_e32 v7, 4, v7
	v_add_u32_e32 v6, 0x1000000, v4
	v_sub_u32_e32 v5, v7, v5
	v_ashrrev_i32_e32 v6, 8, v6
	v_add_u32_e32 v5, 0x3c000000, v5
	v_and_or_b32 v5, v6, s0, v5
	v_cmp_ne_u32_e32 vcc, 0, v4
	v_cndmask_b32_e32 v4, 0, v5, vcc
	s_brev_b32 s0, 1
	v_and_or_b32 v1, v1, s0, v4
	v_cvt_f64_f32_e32 v[6:7], v1
.LBB8_201:
	s_mov_b64 s[0:1], 0
.LBB8_202:
	s_andn2_b64 vcc, exec, s[0:1]
	s_cbranch_vccnz .LBB8_204
; %bb.203:
	global_load_ubyte v1, v[2:3], off
	s_movk_i32 s0, 0x7f00
	s_brev_b32 s1, 16
	s_waitcnt vmcnt(0)
	v_lshlrev_b16_e32 v4, 8, v1
	v_lshlrev_b32_e32 v1, 25, v1
	v_lshrrev_b32_e32 v5, 4, v1
	v_and_or_b32 v6, v4, s0, 0.5
	v_or_b32_e32 v5, 0x70000000, v5
	v_add_f32_e32 v6, -0.5, v6
	v_mul_f32_e32 v5, 0x7800000, v5
	v_cmp_gt_u32_e32 vcc, s1, v1
	v_bfe_i32 v4, v4, 0, 16
	v_cndmask_b32_e32 v1, v5, v6, vcc
	s_brev_b32 s0, 1
	v_and_or_b32 v1, v4, s0, v1
	v_cvt_f64_f32_e32 v[6:7], v1
.LBB8_204:
	s_mov_b64 s[16:17], 0
	s_mov_b64 s[0:1], -1
.LBB8_205:
	s_andn2_b64 vcc, exec, s[16:17]
	s_cbranch_vccnz .LBB8_218
; %bb.206:
	v_cmp_lt_i16_e32 vcc, 14, v8
	s_cbranch_vccz .LBB8_209
; %bb.207:
	v_cmp_eq_u16_e32 vcc, 15, v8
	s_cbranch_vccz .LBB8_212
; %bb.208:
	global_load_ushort v1, v[2:3], off
	s_mov_b64 s[0:1], -1
	s_mov_b64 s[2:3], 0
	s_waitcnt vmcnt(0)
	v_lshlrev_b32_e32 v1, 16, v1
	v_cvt_f64_f32_e32 v[6:7], v1
	s_branch .LBB8_213
.LBB8_209:
	s_mov_b64 s[16:17], -1
                                        ; implicit-def: $vgpr6_vgpr7
	s_branch .LBB8_214
.LBB8_210:
	s_or_saveexec_b64 s[18:19], s[18:19]
	v_pk_mov_b32 v[6:7], s[16:17], s[16:17] op_sel:[0,1]
	s_xor_b64 exec, exec, s[18:19]
	s_cbranch_execz .LBB8_191
.LBB8_211:
	v_cmp_ne_u16_e32 vcc, 0, v1
	s_andn2_b64 s[0:1], s[0:1], exec
	s_and_b64 s[16:17], vcc, exec
	v_pk_mov_b32 v[6:7], 0, 0
	s_or_b64 s[0:1], s[0:1], s[16:17]
	s_or_b64 exec, exec, s[18:19]
	s_and_saveexec_b64 s[16:17], s[0:1]
	s_cbranch_execnz .LBB8_192
	s_branch .LBB8_193
.LBB8_212:
	s_mov_b64 s[2:3], -1
                                        ; implicit-def: $vgpr6_vgpr7
.LBB8_213:
	s_mov_b64 s[16:17], 0
.LBB8_214:
	s_and_b64 vcc, exec, s[16:17]
	s_cbranch_vccz .LBB8_218
; %bb.215:
	v_cmp_eq_u16_e32 vcc, 11, v8
	s_cbranch_vccz .LBB8_217
; %bb.216:
	global_load_ubyte v1, v[2:3], off
	v_mov_b32_e32 v4, 0x3ff00000
	v_mov_b32_e32 v6, 0
	s_mov_b64 s[0:1], -1
	s_mov_b64 s[2:3], 0
	s_waitcnt vmcnt(0)
	v_cmp_ne_u16_e32 vcc, 0, v1
	v_cndmask_b32_e32 v7, 0, v4, vcc
	s_branch .LBB8_218
.LBB8_217:
	s_mov_b64 s[2:3], -1
                                        ; implicit-def: $vgpr6_vgpr7
.LBB8_218:
	s_branch .LBB8_25
.LBB8_219:
	v_cmp_gt_i16_e32 vcc, 5, v8
	s_cbranch_vccnz .LBB8_224
; %bb.220:
	v_cmp_gt_i16_e32 vcc, 8, v8
	s_cbranch_vccnz .LBB8_225
; %bb.221:
	;; [unrolled: 3-line block ×3, first 2 shown]
	v_cmp_lt_i16_e32 vcc, 9, v8
	s_cbranch_vccz .LBB8_227
; %bb.223:
	global_load_dwordx2 v[6:7], v[2:3], off
	s_mov_b64 s[0:1], 0
	s_branch .LBB8_228
.LBB8_224:
                                        ; implicit-def: $vgpr6_vgpr7
	s_branch .LBB8_246
.LBB8_225:
	s_mov_b64 s[0:1], -1
                                        ; implicit-def: $vgpr6_vgpr7
	s_branch .LBB8_234
.LBB8_226:
	s_mov_b64 s[0:1], -1
                                        ; implicit-def: $vgpr6_vgpr7
	s_branch .LBB8_231
.LBB8_227:
	s_mov_b64 s[0:1], -1
                                        ; implicit-def: $vgpr6_vgpr7
.LBB8_228:
	s_andn2_b64 vcc, exec, s[0:1]
	s_cbranch_vccnz .LBB8_230
; %bb.229:
	global_load_dword v1, v[2:3], off
	s_waitcnt vmcnt(0)
	v_cvt_f64_f32_e32 v[6:7], v1
.LBB8_230:
	s_mov_b64 s[0:1], 0
.LBB8_231:
	s_andn2_b64 vcc, exec, s[0:1]
	s_cbranch_vccnz .LBB8_233
; %bb.232:
	global_load_dword v1, v[2:3], off
	s_waitcnt vmcnt(0)
	v_cvt_f32_f16_e32 v1, v1
	v_cvt_f64_f32_e32 v[6:7], v1
.LBB8_233:
	s_mov_b64 s[0:1], 0
.LBB8_234:
	s_andn2_b64 vcc, exec, s[0:1]
	s_cbranch_vccnz .LBB8_245
; %bb.235:
	v_cmp_gt_i16_e32 vcc, 6, v8
	s_cbranch_vccnz .LBB8_238
; %bb.236:
	v_cmp_lt_i16_e32 vcc, 6, v8
	s_cbranch_vccz .LBB8_239
; %bb.237:
	global_load_dwordx2 v[6:7], v[2:3], off
	s_mov_b64 s[0:1], 0
	s_branch .LBB8_240
.LBB8_238:
	s_mov_b64 s[0:1], -1
                                        ; implicit-def: $vgpr6_vgpr7
	s_branch .LBB8_243
.LBB8_239:
	s_mov_b64 s[0:1], -1
                                        ; implicit-def: $vgpr6_vgpr7
.LBB8_240:
	s_andn2_b64 vcc, exec, s[0:1]
	s_cbranch_vccnz .LBB8_242
; %bb.241:
	global_load_dword v1, v[2:3], off
	s_waitcnt vmcnt(0)
	v_cvt_f64_f32_e32 v[6:7], v1
.LBB8_242:
	s_mov_b64 s[0:1], 0
.LBB8_243:
	s_andn2_b64 vcc, exec, s[0:1]
	s_cbranch_vccnz .LBB8_245
; %bb.244:
	global_load_ushort v1, v[2:3], off
	s_waitcnt vmcnt(0)
	v_cvt_f32_f16_e32 v1, v1
	v_cvt_f64_f32_e32 v[6:7], v1
.LBB8_245:
	s_cbranch_execnz .LBB8_265
.LBB8_246:
	v_cmp_gt_i16_e32 vcc, 2, v8
	s_cbranch_vccnz .LBB8_250
; %bb.247:
	v_cmp_gt_i16_e32 vcc, 3, v8
	s_cbranch_vccnz .LBB8_251
; %bb.248:
	v_cmp_lt_i16_e32 vcc, 3, v8
	s_cbranch_vccz .LBB8_252
; %bb.249:
	global_load_dwordx2 v[4:5], v[2:3], off
	s_mov_b64 s[0:1], 0
	s_waitcnt vmcnt(0)
	v_cvt_f64_i32_e32 v[6:7], v5
	v_cvt_f64_u32_e32 v[4:5], v4
	v_ldexp_f64 v[6:7], v[6:7], 32
	v_add_f64 v[6:7], v[6:7], v[4:5]
	s_branch .LBB8_253
.LBB8_250:
	s_mov_b64 s[0:1], -1
                                        ; implicit-def: $vgpr6_vgpr7
	s_branch .LBB8_259
.LBB8_251:
	s_mov_b64 s[0:1], -1
                                        ; implicit-def: $vgpr6_vgpr7
	s_branch .LBB8_256
.LBB8_252:
	s_mov_b64 s[0:1], -1
                                        ; implicit-def: $vgpr6_vgpr7
.LBB8_253:
	s_andn2_b64 vcc, exec, s[0:1]
	s_cbranch_vccnz .LBB8_255
; %bb.254:
	global_load_dword v1, v[2:3], off
	s_waitcnt vmcnt(0)
	v_cvt_f64_i32_e32 v[6:7], v1
.LBB8_255:
	s_mov_b64 s[0:1], 0
.LBB8_256:
	s_andn2_b64 vcc, exec, s[0:1]
	s_cbranch_vccnz .LBB8_258
; %bb.257:
	global_load_sshort v1, v[2:3], off
	s_waitcnt vmcnt(0)
	v_cvt_f64_i32_e32 v[6:7], v1
.LBB8_258:
	s_mov_b64 s[0:1], 0
.LBB8_259:
	s_andn2_b64 vcc, exec, s[0:1]
	s_cbranch_vccnz .LBB8_265
; %bb.260:
	v_cmp_lt_i16_e32 vcc, 0, v8
	s_cbranch_vccz .LBB8_262
; %bb.261:
	global_load_sbyte v1, v[2:3], off
	s_mov_b64 s[0:1], 0
	s_waitcnt vmcnt(0)
	v_cvt_f64_i32_e32 v[6:7], v1
	s_branch .LBB8_263
.LBB8_262:
	s_mov_b64 s[0:1], -1
                                        ; implicit-def: $vgpr6_vgpr7
.LBB8_263:
	s_andn2_b64 vcc, exec, s[0:1]
	s_cbranch_vccnz .LBB8_265
; %bb.264:
	global_load_ubyte v1, v[2:3], off
	s_waitcnt vmcnt(0)
	v_cvt_f64_u32_e32 v[6:7], v1
.LBB8_265:
	s_branch .LBB8_26
.LBB8_266:
	s_mov_b64 s[0:1], 0
.LBB8_267:
	s_mov_b64 s[16:17], 0
                                        ; implicit-def: $vgpr12
.LBB8_268:
	s_and_b64 s[56:57], s[0:1], exec
	s_and_b64 s[58:59], s[2:3], exec
	s_orn2_b64 s[2:3], s[16:17], exec
.LBB8_269:
	s_or_b64 exec, exec, s[60:61]
	s_mov_b64 s[16:17], 0
	s_mov_b64 s[0:1], 0
                                        ; implicit-def: $vgpr0_vgpr1
                                        ; implicit-def: $vgpr2
                                        ; implicit-def: $vgpr6_vgpr7
	s_and_saveexec_b64 s[60:61], s[2:3]
	s_cbranch_execz .LBB8_277
; %bb.270:
	v_cmp_gt_i32_e32 vcc, s76, v12
	s_mov_b64 s[0:1], -1
	s_mov_b64 s[62:63], s[58:59]
	s_mov_b64 s[64:65], s[56:57]
	s_and_saveexec_b64 s[66:67], vcc
	s_cbranch_execz .LBB8_548
; %bb.271:
	s_andn2_b64 vcc, exec, s[44:45]
	s_cbranch_vccnz .LBB8_280
; %bb.272:
	s_mov_b32 s62, 0
	s_andn2_b64 vcc, exec, s[54:55]
	v_mov_b32_e32 v2, 0
	v_mov_b32_e32 v0, 0
	s_cbranch_vccnz .LBB8_286
; %bb.273:
	s_add_i32 s70, s77, 1
	s_cmp_eq_u32 s78, 2
	s_cbranch_scc1 .LBB8_281
; %bb.274:
	s_and_b32 s62, s70, 28
	s_mov_b32 s63, 0
	v_mov_b32_e32 v0, 0
	s_mov_b64 s[64:65], s[34:35]
	s_mov_b64 s[68:69], s[52:53]
	v_mov_b32_e32 v3, v12
	v_mov_b32_e32 v2, 0
.LBB8_275:                              ; =>This Inner Loop Header: Depth=1
	s_load_dwordx8 s[24:31], s[64:65], 0x4
	s_load_dwordx4 s[0:3], s[64:65], 0x24
	s_load_dwordx8 s[16:23], s[68:69], 0x0
	s_add_u32 s64, s64, 48
	s_addc_u32 s65, s65, 0
	s_waitcnt lgkmcnt(0)
	v_mul_hi_u32 v1, s25, v3
	v_add_u32_e32 v1, v3, v1
	v_lshrrev_b32_e32 v1, s26, v1
	v_mul_lo_u32 v4, v1, s24
	v_mul_hi_u32 v5, s28, v1
	v_sub_u32_e32 v3, v3, v4
	v_add_u32_e32 v4, v1, v5
	v_lshrrev_b32_e32 v4, s29, v4
	s_waitcnt vmcnt(0)
	v_mul_lo_u32 v6, v4, s27
	v_mul_hi_u32 v7, s31, v4
	v_sub_u32_e32 v1, v1, v6
	v_add_u32_e32 v6, v4, v7
	v_mul_lo_u32 v5, v3, s17
	v_mul_lo_u32 v3, v3, s16
	;; [unrolled: 1-line block ×4, first 2 shown]
	v_lshrrev_b32_e32 v6, s0, v6
	v_add3_u32 v0, v3, v0, v1
	v_mul_hi_u32 v3, s2, v6
	v_add_u32_e32 v3, v6, v3
	v_lshrrev_b32_e32 v3, s3, v3
	s_add_i32 s63, s63, 4
	v_add3_u32 v1, v5, v2, v7
	v_mul_lo_u32 v2, v6, s30
	v_mul_lo_u32 v5, v3, s1
	s_add_u32 s68, s68, 32
	v_sub_u32_e32 v2, v4, v2
	v_sub_u32_e32 v5, v6, v5
	s_addc_u32 s69, s69, 0
	v_mul_lo_u32 v4, v2, s20
	v_mul_lo_u32 v2, v2, s21
	;; [unrolled: 1-line block ×4, first 2 shown]
	s_cmp_eq_u32 s62, s63
	v_add3_u32 v2, v2, v1, v5
	v_add3_u32 v0, v4, v0, v6
	s_cbranch_scc0 .LBB8_275
; %bb.276:
	v_mov_b32_e32 v1, v2
	s_branch .LBB8_282
.LBB8_277:
	s_or_b64 exec, exec, s[60:61]
	s_mov_b64 s[2:3], 0
	s_and_saveexec_b64 s[10:11], s[58:59]
	s_cbranch_execnz .LBB8_928
.LBB8_278:
	s_or_b64 exec, exec, s[10:11]
	s_and_saveexec_b64 s[10:11], s[64:65]
	s_xor_b64 s[10:11], exec, s[10:11]
	s_cbranch_execz .LBB8_929
.LBB8_279:
	global_load_ubyte v3, v[0:1], off
	v_mov_b32_e32 v4, 0x3ff00000
	s_waitcnt vmcnt(1)
	v_mov_b32_e32 v6, 0
	s_or_b64 s[0:1], s[0:1], exec
	s_waitcnt vmcnt(0)
	v_cmp_ne_u16_e32 vcc, 0, v3
	v_cndmask_b32_e32 v7, 0, v4, vcc
	s_or_b64 exec, exec, s[10:11]
	s_and_saveexec_b64 s[10:11], s[16:17]
	s_cbranch_execz .LBB8_975
	s_branch .LBB8_930
.LBB8_280:
                                        ; implicit-def: $vgpr2
                                        ; implicit-def: $vgpr0
	s_andn2_b64 vcc, exec, s[0:1]
	s_cbranch_vccz .LBB8_287
	s_branch .LBB8_289
.LBB8_281:
	s_mov_b32 s63, s62
	v_pk_mov_b32 v[0:1], s[62:63], s[62:63] op_sel:[0,1]
                                        ; implicit-def: $vgpr2
	v_mov_b32_e32 v3, v12
.LBB8_282:
	s_and_b32 s16, s70, 3
	s_cmp_eq_u32 s16, 0
	s_cbranch_scc1 .LBB8_286
; %bb.283:
	s_lshl_b32 s0, s62, 3
	s_add_u32 s0, s0, s34
	s_addc_u32 s1, s35, 0
	s_add_u32 s0, s0, 0xc4
	s_addc_u32 s1, s1, 0
	s_mul_i32 s2, s62, 12
	s_add_u32 s2, s34, s2
	s_addc_u32 s3, s35, 0
.LBB8_284:                              ; =>This Inner Loop Header: Depth=1
	s_load_dwordx2 s[18:19], s[2:3], 0x4
	s_load_dword s17, s[2:3], 0xc
	s_load_dwordx2 s[20:21], s[0:1], 0x0
	v_mov_b32_e32 v2, v1
	s_add_u32 s2, s2, 12
	s_waitcnt lgkmcnt(0)
	v_mul_hi_u32 v1, s19, v3
	v_add_u32_e32 v1, v3, v1
	v_lshrrev_b32_e32 v1, s17, v1
	s_addc_u32 s3, s3, 0
	v_mul_lo_u32 v4, v1, s18
	s_add_u32 s0, s0, 8
	s_waitcnt vmcnt(0)
	v_sub_u32_e32 v6, v3, v4
	v_mov_b32_e32 v3, v1
	s_addc_u32 s1, s1, 0
	s_add_i32 s16, s16, -1
	v_mad_u64_u32 v[4:5], s[18:19], v6, s21, v[2:3]
	v_mad_u64_u32 v[0:1], s[18:19], v6, s20, v[0:1]
	s_cmp_lg_u32 s16, 0
	v_mov_b32_e32 v1, v4
	s_cbranch_scc1 .LBB8_284
; %bb.285:
	v_mov_b32_e32 v2, v1
.LBB8_286:
	s_cbranch_execnz .LBB8_289
.LBB8_287:
	v_mul_hi_u32 v0, s37, v12
	v_add_u32_e32 v0, v12, v0
	v_lshrrev_b32_e32 v1, s38, v0
	v_mul_lo_u32 v0, v1, s36
	v_sub_u32_e32 v0, v12, v0
	v_mul_lo_u32 v2, v0, s41
	s_andn2_b64 vcc, exec, s[50:51]
	v_mul_lo_u32 v0, v0, s40
	s_cbranch_vccnz .LBB8_289
; %bb.288:
	v_mul_hi_u32 v3, s48, v1
	v_add_u32_e32 v3, v1, v3
	v_lshrrev_b32_e32 v3, s49, v3
	v_mul_lo_u32 v3, v3, s39
	v_sub_u32_e32 v3, v1, v3
	v_mad_u64_u32 v[0:1], s[0:1], v3, s42, v[0:1]
	v_mad_u64_u32 v[2:3], s[0:1], v3, s43, v[2:3]
.LBB8_289:
	v_mov_b32_e32 v1, s11
	v_add_co_u32_e32 v2, vcc, s10, v2
	v_addc_co_u32_e32 v3, vcc, 0, v1, vcc
	v_cmp_gt_i16_e32 vcc, 11, v8
	s_cbranch_vccnz .LBB8_296
; %bb.290:
	v_cmp_lt_i16_e32 vcc, 25, v8
	s_cbranch_vccz .LBB8_307
; %bb.291:
	v_cmp_lt_i16_e32 vcc, 28, v8
	s_cbranch_vccz .LBB8_309
	;; [unrolled: 3-line block ×4, first 2 shown]
; %bb.294:
	v_cmp_eq_u16_e32 vcc, 46, v8
	s_mov_b64 s[16:17], 0
	s_cbranch_vccz .LBB8_319
; %bb.295:
	global_load_dword v1, v[2:3], off
	s_mov_b64 s[0:1], -1
	s_mov_b64 s[2:3], 0
	s_waitcnt vmcnt(0)
	v_lshlrev_b32_e32 v1, 16, v1
	v_cvt_f64_f32_e32 v[6:7], v1
	s_branch .LBB8_320
.LBB8_296:
	s_mov_b64 s[0:1], 0
                                        ; implicit-def: $vgpr6_vgpr7
	s_mov_b64 s[2:3], s[58:59]
	s_cbranch_execnz .LBB8_497
.LBB8_297:
	s_andn2_b64 vcc, exec, s[0:1]
	s_cbranch_vccnz .LBB8_545
.LBB8_298:
	s_waitcnt vmcnt(0)
	v_cvt_f32_f64_e32 v1, v[6:7]
	s_mov_b32 s0, 0x7f800000
	v_cmp_nlg_f32_e64 s[16:17], |v1|, s0
	s_and_saveexec_b64 s[0:1], s[16:17]
	s_cbranch_execz .LBB8_300
; %bb.299:
	v_mov_b32_e32 v1, 0
	v_mov_b32_e32 v2, 1.0
	global_store_dword v1, v2, s[12:13]
.LBB8_300:
	s_or_b64 exec, exec, s[0:1]
	v_mov_b32_e32 v1, 0
	global_load_dword v2, v1, s[14:15]
	v_mov_b32_e32 v1, s9
	v_mov_b32_e32 v3, 11
	v_add_co_u32_e32 v4, vcc, s8, v0
	v_addc_co_u32_e32 v5, vcc, 0, v1, vcc
	v_cmp_lt_i16_sdwa s[0:1], s79, v3 src0_sel:BYTE_0 src1_sel:DWORD
	s_and_b64 vcc, exec, s[0:1]
	s_waitcnt vmcnt(0)
	v_cvt_f64_f32_e32 v[0:1], v2
	v_mul_f64 v[0:1], v[6:7], v[0:1]
	v_cmp_eq_f32_e64 s[0:1], 1.0, v2
	v_cndmask_b32_e64 v1, v1, v7, s[0:1]
	v_cndmask_b32_e64 v0, v0, v6, s[0:1]
	s_cbranch_vccnz .LBB8_308
; %bb.301:
	v_mov_b32_e32 v2, 25
	v_cmp_gt_i16_sdwa s[0:1], s79, v2 src0_sel:BYTE_0 src1_sel:DWORD
	s_and_b64 vcc, exec, s[0:1]
	s_cbranch_vccz .LBB8_310
; %bb.302:
	v_mov_b32_e32 v2, 28
	v_cmp_gt_i16_sdwa s[0:1], s79, v2 src0_sel:BYTE_0 src1_sel:DWORD
	s_and_b64 vcc, exec, s[0:1]
	s_cbranch_vccz .LBB8_312
	;; [unrolled: 5-line block ×4, first 2 shown]
; %bb.305:
	v_mov_b32_e32 v2, 46
	v_cmp_eq_u16_sdwa s[16:17], s79, v2 src0_sel:BYTE_0 src1_sel:DWORD
	s_mov_b64 s[18:19], 0
	s_mov_b64 s[0:1], -1
	s_and_b64 vcc, exec, s[16:17]
	s_mov_b64 s[16:17], 0
	s_cbranch_vccz .LBB8_324
; %bb.306:
	v_cvt_f32_f64_e32 v2, v[0:1]
	v_bfe_u32 v3, v2, 16, 1
	s_movk_i32 s0, 0x7fff
	v_add3_u32 v3, v2, v3, s0
	v_lshrrev_b32_e32 v3, 16, v3
	v_mov_b32_e32 v6, 0x7fc0
	v_cmp_o_f32_e32 vcc, v2, v2
	v_cndmask_b32_e32 v2, v6, v3, vcc
	global_store_dword v[4:5], v2, off
	s_mov_b64 s[16:17], -1
	s_mov_b64 s[0:1], 0
	s_branch .LBB8_324
.LBB8_307:
	s_mov_b64 s[16:17], -1
	s_mov_b64 s[0:1], 0
	s_mov_b64 s[2:3], s[58:59]
                                        ; implicit-def: $vgpr6_vgpr7
	s_branch .LBB8_461
.LBB8_308:
	s_mov_b64 s[18:19], -1
	s_mov_b64 s[16:17], 0
	s_mov_b64 s[0:1], s[56:57]
	s_branch .LBB8_393
.LBB8_309:
	s_mov_b64 s[16:17], -1
	s_mov_b64 s[0:1], 0
	s_mov_b64 s[2:3], s[58:59]
                                        ; implicit-def: $vgpr6_vgpr7
	s_branch .LBB8_442
.LBB8_310:
	s_mov_b64 s[18:19], -1
	s_mov_b64 s[16:17], 0
	s_mov_b64 s[0:1], s[56:57]
	s_branch .LBB8_351
.LBB8_311:
	s_mov_b64 s[16:17], -1
	s_mov_b64 s[0:1], 0
	s_mov_b64 s[2:3], s[58:59]
                                        ; implicit-def: $vgpr6_vgpr7
	s_branch .LBB8_437
.LBB8_312:
	s_mov_b64 s[18:19], -1
	s_mov_b64 s[16:17], 0
	s_mov_b64 s[0:1], s[56:57]
	s_branch .LBB8_334
.LBB8_313:
	s_or_saveexec_b64 s[20:21], s[20:21]
                                        ; implicit-def: $sgpr22
	s_xor_b64 exec, exec, s[20:21]
	s_cbranch_execz .LBB8_71
.LBB8_314:
	s_mov_b32 s22, 0x46000000
	v_add_f32_e64 v3, |v2|, s22
	v_and_b32_e32 v3, 0xff, v3
	v_cmp_ne_u32_e32 vcc, 0, v3
	s_andn2_b64 s[18:19], s[18:19], exec
	s_and_b64 s[24:25], vcc, exec
	s_mov_b32 s22, 0
	s_or_b64 s[18:19], s[18:19], s[24:25]
	s_or_b64 exec, exec, s[20:21]
	v_mov_b32_e32 v6, s22
	s_and_saveexec_b64 s[20:21], s[18:19]
	s_cbranch_execnz .LBB8_72
	s_branch .LBB8_73
.LBB8_315:
	s_mov_b64 s[16:17], -1
	s_mov_b64 s[0:1], 0
	s_mov_b64 s[2:3], s[58:59]
                                        ; implicit-def: $vgpr6_vgpr7
	s_branch .LBB8_320
.LBB8_316:
	s_mov_b64 s[18:19], -1
	s_mov_b64 s[16:17], 0
	s_mov_b64 s[0:1], s[56:57]
	s_branch .LBB8_330
.LBB8_317:
	s_or_saveexec_b64 s[20:21], s[20:21]
                                        ; implicit-def: $sgpr22
	s_xor_b64 exec, exec, s[20:21]
	s_cbranch_execz .LBB8_84
.LBB8_318:
	s_mov_b32 s22, 0x42800000
	v_add_f32_e64 v3, |v2|, s22
	v_and_b32_e32 v3, 0xff, v3
	v_cmp_ne_u32_e32 vcc, 0, v3
	s_andn2_b64 s[18:19], s[18:19], exec
	s_and_b64 s[24:25], vcc, exec
	s_mov_b32 s22, 0
	s_or_b64 s[18:19], s[18:19], s[24:25]
	s_or_b64 exec, exec, s[20:21]
	v_mov_b32_e32 v6, s22
	s_and_saveexec_b64 s[20:21], s[18:19]
	s_cbranch_execnz .LBB8_85
	s_branch .LBB8_86
.LBB8_319:
	s_mov_b64 s[2:3], -1
                                        ; implicit-def: $vgpr6_vgpr7
	s_mov_b64 s[0:1], 0
.LBB8_320:
	s_and_b64 vcc, exec, s[16:17]
	s_cbranch_vccz .LBB8_436
; %bb.321:
	v_cmp_eq_u16_e32 vcc, 44, v8
	s_cbranch_vccz .LBB8_435
; %bb.322:
	global_load_ubyte v1, v[2:3], off
	s_movk_i32 s2, 0xff
	s_waitcnt vmcnt(1)
	v_bfrev_b32_e32 v6, 4
	v_mov_b32_e32 v7, 0x7ff80000
	v_bfrev_b32_e32 v9, 28
	s_mov_b64 s[0:1], -1
	s_waitcnt vmcnt(0)
	v_lshlrev_b32_e32 v4, 23, v1
	v_cvt_f64_f32_e32 v[4:5], v4
	v_cmp_ne_u32_e32 vcc, s2, v1
	v_cndmask_b32_e32 v4, v6, v4, vcc
	v_cndmask_b32_e32 v5, v7, v5, vcc
	v_cmp_ne_u32_e32 vcc, 0, v1
	v_cndmask_b32_e32 v7, v9, v5, vcc
	v_cndmask_b32_e32 v6, 0, v4, vcc
	s_mov_b64 s[2:3], 0
	s_branch .LBB8_436
.LBB8_323:
	s_mov_b64 s[18:19], -1
	s_mov_b64 s[16:17], 0
	s_mov_b64 s[0:1], s[56:57]
.LBB8_324:
	s_and_b64 vcc, exec, s[18:19]
	s_cbranch_vccz .LBB8_329
; %bb.325:
	v_mov_b32_e32 v2, 44
	v_cmp_eq_u16_sdwa s[18:19], s79, v2 src0_sel:BYTE_0 src1_sel:DWORD
	s_mov_b64 s[0:1], -1
	s_and_b64 vcc, exec, s[18:19]
	s_cbranch_vccz .LBB8_329
; %bb.326:
	v_cvt_f32_f64_e32 v2, v[0:1]
	v_bfe_u32 v3, v2, 23, 8
	s_movk_i32 s0, 0xff
	v_cmp_ne_u32_e32 vcc, s0, v3
	v_mov_b32_e32 v6, 0xff
	s_and_saveexec_b64 s[16:17], vcc
; %bb.327:
	s_mov_b32 s0, 0x3fffff
	v_lshrrev_b32_e32 v6, 23, v2
	v_and_b32_e32 v7, 0x400000, v2
	v_and_or_b32 v2, v2, s0, v3
	v_cmp_ne_u32_e32 vcc, 0, v7
	v_cmp_ne_u32_e64 s[0:1], 0, v2
	s_and_b64 s[0:1], vcc, s[0:1]
	v_cndmask_b32_e64 v2, 0, 1, s[0:1]
	v_add_u32_e32 v6, v6, v2
; %bb.328:
	s_or_b64 exec, exec, s[16:17]
	s_mov_b64 s[16:17], -1
	s_mov_b64 s[0:1], 0
	global_store_byte v[4:5], v6, off
.LBB8_329:
	s_mov_b64 s[18:19], 0
.LBB8_330:
	s_and_b64 vcc, exec, s[18:19]
	s_cbranch_vccz .LBB8_333
; %bb.331:
	v_mov_b32_e32 v2, 29
	v_cmp_eq_u16_sdwa s[18:19], s79, v2 src0_sel:BYTE_0 src1_sel:DWORD
	s_mov_b64 s[0:1], -1
	s_and_b64 vcc, exec, s[18:19]
	s_cbranch_vccz .LBB8_333
; %bb.332:
	v_trunc_f64_e32 v[2:3], v[0:1]
	s_movk_i32 s0, 0xffe0
	v_ldexp_f64 v[6:7], v[2:3], s0
	v_floor_f64_e32 v[6:7], v[6:7]
	v_fmac_f64_e32 v[2:3], 0xc1f00000, v[6:7]
	v_cvt_u32_f64_e32 v11, v[6:7]
	v_cvt_u32_f64_e32 v10, v[2:3]
	global_store_dwordx2 v[4:5], v[10:11], off
	s_mov_b64 s[16:17], -1
	s_mov_b64 s[0:1], 0
.LBB8_333:
	s_mov_b64 s[18:19], 0
.LBB8_334:
	s_and_b64 vcc, exec, s[18:19]
	s_cbranch_vccz .LBB8_350
; %bb.335:
	v_mov_b32_e32 v2, 27
	v_cmp_lt_i16_sdwa s[18:19], s79, v2 src0_sel:BYTE_0 src1_sel:DWORD
	s_mov_b64 s[16:17], -1
	s_and_b64 vcc, exec, s[18:19]
	s_cbranch_vccnz .LBB8_341
; %bb.336:
	v_cmp_gt_i16_sdwa s[18:19], s79, v2 src0_sel:BYTE_0 src1_sel:DWORD
	s_and_b64 vcc, exec, s[18:19]
	v_cvt_u32_f64_e32 v2, v[0:1]
	s_cbranch_vccz .LBB8_338
; %bb.337:
	s_mov_b64 s[16:17], 0
	global_store_dword v[4:5], v2, off
.LBB8_338:
	s_andn2_b64 vcc, exec, s[16:17]
	s_cbranch_vccnz .LBB8_340
; %bb.339:
	global_store_short v[4:5], v2, off
.LBB8_340:
	s_mov_b64 s[16:17], 0
.LBB8_341:
	s_andn2_b64 vcc, exec, s[16:17]
	s_cbranch_vccnz .LBB8_349
; %bb.342:
	v_cvt_f32_f64_e32 v2, v[0:1]
	v_and_b32_e32 v3, 0x7fffffff, v2
	s_mov_b32 s16, 0x43800000
	v_cmp_gt_u32_e32 vcc, s16, v3
	v_mov_b32_e32 v6, 0x80
	s_and_saveexec_b64 s[16:17], vcc
	s_cbranch_execz .LBB8_348
; %bb.343:
	s_mov_b32 s18, 0x3bffffff
	v_cmp_lt_u32_e32 vcc, s18, v3
	s_mov_b64 s[18:19], 0
                                        ; implicit-def: $vgpr3
	s_and_saveexec_b64 s[20:21], vcc
	s_xor_b64 s[20:21], exec, s[20:21]
	s_cbranch_execz .LBB8_577
; %bb.344:
	v_bfe_u32 v3, v2, 20, 1
	s_mov_b32 s22, 0x487ffff
	v_add3_u32 v3, v2, v3, s22
	s_mov_b64 s[18:19], exec
	v_lshrrev_b32_e32 v3, 20, v3
	s_or_saveexec_b64 s[20:21], s[20:21]
                                        ; implicit-def: $sgpr22
	s_xor_b64 exec, exec, s[20:21]
	s_cbranch_execnz .LBB8_578
.LBB8_345:
	s_or_b64 exec, exec, s[20:21]
	v_mov_b32_e32 v6, s22
	s_and_saveexec_b64 s[20:21], s[18:19]
.LBB8_346:
	v_lshrrev_b32_e32 v2, 24, v2
	s_movk_i32 s18, 0x80
	v_and_or_b32 v6, v2, s18, v3
.LBB8_347:
	s_or_b64 exec, exec, s[20:21]
.LBB8_348:
	s_or_b64 exec, exec, s[16:17]
	global_store_byte v[4:5], v6, off
.LBB8_349:
	s_mov_b64 s[16:17], -1
.LBB8_350:
	s_mov_b64 s[18:19], 0
.LBB8_351:
	s_and_b64 vcc, exec, s[18:19]
	s_cbranch_vccz .LBB8_392
; %bb.352:
	v_mov_b32_e32 v2, 22
	v_cmp_gt_i16_sdwa s[20:21], s79, v2 src0_sel:BYTE_0 src1_sel:DWORD
	s_mov_b64 s[18:19], -1
	s_and_b64 vcc, exec, s[20:21]
	s_cbranch_vccz .LBB8_384
; %bb.353:
	v_mov_b32_e32 v2, 24
	v_cmp_lt_i16_sdwa s[18:19], s79, v2 src0_sel:BYTE_0 src1_sel:DWORD
	s_mov_b64 s[16:17], -1
	s_and_b64 vcc, exec, s[18:19]
	s_cbranch_vccnz .LBB8_373
; %bb.354:
	v_cmp_gt_i16_sdwa s[18:19], s79, v2 src0_sel:BYTE_0 src1_sel:DWORD
	s_and_b64 vcc, exec, s[18:19]
	s_cbranch_vccz .LBB8_362
; %bb.355:
	v_cvt_f32_f64_e32 v2, v[0:1]
	v_and_b32_e32 v3, 0x7fffffff, v2
	s_mov_b32 s16, 0x47800000
	v_cmp_gt_u32_e32 vcc, s16, v3
	v_mov_b32_e32 v6, 0x80
	s_and_saveexec_b64 s[16:17], vcc
	s_cbranch_execz .LBB8_361
; %bb.356:
	s_mov_b32 s18, 0x37ffffff
	v_cmp_lt_u32_e32 vcc, s18, v3
	s_mov_b64 s[18:19], 0
                                        ; implicit-def: $vgpr3
	s_and_saveexec_b64 s[20:21], vcc
	s_xor_b64 s[20:21], exec, s[20:21]
	s_cbranch_execz .LBB8_580
; %bb.357:
	v_bfe_u32 v3, v2, 21, 1
	s_mov_b32 s22, 0x88fffff
	v_add3_u32 v3, v2, v3, s22
	s_mov_b64 s[18:19], exec
	v_lshrrev_b32_e32 v3, 21, v3
	s_or_saveexec_b64 s[20:21], s[20:21]
                                        ; implicit-def: $sgpr22
	s_xor_b64 exec, exec, s[20:21]
	s_cbranch_execnz .LBB8_581
.LBB8_358:
	s_or_b64 exec, exec, s[20:21]
	v_mov_b32_e32 v6, s22
	s_and_saveexec_b64 s[20:21], s[18:19]
.LBB8_359:
	v_lshrrev_b32_e32 v2, 24, v2
	s_movk_i32 s18, 0x80
	v_and_or_b32 v6, v2, s18, v3
.LBB8_360:
	s_or_b64 exec, exec, s[20:21]
.LBB8_361:
	s_or_b64 exec, exec, s[16:17]
	s_mov_b64 s[16:17], 0
	global_store_byte v[4:5], v6, off
.LBB8_362:
	s_and_b64 vcc, exec, s[16:17]
	s_cbranch_vccz .LBB8_372
; %bb.363:
	v_cvt_f32_f64_e32 v2, v[0:1]
	v_and_b32_e32 v6, 0x7fffffff, v2
	s_mov_b32 s16, 0x43f00000
	v_cmp_gt_u32_e32 vcc, s16, v6
                                        ; implicit-def: $vgpr3
	s_and_saveexec_b64 s[16:17], vcc
	s_xor_b64 s[16:17], exec, s[16:17]
	s_cbranch_execz .LBB8_369
; %bb.364:
	s_mov_b32 s18, 0x3c7fffff
	v_cmp_lt_u32_e32 vcc, s18, v6
                                        ; implicit-def: $vgpr3
	s_and_saveexec_b64 s[18:19], vcc
	s_xor_b64 s[18:19], exec, s[18:19]
; %bb.365:
	v_bfe_u32 v3, v2, 20, 1
	s_mov_b32 s20, 0x407ffff
	v_add3_u32 v3, v2, v3, s20
	v_lshrrev_b32_e32 v6, 20, v3
	v_and_b32_e32 v3, 0xff00000, v3
	s_mov_b32 s20, 0x7f00000
	v_mov_b32_e32 v7, 0x7e
	v_cmp_ne_u32_e32 vcc, s20, v3
	v_cndmask_b32_e32 v3, v7, v6, vcc
; %bb.366:
	s_andn2_saveexec_b64 s[18:19], s[18:19]
; %bb.367:
	s_mov_b32 s20, 0x46800000
	v_add_f32_e64 v3, |v2|, s20
; %bb.368:
	s_or_b64 exec, exec, s[18:19]
                                        ; implicit-def: $vgpr6
.LBB8_369:
	s_andn2_saveexec_b64 s[16:17], s[16:17]
; %bb.370:
	s_mov_b32 s18, 0x7f800000
	v_mov_b32_e32 v3, 0x7e
	v_mov_b32_e32 v7, 0x7f
	v_cmp_lt_u32_e32 vcc, s18, v6
	v_cndmask_b32_e32 v3, v3, v7, vcc
; %bb.371:
	s_or_b64 exec, exec, s[16:17]
	v_lshrrev_b32_e32 v2, 24, v2
	s_movk_i32 s16, 0x80
	v_and_or_b32 v2, v2, s16, v3
	global_store_byte v[4:5], v2, off
.LBB8_372:
	s_mov_b64 s[16:17], 0
.LBB8_373:
	s_andn2_b64 vcc, exec, s[16:17]
	s_cbranch_vccnz .LBB8_383
; %bb.374:
	v_cvt_f32_f64_e32 v2, v[0:1]
	v_and_b32_e32 v6, 0x7fffffff, v2
	s_mov_b32 s16, 0x47800000
	v_cmp_gt_u32_e32 vcc, s16, v6
                                        ; implicit-def: $vgpr3
	s_and_saveexec_b64 s[16:17], vcc
	s_xor_b64 s[16:17], exec, s[16:17]
	s_cbranch_execz .LBB8_380
; %bb.375:
	s_mov_b32 s18, 0x387fffff
	v_cmp_lt_u32_e32 vcc, s18, v6
                                        ; implicit-def: $vgpr3
	s_and_saveexec_b64 s[18:19], vcc
	s_xor_b64 s[18:19], exec, s[18:19]
; %bb.376:
	v_bfe_u32 v3, v2, 21, 1
	s_mov_b32 s20, 0x80fffff
	v_add3_u32 v3, v2, v3, s20
	v_lshrrev_b32_e32 v3, 21, v3
; %bb.377:
	s_andn2_saveexec_b64 s[18:19], s[18:19]
; %bb.378:
	s_mov_b32 s20, 0x43000000
	v_add_f32_e64 v3, |v2|, s20
; %bb.379:
	s_or_b64 exec, exec, s[18:19]
                                        ; implicit-def: $vgpr6
.LBB8_380:
	s_andn2_saveexec_b64 s[16:17], s[16:17]
; %bb.381:
	s_mov_b32 s18, 0x7f800000
	v_mov_b32_e32 v3, 0x7c
	v_mov_b32_e32 v7, 0x7f
	v_cmp_lt_u32_e32 vcc, s18, v6
	v_cndmask_b32_e32 v3, v3, v7, vcc
; %bb.382:
	s_or_b64 exec, exec, s[16:17]
	v_lshrrev_b32_e32 v2, 24, v2
	s_movk_i32 s16, 0x80
	v_and_or_b32 v2, v2, s16, v3
	global_store_byte v[4:5], v2, off
.LBB8_383:
	s_mov_b64 s[18:19], 0
	s_mov_b64 s[16:17], -1
.LBB8_384:
	s_andn2_b64 vcc, exec, s[18:19]
	s_cbranch_vccnz .LBB8_392
; %bb.385:
	v_mov_b32_e32 v2, 14
	v_cmp_gt_i16_sdwa s[20:21], s79, v2 src0_sel:BYTE_0 src1_sel:DWORD
	s_mov_b64 s[18:19], -1
	s_and_b64 vcc, exec, s[20:21]
	s_cbranch_vccz .LBB8_389
; %bb.386:
	v_mov_b32_e32 v2, 15
	v_cmp_eq_u16_sdwa s[18:19], s79, v2 src0_sel:BYTE_0 src1_sel:DWORD
	s_mov_b64 s[0:1], -1
	s_and_b64 vcc, exec, s[18:19]
	s_cbranch_vccz .LBB8_388
; %bb.387:
	v_cvt_f32_f64_e32 v2, v[0:1]
	v_bfe_u32 v3, v2, 16, 1
	s_movk_i32 s0, 0x7fff
	v_add3_u32 v3, v2, v3, s0
	v_lshrrev_b32_e32 v3, 16, v3
	v_mov_b32_e32 v6, 0x7fc0
	v_cmp_o_f32_e32 vcc, v2, v2
	v_cndmask_b32_e32 v2, v6, v3, vcc
	global_store_short v[4:5], v2, off
	s_mov_b64 s[16:17], -1
	s_mov_b64 s[0:1], 0
.LBB8_388:
	s_mov_b64 s[18:19], 0
.LBB8_389:
	s_and_b64 vcc, exec, s[18:19]
	s_cbranch_vccz .LBB8_392
; %bb.390:
	v_mov_b32_e32 v2, 11
	v_cmp_eq_u16_sdwa s[18:19], s79, v2 src0_sel:BYTE_0 src1_sel:DWORD
	s_mov_b64 s[0:1], -1
	s_and_b64 vcc, exec, s[18:19]
	s_cbranch_vccz .LBB8_392
; %bb.391:
	v_cmp_neq_f64_e32 vcc, 0, v[0:1]
	s_mov_b64 s[0:1], 0
	v_cndmask_b32_e64 v2, 0, 1, vcc
	s_mov_b64 s[16:17], -1
	global_store_byte v[4:5], v2, off
.LBB8_392:
	s_mov_b64 s[18:19], 0
.LBB8_393:
	s_and_b64 vcc, exec, s[18:19]
	s_cbranch_vccz .LBB8_432
; %bb.394:
	v_mov_b32_e32 v2, 5
	v_cmp_lt_i16_sdwa s[18:19], s79, v2 src0_sel:BYTE_0 src1_sel:DWORD
	s_mov_b64 s[16:17], -1
	s_and_b64 vcc, exec, s[18:19]
	s_cbranch_vccnz .LBB8_415
; %bb.395:
	v_mov_b32_e32 v2, 8
	v_cmp_lt_i16_sdwa s[18:19], s79, v2 src0_sel:BYTE_0 src1_sel:DWORD
	s_and_b64 vcc, exec, s[18:19]
	s_cbranch_vccnz .LBB8_405
; %bb.396:
	v_mov_b32_e32 v2, 9
	v_cmp_lt_i16_sdwa s[18:19], s79, v2 src0_sel:BYTE_0 src1_sel:DWORD
	s_and_b64 vcc, exec, s[18:19]
	s_cbranch_vccnz .LBB8_402
; %bb.397:
	v_cmp_gt_i16_sdwa s[18:19], s79, v2 src0_sel:BYTE_0 src1_sel:DWORD
	s_and_b64 vcc, exec, s[18:19]
	s_cbranch_vccz .LBB8_399
; %bb.398:
	v_mov_b32_e32 v2, 0
	v_mov_b32_e32 v3, v2
	s_mov_b64 s[16:17], 0
	global_store_dwordx4 v[4:5], v[0:3], off
.LBB8_399:
	s_andn2_b64 vcc, exec, s[16:17]
	s_cbranch_vccnz .LBB8_401
; %bb.400:
	v_cvt_f32_f64_e32 v2, v[0:1]
	v_mov_b32_e32 v3, 0
	global_store_dwordx2 v[4:5], v[2:3], off
.LBB8_401:
	s_mov_b64 s[16:17], 0
.LBB8_402:
	s_andn2_b64 vcc, exec, s[16:17]
	s_cbranch_vccnz .LBB8_404
; %bb.403:
	v_cvt_f32_f64_e32 v2, v[0:1]
	v_cvt_f16_f32_e32 v2, v2
	global_store_dword v[4:5], v2, off
.LBB8_404:
	s_mov_b64 s[16:17], 0
.LBB8_405:
	s_andn2_b64 vcc, exec, s[16:17]
	s_cbranch_vccnz .LBB8_414
; %bb.406:
	v_mov_b32_e32 v2, 6
	v_cmp_lt_i16_sdwa s[18:19], s79, v2 src0_sel:BYTE_0 src1_sel:DWORD
	s_mov_b64 s[16:17], -1
	s_and_b64 vcc, exec, s[18:19]
	s_cbranch_vccnz .LBB8_412
; %bb.407:
	v_cmp_gt_i16_sdwa s[18:19], s79, v2 src0_sel:BYTE_0 src1_sel:DWORD
	s_and_b64 vcc, exec, s[18:19]
	s_cbranch_vccz .LBB8_409
; %bb.408:
	s_mov_b64 s[16:17], 0
	global_store_dwordx2 v[4:5], v[0:1], off
.LBB8_409:
	s_andn2_b64 vcc, exec, s[16:17]
	s_cbranch_vccnz .LBB8_411
; %bb.410:
	v_cvt_f32_f64_e32 v2, v[0:1]
	global_store_dword v[4:5], v2, off
.LBB8_411:
	s_mov_b64 s[16:17], 0
.LBB8_412:
	s_andn2_b64 vcc, exec, s[16:17]
	s_cbranch_vccnz .LBB8_414
; %bb.413:
	v_cvt_f32_f64_e32 v2, v[0:1]
	v_cvt_f16_f32_e32 v2, v2
	global_store_short v[4:5], v2, off
.LBB8_414:
	s_mov_b64 s[16:17], 0
.LBB8_415:
	s_andn2_b64 vcc, exec, s[16:17]
	s_cbranch_vccnz .LBB8_431
; %bb.416:
	v_mov_b32_e32 v2, 2
	v_cmp_lt_i16_sdwa s[18:19], s79, v2 src0_sel:BYTE_0 src1_sel:DWORD
	s_mov_b64 s[16:17], -1
	s_and_b64 vcc, exec, s[18:19]
	s_cbranch_vccnz .LBB8_426
; %bb.417:
	v_mov_b32_e32 v2, 3
	v_cmp_lt_i16_sdwa s[18:19], s79, v2 src0_sel:BYTE_0 src1_sel:DWORD
	s_and_b64 vcc, exec, s[18:19]
	s_cbranch_vccnz .LBB8_423
; %bb.418:
	v_cmp_gt_i16_sdwa s[18:19], s79, v2 src0_sel:BYTE_0 src1_sel:DWORD
	s_and_b64 vcc, exec, s[18:19]
	s_cbranch_vccz .LBB8_420
; %bb.419:
	v_trunc_f64_e32 v[2:3], v[0:1]
	s_movk_i32 s16, 0xffe0
	v_ldexp_f64 v[6:7], v[2:3], s16
	v_floor_f64_e32 v[6:7], v[6:7]
	v_fmac_f64_e32 v[2:3], 0xc1f00000, v[6:7]
	v_cvt_i32_f64_e32 v11, v[6:7]
	v_cvt_u32_f64_e32 v10, v[2:3]
	s_mov_b64 s[16:17], 0
	global_store_dwordx2 v[4:5], v[10:11], off
.LBB8_420:
	s_andn2_b64 vcc, exec, s[16:17]
	s_cbranch_vccnz .LBB8_422
; %bb.421:
	v_cvt_i32_f64_e32 v2, v[0:1]
	global_store_dword v[4:5], v2, off
.LBB8_422:
	s_mov_b64 s[16:17], 0
.LBB8_423:
	s_andn2_b64 vcc, exec, s[16:17]
	s_cbranch_vccnz .LBB8_425
; %bb.424:
	v_cvt_i32_f64_e32 v2, v[0:1]
	global_store_short v[4:5], v2, off
.LBB8_425:
	s_mov_b64 s[16:17], 0
.LBB8_426:
	s_andn2_b64 vcc, exec, s[16:17]
	s_cbranch_vccnz .LBB8_431
; %bb.427:
	v_mov_b32_e32 v2, 0
	v_cmp_gt_i16_sdwa s[18:19], s79, v2 src0_sel:BYTE_0 src1_sel:DWORD
	s_mov_b64 s[16:17], -1
	s_and_b64 vcc, exec, s[18:19]
	s_cbranch_vccz .LBB8_429
; %bb.428:
	v_cvt_i32_f64_e32 v2, v[0:1]
	s_mov_b64 s[16:17], 0
	global_store_byte v[4:5], v2, off
.LBB8_429:
	s_andn2_b64 vcc, exec, s[16:17]
	s_cbranch_vccnz .LBB8_431
; %bb.430:
	v_trunc_f64_e32 v[0:1], v[0:1]
	s_movk_i32 s16, 0xffe0
	v_ldexp_f64 v[2:3], v[0:1], s16
	v_floor_f64_e32 v[2:3], v[2:3]
	v_fmac_f64_e32 v[0:1], 0xc1f00000, v[2:3]
	v_cvt_u32_f64_e32 v0, v[0:1]
	global_store_byte v[4:5], v0, off
.LBB8_431:
	s_mov_b64 s[16:17], -1
.LBB8_432:
	s_andn2_b64 vcc, exec, s[16:17]
	s_cbranch_vccnz .LBB8_434
; %bb.433:
	v_add_u32_e32 v12, 0x80, v12
	s_mov_b64 s[16:17], -1
	s_branch .LBB8_547
.LBB8_434:
	s_mov_b64 s[16:17], 0
	s_branch .LBB8_546
.LBB8_435:
	s_mov_b64 s[2:3], -1
                                        ; implicit-def: $vgpr6_vgpr7
.LBB8_436:
	s_mov_b64 s[16:17], 0
.LBB8_437:
	s_and_b64 vcc, exec, s[16:17]
	s_cbranch_vccz .LBB8_441
; %bb.438:
	v_cmp_eq_u16_e32 vcc, 29, v8
	s_cbranch_vccz .LBB8_440
; %bb.439:
	global_load_dwordx2 v[4:5], v[2:3], off
	s_mov_b64 s[0:1], -1
	s_mov_b64 s[2:3], 0
	s_mov_b64 s[16:17], 0
	s_waitcnt vmcnt(0)
	v_cvt_f64_u32_e32 v[6:7], v5
	v_cvt_f64_u32_e32 v[4:5], v4
	v_ldexp_f64 v[6:7], v[6:7], 32
	v_add_f64 v[6:7], v[6:7], v[4:5]
	s_branch .LBB8_442
.LBB8_440:
	s_mov_b64 s[2:3], -1
                                        ; implicit-def: $vgpr6_vgpr7
.LBB8_441:
	s_mov_b64 s[16:17], 0
.LBB8_442:
	s_and_b64 vcc, exec, s[16:17]
	s_cbranch_vccz .LBB8_460
; %bb.443:
	v_cmp_gt_i16_e32 vcc, 27, v8
	s_cbranch_vccnz .LBB8_446
; %bb.444:
	v_cmp_lt_i16_e32 vcc, 27, v8
	s_cbranch_vccz .LBB8_447
; %bb.445:
	global_load_dword v1, v[2:3], off
	s_mov_b64 s[0:1], 0
	s_waitcnt vmcnt(0)
	v_cvt_f64_u32_e32 v[6:7], v1
	s_branch .LBB8_448
.LBB8_446:
	s_mov_b64 s[0:1], -1
                                        ; implicit-def: $vgpr6_vgpr7
	s_branch .LBB8_451
.LBB8_447:
	s_mov_b64 s[0:1], -1
                                        ; implicit-def: $vgpr6_vgpr7
.LBB8_448:
	s_andn2_b64 vcc, exec, s[0:1]
	s_cbranch_vccnz .LBB8_450
; %bb.449:
	global_load_ushort v1, v[2:3], off
	s_waitcnt vmcnt(0)
	v_cvt_f64_u32_e32 v[6:7], v1
.LBB8_450:
	s_mov_b64 s[0:1], 0
.LBB8_451:
	s_andn2_b64 vcc, exec, s[0:1]
	s_cbranch_vccnz .LBB8_459
; %bb.452:
	global_load_ubyte v1, v[2:3], off
	s_movk_i32 s0, 0x7f
                                        ; implicit-def: $sgpr16_sgpr17
	s_waitcnt vmcnt(0)
	v_cmp_lt_i16_e32 vcc, s0, v1
	s_mov_b64 s[0:1], 0
	s_and_saveexec_b64 s[18:19], vcc
	s_xor_b64 s[18:19], exec, s[18:19]
	s_cbranch_execz .LBB8_473
; %bb.453:
	s_movk_i32 s0, 0x80
	v_cmp_eq_u16_e32 vcc, s0, v1
	s_mov_b64 s[20:21], -1
                                        ; implicit-def: $sgpr16_sgpr17
	s_and_saveexec_b64 s[0:1], vcc
; %bb.454:
	s_mov_b32 s17, 0x7ff80000
	s_brev_b32 s16, 4
	s_xor_b64 s[20:21], exec, -1
; %bb.455:
	s_or_b64 exec, exec, s[0:1]
	s_and_b64 s[0:1], s[20:21], exec
	s_or_saveexec_b64 s[18:19], s[18:19]
	v_pk_mov_b32 v[6:7], s[16:17], s[16:17] op_sel:[0,1]
	s_xor_b64 exec, exec, s[18:19]
	s_cbranch_execnz .LBB8_474
.LBB8_456:
	s_or_b64 exec, exec, s[18:19]
	s_and_saveexec_b64 s[16:17], s[0:1]
	s_cbranch_execz .LBB8_458
.LBB8_457:
	v_lshlrev_b32_e32 v4, 24, v1
	v_and_b32_e32 v1, 0xffff, v1
	v_and_b32_e32 v5, 7, v1
	v_ffbh_u32_e32 v7, v5
	v_min_u32_e32 v7, 32, v7
	v_subrev_u32_e32 v9, 28, v7
	v_bfe_u32 v6, v1, 3, 4
	v_lshlrev_b32_e32 v1, v9, v1
	v_sub_u32_e32 v7, 29, v7
	v_and_b32_e32 v1, 7, v1
	v_cmp_eq_u32_e32 vcc, 0, v6
	v_cndmask_b32_e32 v6, v6, v7, vcc
	v_cndmask_b32_e32 v1, v5, v1, vcc
	v_mov_b32_e32 v5, 0x3b800000
	v_lshlrev_b32_e32 v1, 20, v1
	v_and_b32_e32 v4, 0x80000000, v4
	v_lshl_add_u32 v5, v6, 23, v5
	v_or3_b32 v1, v4, v5, v1
	v_cvt_f64_f32_e32 v[6:7], v1
.LBB8_458:
	s_or_b64 exec, exec, s[16:17]
.LBB8_459:
	s_mov_b64 s[0:1], -1
.LBB8_460:
	s_mov_b64 s[16:17], 0
.LBB8_461:
	s_and_b64 vcc, exec, s[16:17]
	s_cbranch_vccz .LBB8_496
; %bb.462:
	v_cmp_lt_i16_e32 vcc, 22, v8
	s_cbranch_vccz .LBB8_472
; %bb.463:
	v_cmp_gt_i16_e32 vcc, 24, v8
	s_cbranch_vccnz .LBB8_475
; %bb.464:
	v_cmp_lt_i16_e32 vcc, 24, v8
	s_cbranch_vccz .LBB8_476
; %bb.465:
	global_load_ubyte v1, v[2:3], off
	s_movk_i32 s0, 0x7f
                                        ; implicit-def: $sgpr16_sgpr17
	s_waitcnt vmcnt(0)
	v_cmp_lt_i16_e32 vcc, s0, v1
	s_mov_b64 s[0:1], 0
	s_and_saveexec_b64 s[18:19], vcc
	s_xor_b64 s[18:19], exec, s[18:19]
	s_cbranch_execz .LBB8_488
; %bb.466:
	s_movk_i32 s0, 0x80
	v_cmp_eq_u16_e32 vcc, s0, v1
	s_mov_b64 s[20:21], -1
                                        ; implicit-def: $sgpr16_sgpr17
	s_and_saveexec_b64 s[0:1], vcc
; %bb.467:
	s_mov_b32 s17, 0x7ff80000
	s_brev_b32 s16, 4
	s_xor_b64 s[20:21], exec, -1
; %bb.468:
	s_or_b64 exec, exec, s[0:1]
	s_and_b64 s[0:1], s[20:21], exec
	s_or_saveexec_b64 s[18:19], s[18:19]
	v_pk_mov_b32 v[6:7], s[16:17], s[16:17] op_sel:[0,1]
	s_xor_b64 exec, exec, s[18:19]
	s_cbranch_execnz .LBB8_489
.LBB8_469:
	s_or_b64 exec, exec, s[18:19]
	s_and_saveexec_b64 s[16:17], s[0:1]
	s_cbranch_execz .LBB8_471
.LBB8_470:
	v_lshlrev_b32_e32 v4, 24, v1
	v_and_b32_e32 v1, 0xffff, v1
	v_and_b32_e32 v5, 3, v1
	v_ffbh_u32_e32 v7, v5
	v_min_u32_e32 v7, 32, v7
	v_subrev_u32_e32 v9, 29, v7
	v_bfe_u32 v6, v1, 2, 5
	v_lshlrev_b32_e32 v1, v9, v1
	v_sub_u32_e32 v7, 30, v7
	v_and_b32_e32 v1, 3, v1
	v_cmp_eq_u32_e32 vcc, 0, v6
	v_cndmask_b32_e32 v6, v6, v7, vcc
	v_cndmask_b32_e32 v1, v5, v1, vcc
	v_mov_b32_e32 v5, 0x37800000
	v_lshlrev_b32_e32 v1, 21, v1
	v_and_b32_e32 v4, 0x80000000, v4
	v_lshl_add_u32 v5, v6, 23, v5
	v_or3_b32 v1, v4, v5, v1
	v_cvt_f64_f32_e32 v[6:7], v1
.LBB8_471:
	s_or_b64 exec, exec, s[16:17]
	s_mov_b64 s[0:1], 0
	s_branch .LBB8_477
.LBB8_472:
	s_mov_b64 s[16:17], -1
                                        ; implicit-def: $vgpr6_vgpr7
	s_branch .LBB8_483
.LBB8_473:
	s_or_saveexec_b64 s[18:19], s[18:19]
	v_pk_mov_b32 v[6:7], s[16:17], s[16:17] op_sel:[0,1]
	s_xor_b64 exec, exec, s[18:19]
	s_cbranch_execz .LBB8_456
.LBB8_474:
	v_cmp_ne_u16_e32 vcc, 0, v1
	s_andn2_b64 s[0:1], s[0:1], exec
	s_and_b64 s[16:17], vcc, exec
	v_pk_mov_b32 v[6:7], 0, 0
	s_or_b64 s[0:1], s[0:1], s[16:17]
	s_or_b64 exec, exec, s[18:19]
	s_and_saveexec_b64 s[16:17], s[0:1]
	s_cbranch_execnz .LBB8_457
	s_branch .LBB8_458
.LBB8_475:
	s_mov_b64 s[0:1], -1
                                        ; implicit-def: $vgpr6_vgpr7
	s_branch .LBB8_480
.LBB8_476:
	s_mov_b64 s[0:1], -1
                                        ; implicit-def: $vgpr6_vgpr7
.LBB8_477:
	s_and_b64 vcc, exec, s[0:1]
	s_cbranch_vccz .LBB8_479
; %bb.478:
	global_load_ubyte v1, v[2:3], off
	s_mov_b32 s0, 0x7f800000
	s_waitcnt vmcnt(0)
	v_lshlrev_b32_e32 v1, 24, v1
	v_and_b32_e32 v4, 0x7f000000, v1
	v_ffbh_u32_e32 v5, v4
	v_min_u32_e32 v5, 32, v5
	v_sub_u32_e64 v5, v5, 4 clamp
	v_lshlrev_b32_e32 v7, v5, v4
	v_lshlrev_b32_e32 v5, 23, v5
	v_lshrrev_b32_e32 v7, 4, v7
	v_add_u32_e32 v6, 0x1000000, v4
	v_sub_u32_e32 v5, v7, v5
	v_ashrrev_i32_e32 v6, 8, v6
	v_add_u32_e32 v5, 0x3c000000, v5
	v_and_or_b32 v5, v6, s0, v5
	v_cmp_ne_u32_e32 vcc, 0, v4
	v_cndmask_b32_e32 v4, 0, v5, vcc
	s_brev_b32 s0, 1
	v_and_or_b32 v1, v1, s0, v4
	v_cvt_f64_f32_e32 v[6:7], v1
.LBB8_479:
	s_mov_b64 s[0:1], 0
.LBB8_480:
	s_andn2_b64 vcc, exec, s[0:1]
	s_cbranch_vccnz .LBB8_482
; %bb.481:
	global_load_ubyte v1, v[2:3], off
	s_movk_i32 s0, 0x7f00
	s_brev_b32 s1, 16
	s_waitcnt vmcnt(0)
	v_lshlrev_b16_e32 v4, 8, v1
	v_lshlrev_b32_e32 v1, 25, v1
	v_lshrrev_b32_e32 v5, 4, v1
	v_and_or_b32 v6, v4, s0, 0.5
	v_or_b32_e32 v5, 0x70000000, v5
	v_add_f32_e32 v6, -0.5, v6
	v_mul_f32_e32 v5, 0x7800000, v5
	v_cmp_gt_u32_e32 vcc, s1, v1
	v_bfe_i32 v4, v4, 0, 16
	v_cndmask_b32_e32 v1, v5, v6, vcc
	s_brev_b32 s0, 1
	v_and_or_b32 v1, v4, s0, v1
	v_cvt_f64_f32_e32 v[6:7], v1
.LBB8_482:
	s_mov_b64 s[16:17], 0
	s_mov_b64 s[0:1], -1
.LBB8_483:
	s_andn2_b64 vcc, exec, s[16:17]
	s_cbranch_vccnz .LBB8_496
; %bb.484:
	v_cmp_lt_i16_e32 vcc, 14, v8
	s_cbranch_vccz .LBB8_487
; %bb.485:
	v_cmp_eq_u16_e32 vcc, 15, v8
	s_cbranch_vccz .LBB8_490
; %bb.486:
	global_load_ushort v1, v[2:3], off
	s_mov_b64 s[0:1], -1
	s_mov_b64 s[2:3], 0
	s_waitcnt vmcnt(0)
	v_lshlrev_b32_e32 v1, 16, v1
	v_cvt_f64_f32_e32 v[6:7], v1
	s_branch .LBB8_491
.LBB8_487:
	s_mov_b64 s[16:17], -1
                                        ; implicit-def: $vgpr6_vgpr7
	s_branch .LBB8_492
.LBB8_488:
	s_or_saveexec_b64 s[18:19], s[18:19]
	v_pk_mov_b32 v[6:7], s[16:17], s[16:17] op_sel:[0,1]
	s_xor_b64 exec, exec, s[18:19]
	s_cbranch_execz .LBB8_469
.LBB8_489:
	v_cmp_ne_u16_e32 vcc, 0, v1
	s_andn2_b64 s[0:1], s[0:1], exec
	s_and_b64 s[16:17], vcc, exec
	v_pk_mov_b32 v[6:7], 0, 0
	s_or_b64 s[0:1], s[0:1], s[16:17]
	s_or_b64 exec, exec, s[18:19]
	s_and_saveexec_b64 s[16:17], s[0:1]
	s_cbranch_execnz .LBB8_470
	s_branch .LBB8_471
.LBB8_490:
	s_mov_b64 s[2:3], -1
                                        ; implicit-def: $vgpr6_vgpr7
.LBB8_491:
	s_mov_b64 s[16:17], 0
.LBB8_492:
	s_and_b64 vcc, exec, s[16:17]
	s_cbranch_vccz .LBB8_496
; %bb.493:
	v_cmp_eq_u16_e32 vcc, 11, v8
	s_cbranch_vccz .LBB8_495
; %bb.494:
	global_load_ubyte v1, v[2:3], off
	v_mov_b32_e32 v4, 0x3ff00000
	s_waitcnt vmcnt(1)
	v_mov_b32_e32 v6, 0
	s_mov_b64 s[0:1], -1
	s_mov_b64 s[2:3], 0
	s_waitcnt vmcnt(0)
	v_cmp_ne_u16_e32 vcc, 0, v1
	v_cndmask_b32_e32 v7, 0, v4, vcc
	s_branch .LBB8_496
.LBB8_495:
	s_mov_b64 s[2:3], -1
                                        ; implicit-def: $vgpr6_vgpr7
.LBB8_496:
	s_branch .LBB8_297
.LBB8_497:
	v_cmp_gt_i16_e32 vcc, 5, v8
	s_cbranch_vccnz .LBB8_502
; %bb.498:
	v_cmp_gt_i16_e32 vcc, 8, v8
	s_cbranch_vccnz .LBB8_503
; %bb.499:
	v_cmp_gt_i16_e32 vcc, 9, v8
	s_cbranch_vccnz .LBB8_504
; %bb.500:
	v_cmp_lt_i16_e32 vcc, 9, v8
	s_cbranch_vccz .LBB8_505
; %bb.501:
	global_load_dwordx2 v[6:7], v[2:3], off
	s_mov_b64 s[0:1], 0
	s_branch .LBB8_506
.LBB8_502:
	s_mov_b64 s[0:1], -1
                                        ; implicit-def: $vgpr6_vgpr7
	s_branch .LBB8_524
.LBB8_503:
	s_mov_b64 s[0:1], -1
                                        ; implicit-def: $vgpr6_vgpr7
	s_branch .LBB8_512
.LBB8_504:
	s_mov_b64 s[0:1], -1
                                        ; implicit-def: $vgpr6_vgpr7
	s_branch .LBB8_509
.LBB8_505:
	s_mov_b64 s[0:1], -1
                                        ; implicit-def: $vgpr6_vgpr7
.LBB8_506:
	s_andn2_b64 vcc, exec, s[0:1]
	s_cbranch_vccnz .LBB8_508
; %bb.507:
	global_load_dword v1, v[2:3], off
	s_waitcnt vmcnt(0)
	v_cvt_f64_f32_e32 v[6:7], v1
.LBB8_508:
	s_mov_b64 s[0:1], 0
.LBB8_509:
	s_andn2_b64 vcc, exec, s[0:1]
	s_cbranch_vccnz .LBB8_511
; %bb.510:
	global_load_dword v1, v[2:3], off
	s_waitcnt vmcnt(0)
	v_cvt_f32_f16_e32 v1, v1
	v_cvt_f64_f32_e32 v[6:7], v1
.LBB8_511:
	s_mov_b64 s[0:1], 0
.LBB8_512:
	s_andn2_b64 vcc, exec, s[0:1]
	s_cbranch_vccnz .LBB8_523
; %bb.513:
	v_cmp_gt_i16_e32 vcc, 6, v8
	s_cbranch_vccnz .LBB8_516
; %bb.514:
	v_cmp_lt_i16_e32 vcc, 6, v8
	s_cbranch_vccz .LBB8_517
; %bb.515:
	global_load_dwordx2 v[6:7], v[2:3], off
	s_mov_b64 s[0:1], 0
	s_branch .LBB8_518
.LBB8_516:
	s_mov_b64 s[0:1], -1
                                        ; implicit-def: $vgpr6_vgpr7
	s_branch .LBB8_521
.LBB8_517:
	s_mov_b64 s[0:1], -1
                                        ; implicit-def: $vgpr6_vgpr7
.LBB8_518:
	s_andn2_b64 vcc, exec, s[0:1]
	s_cbranch_vccnz .LBB8_520
; %bb.519:
	global_load_dword v1, v[2:3], off
	s_waitcnt vmcnt(0)
	v_cvt_f64_f32_e32 v[6:7], v1
.LBB8_520:
	s_mov_b64 s[0:1], 0
.LBB8_521:
	s_andn2_b64 vcc, exec, s[0:1]
	s_cbranch_vccnz .LBB8_523
; %bb.522:
	global_load_ushort v1, v[2:3], off
	s_waitcnt vmcnt(0)
	v_cvt_f32_f16_e32 v1, v1
	v_cvt_f64_f32_e32 v[6:7], v1
.LBB8_523:
	s_mov_b64 s[0:1], 0
.LBB8_524:
	s_andn2_b64 vcc, exec, s[0:1]
	s_cbranch_vccnz .LBB8_544
; %bb.525:
	v_cmp_gt_i16_e32 vcc, 2, v8
	s_cbranch_vccnz .LBB8_529
; %bb.526:
	v_cmp_gt_i16_e32 vcc, 3, v8
	s_cbranch_vccnz .LBB8_530
; %bb.527:
	v_cmp_lt_i16_e32 vcc, 3, v8
	s_cbranch_vccz .LBB8_531
; %bb.528:
	global_load_dwordx2 v[4:5], v[2:3], off
	s_mov_b64 s[0:1], 0
	s_waitcnt vmcnt(0)
	v_cvt_f64_i32_e32 v[6:7], v5
	v_cvt_f64_u32_e32 v[4:5], v4
	v_ldexp_f64 v[6:7], v[6:7], 32
	v_add_f64 v[6:7], v[6:7], v[4:5]
	s_branch .LBB8_532
.LBB8_529:
	s_mov_b64 s[0:1], -1
                                        ; implicit-def: $vgpr6_vgpr7
	s_branch .LBB8_538
.LBB8_530:
	s_mov_b64 s[0:1], -1
                                        ; implicit-def: $vgpr6_vgpr7
	s_branch .LBB8_535
.LBB8_531:
	s_mov_b64 s[0:1], -1
                                        ; implicit-def: $vgpr6_vgpr7
.LBB8_532:
	s_andn2_b64 vcc, exec, s[0:1]
	s_cbranch_vccnz .LBB8_534
; %bb.533:
	global_load_dword v1, v[2:3], off
	s_waitcnt vmcnt(0)
	v_cvt_f64_i32_e32 v[6:7], v1
.LBB8_534:
	s_mov_b64 s[0:1], 0
.LBB8_535:
	s_andn2_b64 vcc, exec, s[0:1]
	s_cbranch_vccnz .LBB8_537
; %bb.536:
	global_load_sshort v1, v[2:3], off
	s_waitcnt vmcnt(0)
	v_cvt_f64_i32_e32 v[6:7], v1
.LBB8_537:
	s_mov_b64 s[0:1], 0
.LBB8_538:
	s_andn2_b64 vcc, exec, s[0:1]
	s_cbranch_vccnz .LBB8_544
; %bb.539:
	v_cmp_lt_i16_e32 vcc, 0, v8
	s_cbranch_vccz .LBB8_541
; %bb.540:
	global_load_sbyte v1, v[2:3], off
	s_mov_b64 s[0:1], 0
	s_waitcnt vmcnt(0)
	v_cvt_f64_i32_e32 v[6:7], v1
	s_branch .LBB8_542
.LBB8_541:
	s_mov_b64 s[0:1], -1
                                        ; implicit-def: $vgpr6_vgpr7
.LBB8_542:
	s_andn2_b64 vcc, exec, s[0:1]
	s_cbranch_vccnz .LBB8_544
; %bb.543:
	global_load_ubyte v1, v[2:3], off
	s_waitcnt vmcnt(0)
	v_cvt_f64_u32_e32 v[6:7], v1
.LBB8_544:
	s_branch .LBB8_298
.LBB8_545:
	s_mov_b64 s[16:17], 0
	s_mov_b64 s[0:1], s[56:57]
.LBB8_546:
                                        ; implicit-def: $vgpr12
.LBB8_547:
	s_andn2_b64 s[18:19], s[56:57], exec
	s_and_b64 s[0:1], s[0:1], exec
	s_or_b64 s[64:65], s[18:19], s[0:1]
	s_andn2_b64 s[0:1], s[58:59], exec
	s_and_b64 s[2:3], s[2:3], exec
	s_or_b64 s[62:63], s[0:1], s[2:3]
	s_orn2_b64 s[0:1], s[16:17], exec
.LBB8_548:
	s_or_b64 exec, exec, s[66:67]
	s_mov_b64 s[2:3], 0
	s_mov_b64 s[16:17], 0
	;; [unrolled: 1-line block ×3, first 2 shown]
                                        ; implicit-def: $vgpr0_vgpr1
                                        ; implicit-def: $vgpr2
                                        ; implicit-def: $vgpr6_vgpr7
	s_and_saveexec_b64 s[66:67], s[0:1]
	s_cbranch_execz .LBB8_927
; %bb.549:
	v_cmp_gt_i32_e32 vcc, s76, v12
	s_mov_b64 s[2:3], -1
	s_mov_b64 s[70:71], s[62:63]
	s_mov_b64 s[72:73], s[64:65]
	s_and_saveexec_b64 s[68:69], vcc
	s_cbranch_execz .LBB8_826
; %bb.550:
	s_andn2_b64 vcc, exec, s[44:45]
	s_cbranch_vccnz .LBB8_556
; %bb.551:
	s_mov_b32 s70, 0
	s_andn2_b64 vcc, exec, s[54:55]
	v_mov_b32_e32 v2, 0
	v_mov_b32_e32 v0, 0
	s_cbranch_vccnz .LBB8_562
; %bb.552:
	s_add_i32 s80, s77, 1
	s_cmp_eq_u32 s78, 2
	s_cbranch_scc1 .LBB8_557
; %bb.553:
	s_and_b32 s70, s80, 28
	s_mov_b32 s71, 0
	v_mov_b32_e32 v0, 0
	s_mov_b64 s[72:73], s[34:35]
	s_mov_b64 s[74:75], s[52:53]
	v_mov_b32_e32 v3, v12
	v_mov_b32_e32 v2, 0
.LBB8_554:                              ; =>This Inner Loop Header: Depth=1
	s_load_dwordx8 s[24:31], s[72:73], 0x4
	s_load_dwordx4 s[0:3], s[72:73], 0x24
	s_load_dwordx8 s[16:23], s[74:75], 0x0
	s_add_u32 s72, s72, 48
	s_addc_u32 s73, s73, 0
	s_waitcnt lgkmcnt(0)
	v_mul_hi_u32 v1, s25, v3
	v_add_u32_e32 v1, v3, v1
	v_lshrrev_b32_e32 v1, s26, v1
	v_mul_lo_u32 v4, v1, s24
	v_mul_hi_u32 v5, s28, v1
	v_sub_u32_e32 v3, v3, v4
	v_add_u32_e32 v4, v1, v5
	v_lshrrev_b32_e32 v4, s29, v4
	s_waitcnt vmcnt(0)
	v_mul_lo_u32 v6, v4, s27
	v_mul_hi_u32 v7, s31, v4
	v_sub_u32_e32 v1, v1, v6
	v_add_u32_e32 v6, v4, v7
	v_mul_lo_u32 v5, v3, s17
	v_mul_lo_u32 v3, v3, s16
	;; [unrolled: 1-line block ×4, first 2 shown]
	v_lshrrev_b32_e32 v6, s0, v6
	v_add3_u32 v0, v3, v0, v1
	v_mul_hi_u32 v3, s2, v6
	v_add_u32_e32 v3, v6, v3
	v_lshrrev_b32_e32 v3, s3, v3
	s_add_i32 s71, s71, 4
	v_add3_u32 v1, v5, v2, v7
	v_mul_lo_u32 v2, v6, s30
	v_mul_lo_u32 v5, v3, s1
	s_add_u32 s74, s74, 32
	v_sub_u32_e32 v2, v4, v2
	v_sub_u32_e32 v5, v6, v5
	s_addc_u32 s75, s75, 0
	v_mul_lo_u32 v4, v2, s20
	v_mul_lo_u32 v2, v2, s21
	;; [unrolled: 1-line block ×4, first 2 shown]
	s_cmp_eq_u32 s70, s71
	v_add3_u32 v2, v2, v1, v5
	v_add3_u32 v0, v4, v0, v6
	s_cbranch_scc0 .LBB8_554
; %bb.555:
	v_mov_b32_e32 v1, v2
	s_branch .LBB8_558
.LBB8_556:
	s_mov_b64 s[0:1], -1
                                        ; implicit-def: $vgpr2
                                        ; implicit-def: $vgpr0
	s_branch .LBB8_563
.LBB8_557:
	s_mov_b32 s71, s70
	v_pk_mov_b32 v[0:1], s[70:71], s[70:71] op_sel:[0,1]
                                        ; implicit-def: $vgpr2
	v_mov_b32_e32 v3, v12
.LBB8_558:
	s_and_b32 s16, s80, 3
	s_cmp_eq_u32 s16, 0
	s_cbranch_scc1 .LBB8_562
; %bb.559:
	s_lshl_b32 s0, s70, 3
	s_add_u32 s0, s0, s34
	s_addc_u32 s1, s35, 0
	s_add_u32 s0, s0, 0xc4
	s_addc_u32 s1, s1, 0
	s_mul_i32 s2, s70, 12
	s_add_u32 s2, s34, s2
	s_addc_u32 s3, s35, 0
.LBB8_560:                              ; =>This Inner Loop Header: Depth=1
	s_load_dwordx2 s[18:19], s[2:3], 0x4
	s_load_dword s17, s[2:3], 0xc
	s_load_dwordx2 s[20:21], s[0:1], 0x0
	v_mov_b32_e32 v2, v1
	s_add_u32 s2, s2, 12
	s_waitcnt lgkmcnt(0)
	v_mul_hi_u32 v1, s19, v3
	v_add_u32_e32 v1, v3, v1
	v_lshrrev_b32_e32 v1, s17, v1
	s_addc_u32 s3, s3, 0
	v_mul_lo_u32 v4, v1, s18
	s_add_u32 s0, s0, 8
	s_waitcnt vmcnt(0)
	v_sub_u32_e32 v6, v3, v4
	v_mov_b32_e32 v3, v1
	s_addc_u32 s1, s1, 0
	s_add_i32 s16, s16, -1
	v_mad_u64_u32 v[4:5], s[18:19], v6, s21, v[2:3]
	v_mad_u64_u32 v[0:1], s[18:19], v6, s20, v[0:1]
	s_cmp_lg_u32 s16, 0
	v_mov_b32_e32 v1, v4
	s_cbranch_scc1 .LBB8_560
; %bb.561:
	v_mov_b32_e32 v2, v1
.LBB8_562:
	s_mov_b64 s[0:1], 0
.LBB8_563:
	s_andn2_b64 vcc, exec, s[0:1]
	s_cbranch_vccnz .LBB8_566
; %bb.564:
	v_mul_hi_u32 v0, s37, v12
	v_add_u32_e32 v0, v12, v0
	v_lshrrev_b32_e32 v1, s38, v0
	v_mul_lo_u32 v0, v1, s36
	v_sub_u32_e32 v0, v12, v0
	v_mul_lo_u32 v2, v0, s41
	s_andn2_b64 vcc, exec, s[50:51]
	v_mul_lo_u32 v0, v0, s40
	s_cbranch_vccnz .LBB8_566
; %bb.565:
	v_mul_hi_u32 v3, s48, v1
	v_add_u32_e32 v3, v1, v3
	v_lshrrev_b32_e32 v3, s49, v3
	v_mul_lo_u32 v3, v3, s39
	v_sub_u32_e32 v3, v1, v3
	v_mad_u64_u32 v[0:1], s[0:1], v3, s42, v[0:1]
	v_mad_u64_u32 v[2:3], s[0:1], v3, s43, v[2:3]
.LBB8_566:
	v_mov_b32_e32 v1, s11
	v_add_co_u32_e32 v2, vcc, s10, v2
	v_addc_co_u32_e32 v3, vcc, 0, v1, vcc
	v_cmp_gt_i16_e32 vcc, 11, v8
	s_cbranch_vccnz .LBB8_573
; %bb.567:
	v_cmp_lt_i16_e32 vcc, 25, v8
	s_cbranch_vccz .LBB8_574
; %bb.568:
	v_cmp_lt_i16_e32 vcc, 28, v8
	s_cbranch_vccz .LBB8_575
	;; [unrolled: 3-line block ×4, first 2 shown]
; %bb.571:
	v_cmp_eq_u16_e32 vcc, 46, v8
	s_mov_b64 s[16:17], 0
	s_cbranch_vccz .LBB8_582
; %bb.572:
	global_load_dword v1, v[2:3], off
	s_mov_b64 s[0:1], -1
	s_mov_b64 s[2:3], 0
	s_waitcnt vmcnt(0)
	v_lshlrev_b32_e32 v1, 16, v1
	v_cvt_f64_f32_e32 v[6:7], v1
	s_branch .LBB8_583
.LBB8_573:
	s_mov_b64 s[16:17], -1
	s_mov_b64 s[0:1], 0
                                        ; implicit-def: $vgpr6_vgpr7
	s_mov_b64 s[2:3], s[62:63]
	s_branch .LBB8_648
.LBB8_574:
	s_mov_b64 s[16:17], -1
	s_mov_b64 s[0:1], 0
	s_mov_b64 s[2:3], s[62:63]
                                        ; implicit-def: $vgpr6_vgpr7
	s_branch .LBB8_612
.LBB8_575:
	s_mov_b64 s[16:17], -1
	s_mov_b64 s[0:1], 0
	s_mov_b64 s[2:3], s[62:63]
                                        ; implicit-def: $vgpr6_vgpr7
	s_branch .LBB8_593
.LBB8_576:
	s_mov_b64 s[16:17], -1
	s_mov_b64 s[0:1], 0
	s_mov_b64 s[2:3], s[62:63]
                                        ; implicit-def: $vgpr6_vgpr7
	s_branch .LBB8_588
.LBB8_577:
	s_or_saveexec_b64 s[20:21], s[20:21]
                                        ; implicit-def: $sgpr22
	s_xor_b64 exec, exec, s[20:21]
	s_cbranch_execz .LBB8_345
.LBB8_578:
	s_mov_b32 s22, 0x46000000
	v_add_f32_e64 v3, |v2|, s22
	v_and_b32_e32 v3, 0xff, v3
	v_cmp_ne_u32_e32 vcc, 0, v3
	s_andn2_b64 s[18:19], s[18:19], exec
	s_and_b64 s[24:25], vcc, exec
	s_mov_b32 s22, 0
	s_or_b64 s[18:19], s[18:19], s[24:25]
	s_or_b64 exec, exec, s[20:21]
	v_mov_b32_e32 v6, s22
	s_and_saveexec_b64 s[20:21], s[18:19]
	s_cbranch_execnz .LBB8_346
	s_branch .LBB8_347
.LBB8_579:
	s_mov_b64 s[16:17], -1
	s_mov_b64 s[0:1], 0
	s_mov_b64 s[2:3], s[62:63]
                                        ; implicit-def: $vgpr6_vgpr7
	s_branch .LBB8_583
.LBB8_580:
	s_or_saveexec_b64 s[20:21], s[20:21]
                                        ; implicit-def: $sgpr22
	s_xor_b64 exec, exec, s[20:21]
	s_cbranch_execz .LBB8_358
.LBB8_581:
	s_mov_b32 s22, 0x42800000
	v_add_f32_e64 v3, |v2|, s22
	v_and_b32_e32 v3, 0xff, v3
	v_cmp_ne_u32_e32 vcc, 0, v3
	s_andn2_b64 s[18:19], s[18:19], exec
	s_and_b64 s[24:25], vcc, exec
	s_mov_b32 s22, 0
	s_or_b64 s[18:19], s[18:19], s[24:25]
	s_or_b64 exec, exec, s[20:21]
	v_mov_b32_e32 v6, s22
	s_and_saveexec_b64 s[20:21], s[18:19]
	s_cbranch_execnz .LBB8_359
	s_branch .LBB8_360
.LBB8_582:
	s_mov_b64 s[2:3], -1
                                        ; implicit-def: $vgpr6_vgpr7
	s_mov_b64 s[0:1], 0
.LBB8_583:
	s_and_b64 vcc, exec, s[16:17]
	s_cbranch_vccz .LBB8_587
; %bb.584:
	v_cmp_eq_u16_e32 vcc, 44, v8
	s_cbranch_vccz .LBB8_586
; %bb.585:
	global_load_ubyte v1, v[2:3], off
	s_movk_i32 s2, 0xff
	s_waitcnt vmcnt(1)
	v_bfrev_b32_e32 v6, 4
	v_mov_b32_e32 v7, 0x7ff80000
	v_bfrev_b32_e32 v9, 28
	s_mov_b64 s[0:1], -1
	s_waitcnt vmcnt(0)
	v_lshlrev_b32_e32 v4, 23, v1
	v_cvt_f64_f32_e32 v[4:5], v4
	v_cmp_ne_u32_e32 vcc, s2, v1
	v_cndmask_b32_e32 v4, v6, v4, vcc
	v_cndmask_b32_e32 v5, v7, v5, vcc
	v_cmp_ne_u32_e32 vcc, 0, v1
	v_cndmask_b32_e32 v7, v9, v5, vcc
	v_cndmask_b32_e32 v6, 0, v4, vcc
	s_mov_b64 s[2:3], 0
	s_branch .LBB8_587
.LBB8_586:
	s_mov_b64 s[2:3], -1
                                        ; implicit-def: $vgpr6_vgpr7
.LBB8_587:
	s_mov_b64 s[16:17], 0
.LBB8_588:
	s_and_b64 vcc, exec, s[16:17]
	s_cbranch_vccz .LBB8_592
; %bb.589:
	v_cmp_eq_u16_e32 vcc, 29, v8
	s_cbranch_vccz .LBB8_591
; %bb.590:
	global_load_dwordx2 v[4:5], v[2:3], off
	s_mov_b64 s[0:1], -1
	s_mov_b64 s[2:3], 0
	s_mov_b64 s[16:17], 0
	s_waitcnt vmcnt(0)
	v_cvt_f64_u32_e32 v[6:7], v5
	v_cvt_f64_u32_e32 v[4:5], v4
	v_ldexp_f64 v[6:7], v[6:7], 32
	v_add_f64 v[6:7], v[6:7], v[4:5]
	s_branch .LBB8_593
.LBB8_591:
	s_mov_b64 s[2:3], -1
                                        ; implicit-def: $vgpr6_vgpr7
.LBB8_592:
	s_mov_b64 s[16:17], 0
.LBB8_593:
	s_and_b64 vcc, exec, s[16:17]
	s_cbranch_vccz .LBB8_611
; %bb.594:
	v_cmp_gt_i16_e32 vcc, 27, v8
	s_cbranch_vccnz .LBB8_597
; %bb.595:
	v_cmp_lt_i16_e32 vcc, 27, v8
	s_cbranch_vccz .LBB8_598
; %bb.596:
	global_load_dword v1, v[2:3], off
	s_mov_b64 s[0:1], 0
	s_waitcnt vmcnt(0)
	v_cvt_f64_u32_e32 v[6:7], v1
	s_branch .LBB8_599
.LBB8_597:
	s_mov_b64 s[0:1], -1
                                        ; implicit-def: $vgpr6_vgpr7
	s_branch .LBB8_602
.LBB8_598:
	s_mov_b64 s[0:1], -1
                                        ; implicit-def: $vgpr6_vgpr7
.LBB8_599:
	s_andn2_b64 vcc, exec, s[0:1]
	s_cbranch_vccnz .LBB8_601
; %bb.600:
	global_load_ushort v1, v[2:3], off
	s_waitcnt vmcnt(0)
	v_cvt_f64_u32_e32 v[6:7], v1
.LBB8_601:
	s_mov_b64 s[0:1], 0
.LBB8_602:
	s_andn2_b64 vcc, exec, s[0:1]
	s_cbranch_vccnz .LBB8_610
; %bb.603:
	global_load_ubyte v1, v[2:3], off
	s_movk_i32 s0, 0x7f
                                        ; implicit-def: $sgpr16_sgpr17
	s_waitcnt vmcnt(0)
	v_cmp_lt_i16_e32 vcc, s0, v1
	s_mov_b64 s[0:1], 0
	s_and_saveexec_b64 s[18:19], vcc
	s_xor_b64 s[18:19], exec, s[18:19]
	s_cbranch_execz .LBB8_624
; %bb.604:
	s_movk_i32 s0, 0x80
	v_cmp_eq_u16_e32 vcc, s0, v1
	s_mov_b64 s[20:21], -1
                                        ; implicit-def: $sgpr16_sgpr17
	s_and_saveexec_b64 s[0:1], vcc
; %bb.605:
	s_mov_b32 s17, 0x7ff80000
	s_brev_b32 s16, 4
	s_xor_b64 s[20:21], exec, -1
; %bb.606:
	s_or_b64 exec, exec, s[0:1]
	s_and_b64 s[0:1], s[20:21], exec
	s_or_saveexec_b64 s[18:19], s[18:19]
	v_pk_mov_b32 v[6:7], s[16:17], s[16:17] op_sel:[0,1]
	s_xor_b64 exec, exec, s[18:19]
	s_cbranch_execnz .LBB8_625
.LBB8_607:
	s_or_b64 exec, exec, s[18:19]
	s_and_saveexec_b64 s[16:17], s[0:1]
	s_cbranch_execz .LBB8_609
.LBB8_608:
	v_lshlrev_b32_e32 v4, 24, v1
	v_and_b32_e32 v1, 0xffff, v1
	v_and_b32_e32 v5, 7, v1
	v_ffbh_u32_e32 v7, v5
	v_min_u32_e32 v7, 32, v7
	v_subrev_u32_e32 v9, 28, v7
	v_bfe_u32 v6, v1, 3, 4
	v_lshlrev_b32_e32 v1, v9, v1
	v_sub_u32_e32 v7, 29, v7
	v_and_b32_e32 v1, 7, v1
	v_cmp_eq_u32_e32 vcc, 0, v6
	v_cndmask_b32_e32 v6, v6, v7, vcc
	v_cndmask_b32_e32 v1, v5, v1, vcc
	v_mov_b32_e32 v5, 0x3b800000
	v_lshlrev_b32_e32 v1, 20, v1
	v_and_b32_e32 v4, 0x80000000, v4
	v_lshl_add_u32 v5, v6, 23, v5
	v_or3_b32 v1, v4, v5, v1
	v_cvt_f64_f32_e32 v[6:7], v1
.LBB8_609:
	s_or_b64 exec, exec, s[16:17]
.LBB8_610:
	s_mov_b64 s[0:1], -1
.LBB8_611:
	s_mov_b64 s[16:17], 0
.LBB8_612:
	s_and_b64 vcc, exec, s[16:17]
	s_cbranch_vccz .LBB8_647
; %bb.613:
	v_cmp_lt_i16_e32 vcc, 22, v8
	s_cbranch_vccz .LBB8_623
; %bb.614:
	v_cmp_gt_i16_e32 vcc, 24, v8
	s_cbranch_vccnz .LBB8_626
; %bb.615:
	v_cmp_lt_i16_e32 vcc, 24, v8
	s_cbranch_vccz .LBB8_627
; %bb.616:
	global_load_ubyte v1, v[2:3], off
	s_movk_i32 s0, 0x7f
                                        ; implicit-def: $sgpr16_sgpr17
	s_waitcnt vmcnt(0)
	v_cmp_lt_i16_e32 vcc, s0, v1
	s_mov_b64 s[0:1], 0
	s_and_saveexec_b64 s[18:19], vcc
	s_xor_b64 s[18:19], exec, s[18:19]
	s_cbranch_execz .LBB8_639
; %bb.617:
	s_movk_i32 s0, 0x80
	v_cmp_eq_u16_e32 vcc, s0, v1
	s_mov_b64 s[20:21], -1
                                        ; implicit-def: $sgpr16_sgpr17
	s_and_saveexec_b64 s[0:1], vcc
; %bb.618:
	s_mov_b32 s17, 0x7ff80000
	s_brev_b32 s16, 4
	s_xor_b64 s[20:21], exec, -1
; %bb.619:
	s_or_b64 exec, exec, s[0:1]
	s_and_b64 s[0:1], s[20:21], exec
	s_or_saveexec_b64 s[18:19], s[18:19]
	v_pk_mov_b32 v[6:7], s[16:17], s[16:17] op_sel:[0,1]
	s_xor_b64 exec, exec, s[18:19]
	s_cbranch_execnz .LBB8_640
.LBB8_620:
	s_or_b64 exec, exec, s[18:19]
	s_and_saveexec_b64 s[16:17], s[0:1]
	s_cbranch_execz .LBB8_622
.LBB8_621:
	v_lshlrev_b32_e32 v4, 24, v1
	v_and_b32_e32 v1, 0xffff, v1
	v_and_b32_e32 v5, 3, v1
	v_ffbh_u32_e32 v7, v5
	v_min_u32_e32 v7, 32, v7
	v_subrev_u32_e32 v9, 29, v7
	v_bfe_u32 v6, v1, 2, 5
	v_lshlrev_b32_e32 v1, v9, v1
	v_sub_u32_e32 v7, 30, v7
	v_and_b32_e32 v1, 3, v1
	v_cmp_eq_u32_e32 vcc, 0, v6
	v_cndmask_b32_e32 v6, v6, v7, vcc
	v_cndmask_b32_e32 v1, v5, v1, vcc
	v_mov_b32_e32 v5, 0x37800000
	v_lshlrev_b32_e32 v1, 21, v1
	v_and_b32_e32 v4, 0x80000000, v4
	v_lshl_add_u32 v5, v6, 23, v5
	v_or3_b32 v1, v4, v5, v1
	v_cvt_f64_f32_e32 v[6:7], v1
.LBB8_622:
	s_or_b64 exec, exec, s[16:17]
	s_mov_b64 s[0:1], 0
	s_branch .LBB8_628
.LBB8_623:
	s_mov_b64 s[16:17], -1
                                        ; implicit-def: $vgpr6_vgpr7
	s_branch .LBB8_634
.LBB8_624:
	s_or_saveexec_b64 s[18:19], s[18:19]
	v_pk_mov_b32 v[6:7], s[16:17], s[16:17] op_sel:[0,1]
	s_xor_b64 exec, exec, s[18:19]
	s_cbranch_execz .LBB8_607
.LBB8_625:
	v_cmp_ne_u16_e32 vcc, 0, v1
	s_andn2_b64 s[0:1], s[0:1], exec
	s_and_b64 s[16:17], vcc, exec
	v_pk_mov_b32 v[6:7], 0, 0
	s_or_b64 s[0:1], s[0:1], s[16:17]
	s_or_b64 exec, exec, s[18:19]
	s_and_saveexec_b64 s[16:17], s[0:1]
	s_cbranch_execnz .LBB8_608
	s_branch .LBB8_609
.LBB8_626:
	s_mov_b64 s[0:1], -1
                                        ; implicit-def: $vgpr6_vgpr7
	s_branch .LBB8_631
.LBB8_627:
	s_mov_b64 s[0:1], -1
                                        ; implicit-def: $vgpr6_vgpr7
.LBB8_628:
	s_and_b64 vcc, exec, s[0:1]
	s_cbranch_vccz .LBB8_630
; %bb.629:
	global_load_ubyte v1, v[2:3], off
	s_mov_b32 s0, 0x7f800000
	s_waitcnt vmcnt(0)
	v_lshlrev_b32_e32 v1, 24, v1
	v_and_b32_e32 v4, 0x7f000000, v1
	v_ffbh_u32_e32 v5, v4
	v_min_u32_e32 v5, 32, v5
	v_sub_u32_e64 v5, v5, 4 clamp
	v_lshlrev_b32_e32 v7, v5, v4
	v_lshlrev_b32_e32 v5, 23, v5
	v_lshrrev_b32_e32 v7, 4, v7
	v_add_u32_e32 v6, 0x1000000, v4
	v_sub_u32_e32 v5, v7, v5
	v_ashrrev_i32_e32 v6, 8, v6
	v_add_u32_e32 v5, 0x3c000000, v5
	v_and_or_b32 v5, v6, s0, v5
	v_cmp_ne_u32_e32 vcc, 0, v4
	v_cndmask_b32_e32 v4, 0, v5, vcc
	s_brev_b32 s0, 1
	v_and_or_b32 v1, v1, s0, v4
	v_cvt_f64_f32_e32 v[6:7], v1
.LBB8_630:
	s_mov_b64 s[0:1], 0
.LBB8_631:
	s_andn2_b64 vcc, exec, s[0:1]
	s_cbranch_vccnz .LBB8_633
; %bb.632:
	global_load_ubyte v1, v[2:3], off
	s_movk_i32 s0, 0x7f00
	s_brev_b32 s1, 16
	s_waitcnt vmcnt(0)
	v_lshlrev_b16_e32 v4, 8, v1
	v_lshlrev_b32_e32 v1, 25, v1
	v_lshrrev_b32_e32 v5, 4, v1
	v_and_or_b32 v6, v4, s0, 0.5
	v_or_b32_e32 v5, 0x70000000, v5
	v_add_f32_e32 v6, -0.5, v6
	v_mul_f32_e32 v5, 0x7800000, v5
	v_cmp_gt_u32_e32 vcc, s1, v1
	v_bfe_i32 v4, v4, 0, 16
	v_cndmask_b32_e32 v1, v5, v6, vcc
	s_brev_b32 s0, 1
	v_and_or_b32 v1, v4, s0, v1
	v_cvt_f64_f32_e32 v[6:7], v1
.LBB8_633:
	s_mov_b64 s[16:17], 0
	s_mov_b64 s[0:1], -1
.LBB8_634:
	s_andn2_b64 vcc, exec, s[16:17]
	s_cbranch_vccnz .LBB8_647
; %bb.635:
	v_cmp_lt_i16_e32 vcc, 14, v8
	s_cbranch_vccz .LBB8_638
; %bb.636:
	v_cmp_eq_u16_e32 vcc, 15, v8
	s_cbranch_vccz .LBB8_641
; %bb.637:
	global_load_ushort v1, v[2:3], off
	s_mov_b64 s[0:1], -1
	s_mov_b64 s[2:3], 0
	s_waitcnt vmcnt(0)
	v_lshlrev_b32_e32 v1, 16, v1
	v_cvt_f64_f32_e32 v[6:7], v1
	s_branch .LBB8_642
.LBB8_638:
	s_mov_b64 s[16:17], -1
                                        ; implicit-def: $vgpr6_vgpr7
	s_branch .LBB8_643
.LBB8_639:
	s_or_saveexec_b64 s[18:19], s[18:19]
	v_pk_mov_b32 v[6:7], s[16:17], s[16:17] op_sel:[0,1]
	s_xor_b64 exec, exec, s[18:19]
	s_cbranch_execz .LBB8_620
.LBB8_640:
	v_cmp_ne_u16_e32 vcc, 0, v1
	s_andn2_b64 s[0:1], s[0:1], exec
	s_and_b64 s[16:17], vcc, exec
	v_pk_mov_b32 v[6:7], 0, 0
	s_or_b64 s[0:1], s[0:1], s[16:17]
	s_or_b64 exec, exec, s[18:19]
	s_and_saveexec_b64 s[16:17], s[0:1]
	s_cbranch_execnz .LBB8_621
	s_branch .LBB8_622
.LBB8_641:
	s_mov_b64 s[2:3], -1
                                        ; implicit-def: $vgpr6_vgpr7
.LBB8_642:
	s_mov_b64 s[16:17], 0
.LBB8_643:
	s_and_b64 vcc, exec, s[16:17]
	s_cbranch_vccz .LBB8_647
; %bb.644:
	v_cmp_eq_u16_e32 vcc, 11, v8
	s_cbranch_vccz .LBB8_646
; %bb.645:
	global_load_ubyte v1, v[2:3], off
	v_mov_b32_e32 v4, 0x3ff00000
	s_waitcnt vmcnt(1)
	v_mov_b32_e32 v6, 0
	s_mov_b64 s[0:1], -1
	s_mov_b64 s[2:3], 0
	s_waitcnt vmcnt(0)
	v_cmp_ne_u16_e32 vcc, 0, v1
	v_cndmask_b32_e32 v7, 0, v4, vcc
	s_branch .LBB8_647
.LBB8_646:
	s_mov_b64 s[2:3], -1
                                        ; implicit-def: $vgpr6_vgpr7
.LBB8_647:
	s_mov_b64 s[16:17], 0
.LBB8_648:
	s_and_b64 vcc, exec, s[16:17]
	s_cbranch_vccz .LBB8_697
; %bb.649:
	v_cmp_gt_i16_e32 vcc, 5, v8
	s_cbranch_vccnz .LBB8_654
; %bb.650:
	v_cmp_gt_i16_e32 vcc, 8, v8
	s_cbranch_vccnz .LBB8_655
	;; [unrolled: 3-line block ×3, first 2 shown]
; %bb.652:
	v_cmp_lt_i16_e32 vcc, 9, v8
	s_cbranch_vccz .LBB8_657
; %bb.653:
	global_load_dwordx2 v[6:7], v[2:3], off
	s_mov_b64 s[0:1], 0
	s_branch .LBB8_658
.LBB8_654:
	s_mov_b64 s[0:1], -1
                                        ; implicit-def: $vgpr6_vgpr7
	s_branch .LBB8_676
.LBB8_655:
	s_mov_b64 s[0:1], -1
                                        ; implicit-def: $vgpr6_vgpr7
	s_branch .LBB8_664
.LBB8_656:
	s_mov_b64 s[0:1], -1
                                        ; implicit-def: $vgpr6_vgpr7
	s_branch .LBB8_661
.LBB8_657:
	s_mov_b64 s[0:1], -1
                                        ; implicit-def: $vgpr6_vgpr7
.LBB8_658:
	s_andn2_b64 vcc, exec, s[0:1]
	s_cbranch_vccnz .LBB8_660
; %bb.659:
	global_load_dword v1, v[2:3], off
	s_waitcnt vmcnt(0)
	v_cvt_f64_f32_e32 v[6:7], v1
.LBB8_660:
	s_mov_b64 s[0:1], 0
.LBB8_661:
	s_andn2_b64 vcc, exec, s[0:1]
	s_cbranch_vccnz .LBB8_663
; %bb.662:
	global_load_dword v1, v[2:3], off
	s_waitcnt vmcnt(0)
	v_cvt_f32_f16_e32 v1, v1
	v_cvt_f64_f32_e32 v[6:7], v1
.LBB8_663:
	s_mov_b64 s[0:1], 0
.LBB8_664:
	s_andn2_b64 vcc, exec, s[0:1]
	s_cbranch_vccnz .LBB8_675
; %bb.665:
	v_cmp_gt_i16_e32 vcc, 6, v8
	s_cbranch_vccnz .LBB8_668
; %bb.666:
	v_cmp_lt_i16_e32 vcc, 6, v8
	s_cbranch_vccz .LBB8_669
; %bb.667:
	global_load_dwordx2 v[6:7], v[2:3], off
	s_mov_b64 s[0:1], 0
	s_branch .LBB8_670
.LBB8_668:
	s_mov_b64 s[0:1], -1
                                        ; implicit-def: $vgpr6_vgpr7
	s_branch .LBB8_673
.LBB8_669:
	s_mov_b64 s[0:1], -1
                                        ; implicit-def: $vgpr6_vgpr7
.LBB8_670:
	s_andn2_b64 vcc, exec, s[0:1]
	s_cbranch_vccnz .LBB8_672
; %bb.671:
	global_load_dword v1, v[2:3], off
	s_waitcnt vmcnt(0)
	v_cvt_f64_f32_e32 v[6:7], v1
.LBB8_672:
	s_mov_b64 s[0:1], 0
.LBB8_673:
	s_andn2_b64 vcc, exec, s[0:1]
	s_cbranch_vccnz .LBB8_675
; %bb.674:
	global_load_ushort v1, v[2:3], off
	s_waitcnt vmcnt(0)
	v_cvt_f32_f16_e32 v1, v1
	v_cvt_f64_f32_e32 v[6:7], v1
.LBB8_675:
	s_mov_b64 s[0:1], 0
.LBB8_676:
	s_andn2_b64 vcc, exec, s[0:1]
	s_cbranch_vccnz .LBB8_696
; %bb.677:
	v_cmp_gt_i16_e32 vcc, 2, v8
	s_cbranch_vccnz .LBB8_681
; %bb.678:
	v_cmp_gt_i16_e32 vcc, 3, v8
	s_cbranch_vccnz .LBB8_682
; %bb.679:
	v_cmp_lt_i16_e32 vcc, 3, v8
	s_cbranch_vccz .LBB8_683
; %bb.680:
	global_load_dwordx2 v[4:5], v[2:3], off
	s_mov_b64 s[0:1], 0
	s_waitcnt vmcnt(0)
	v_cvt_f64_i32_e32 v[6:7], v5
	v_cvt_f64_u32_e32 v[4:5], v4
	v_ldexp_f64 v[6:7], v[6:7], 32
	v_add_f64 v[6:7], v[6:7], v[4:5]
	s_branch .LBB8_684
.LBB8_681:
	s_mov_b64 s[0:1], -1
                                        ; implicit-def: $vgpr6_vgpr7
	s_branch .LBB8_690
.LBB8_682:
	s_mov_b64 s[0:1], -1
                                        ; implicit-def: $vgpr6_vgpr7
	s_branch .LBB8_687
.LBB8_683:
	s_mov_b64 s[0:1], -1
                                        ; implicit-def: $vgpr6_vgpr7
.LBB8_684:
	s_andn2_b64 vcc, exec, s[0:1]
	s_cbranch_vccnz .LBB8_686
; %bb.685:
	global_load_dword v1, v[2:3], off
	s_waitcnt vmcnt(0)
	v_cvt_f64_i32_e32 v[6:7], v1
.LBB8_686:
	s_mov_b64 s[0:1], 0
.LBB8_687:
	s_andn2_b64 vcc, exec, s[0:1]
	s_cbranch_vccnz .LBB8_689
; %bb.688:
	global_load_sshort v1, v[2:3], off
	s_waitcnt vmcnt(0)
	v_cvt_f64_i32_e32 v[6:7], v1
.LBB8_689:
	s_mov_b64 s[0:1], 0
.LBB8_690:
	s_andn2_b64 vcc, exec, s[0:1]
	s_cbranch_vccnz .LBB8_696
; %bb.691:
	v_cmp_lt_i16_e32 vcc, 0, v8
	s_cbranch_vccz .LBB8_693
; %bb.692:
	global_load_sbyte v1, v[2:3], off
	s_mov_b64 s[0:1], 0
	s_waitcnt vmcnt(0)
	v_cvt_f64_i32_e32 v[6:7], v1
	s_branch .LBB8_694
.LBB8_693:
	s_mov_b64 s[0:1], -1
                                        ; implicit-def: $vgpr6_vgpr7
.LBB8_694:
	s_andn2_b64 vcc, exec, s[0:1]
	s_cbranch_vccnz .LBB8_696
; %bb.695:
	global_load_ubyte v1, v[2:3], off
	s_waitcnt vmcnt(0)
	v_cvt_f64_u32_e32 v[6:7], v1
.LBB8_696:
	s_mov_b64 s[0:1], -1
.LBB8_697:
	s_andn2_b64 vcc, exec, s[0:1]
	s_cbranch_vccnz .LBB8_707
; %bb.698:
	s_waitcnt vmcnt(0)
	v_cvt_f32_f64_e32 v1, v[6:7]
	s_mov_b32 s0, 0x7f800000
	v_cmp_nlg_f32_e64 s[16:17], |v1|, s0
	s_and_saveexec_b64 s[0:1], s[16:17]
	s_cbranch_execz .LBB8_700
; %bb.699:
	v_mov_b32_e32 v1, 0
	v_mov_b32_e32 v2, 1.0
	global_store_dword v1, v2, s[12:13]
.LBB8_700:
	s_or_b64 exec, exec, s[0:1]
	v_mov_b32_e32 v1, 0
	global_load_dword v2, v1, s[14:15]
	v_mov_b32_e32 v1, s9
	v_mov_b32_e32 v3, 11
	v_add_co_u32_e32 v4, vcc, s8, v0
	v_addc_co_u32_e32 v5, vcc, 0, v1, vcc
	v_cmp_lt_i16_sdwa s[0:1], s79, v3 src0_sel:BYTE_0 src1_sel:DWORD
	s_and_b64 vcc, exec, s[0:1]
	s_waitcnt vmcnt(0)
	v_cvt_f64_f32_e32 v[0:1], v2
	v_mul_f64 v[0:1], v[6:7], v[0:1]
	v_cmp_eq_f32_e64 s[0:1], 1.0, v2
	v_cndmask_b32_e64 v1, v1, v7, s[0:1]
	v_cndmask_b32_e64 v0, v0, v6, s[0:1]
	s_cbranch_vccnz .LBB8_708
; %bb.701:
	v_mov_b32_e32 v2, 25
	v_cmp_gt_i16_sdwa s[0:1], s79, v2 src0_sel:BYTE_0 src1_sel:DWORD
	s_and_b64 vcc, exec, s[0:1]
	s_cbranch_vccz .LBB8_709
; %bb.702:
	v_mov_b32_e32 v2, 28
	v_cmp_gt_i16_sdwa s[0:1], s79, v2 src0_sel:BYTE_0 src1_sel:DWORD
	s_and_b64 vcc, exec, s[0:1]
	s_cbranch_vccz .LBB8_710
	;; [unrolled: 5-line block ×4, first 2 shown]
; %bb.705:
	v_mov_b32_e32 v2, 46
	v_cmp_eq_u16_sdwa s[16:17], s79, v2 src0_sel:BYTE_0 src1_sel:DWORD
	s_mov_b64 s[18:19], 0
	s_mov_b64 s[0:1], -1
	s_and_b64 vcc, exec, s[16:17]
	s_mov_b64 s[16:17], 0
	s_cbranch_vccz .LBB8_713
; %bb.706:
	v_cvt_f32_f64_e32 v2, v[0:1]
	v_bfe_u32 v3, v2, 16, 1
	s_movk_i32 s0, 0x7fff
	v_add3_u32 v3, v2, v3, s0
	v_lshrrev_b32_e32 v3, 16, v3
	v_mov_b32_e32 v6, 0x7fc0
	v_cmp_o_f32_e32 vcc, v2, v2
	v_cndmask_b32_e32 v2, v6, v3, vcc
	global_store_dword v[4:5], v2, off
	s_mov_b64 s[16:17], -1
	s_mov_b64 s[0:1], 0
	s_branch .LBB8_713
.LBB8_707:
	s_mov_b64 s[16:17], 0
	s_mov_b64 s[0:1], s[64:65]
	s_branch .LBB8_824
.LBB8_708:
	s_mov_b64 s[18:19], -1
	s_mov_b64 s[16:17], 0
	s_mov_b64 s[0:1], s[64:65]
	s_branch .LBB8_782
.LBB8_709:
	s_mov_b64 s[18:19], -1
	s_mov_b64 s[16:17], 0
	s_mov_b64 s[0:1], s[64:65]
	s_branch .LBB8_740
.LBB8_710:
	s_mov_b64 s[18:19], -1
	s_mov_b64 s[16:17], 0
	s_mov_b64 s[0:1], s[64:65]
	s_branch .LBB8_723
.LBB8_711:
	s_mov_b64 s[18:19], -1
	s_mov_b64 s[16:17], 0
	s_mov_b64 s[0:1], s[64:65]
	s_branch .LBB8_719
.LBB8_712:
	s_mov_b64 s[18:19], -1
	s_mov_b64 s[16:17], 0
	s_mov_b64 s[0:1], s[64:65]
.LBB8_713:
	s_and_b64 vcc, exec, s[18:19]
	s_cbranch_vccz .LBB8_718
; %bb.714:
	v_mov_b32_e32 v2, 44
	v_cmp_eq_u16_sdwa s[18:19], s79, v2 src0_sel:BYTE_0 src1_sel:DWORD
	s_mov_b64 s[0:1], -1
	s_and_b64 vcc, exec, s[18:19]
	s_cbranch_vccz .LBB8_718
; %bb.715:
	v_cvt_f32_f64_e32 v2, v[0:1]
	v_bfe_u32 v3, v2, 23, 8
	s_movk_i32 s0, 0xff
	v_cmp_ne_u32_e32 vcc, s0, v3
	v_mov_b32_e32 v6, 0xff
	s_and_saveexec_b64 s[16:17], vcc
; %bb.716:
	s_mov_b32 s0, 0x3fffff
	v_lshrrev_b32_e32 v6, 23, v2
	v_and_b32_e32 v7, 0x400000, v2
	v_and_or_b32 v2, v2, s0, v3
	v_cmp_ne_u32_e32 vcc, 0, v7
	v_cmp_ne_u32_e64 s[0:1], 0, v2
	s_and_b64 s[0:1], vcc, s[0:1]
	v_cndmask_b32_e64 v2, 0, 1, s[0:1]
	v_add_u32_e32 v6, v6, v2
; %bb.717:
	s_or_b64 exec, exec, s[16:17]
	s_mov_b64 s[16:17], -1
	s_mov_b64 s[0:1], 0
	global_store_byte v[4:5], v6, off
.LBB8_718:
	s_mov_b64 s[18:19], 0
.LBB8_719:
	s_and_b64 vcc, exec, s[18:19]
	s_cbranch_vccz .LBB8_722
; %bb.720:
	v_mov_b32_e32 v2, 29
	v_cmp_eq_u16_sdwa s[18:19], s79, v2 src0_sel:BYTE_0 src1_sel:DWORD
	s_mov_b64 s[0:1], -1
	s_and_b64 vcc, exec, s[18:19]
	s_cbranch_vccz .LBB8_722
; %bb.721:
	v_trunc_f64_e32 v[2:3], v[0:1]
	s_movk_i32 s0, 0xffe0
	v_ldexp_f64 v[6:7], v[2:3], s0
	v_floor_f64_e32 v[6:7], v[6:7]
	v_fmac_f64_e32 v[2:3], 0xc1f00000, v[6:7]
	v_cvt_u32_f64_e32 v11, v[6:7]
	v_cvt_u32_f64_e32 v10, v[2:3]
	global_store_dwordx2 v[4:5], v[10:11], off
	s_mov_b64 s[16:17], -1
	s_mov_b64 s[0:1], 0
.LBB8_722:
	s_mov_b64 s[18:19], 0
.LBB8_723:
	s_and_b64 vcc, exec, s[18:19]
	s_cbranch_vccz .LBB8_739
; %bb.724:
	v_mov_b32_e32 v2, 27
	v_cmp_lt_i16_sdwa s[18:19], s79, v2 src0_sel:BYTE_0 src1_sel:DWORD
	s_mov_b64 s[16:17], -1
	s_and_b64 vcc, exec, s[18:19]
	s_cbranch_vccnz .LBB8_730
; %bb.725:
	v_cmp_gt_i16_sdwa s[18:19], s79, v2 src0_sel:BYTE_0 src1_sel:DWORD
	s_and_b64 vcc, exec, s[18:19]
	v_cvt_u32_f64_e32 v2, v[0:1]
	s_cbranch_vccz .LBB8_727
; %bb.726:
	s_mov_b64 s[16:17], 0
	global_store_dword v[4:5], v2, off
.LBB8_727:
	s_andn2_b64 vcc, exec, s[16:17]
	s_cbranch_vccnz .LBB8_729
; %bb.728:
	global_store_short v[4:5], v2, off
.LBB8_729:
	s_mov_b64 s[16:17], 0
.LBB8_730:
	s_andn2_b64 vcc, exec, s[16:17]
	s_cbranch_vccnz .LBB8_738
; %bb.731:
	v_cvt_f32_f64_e32 v2, v[0:1]
	v_and_b32_e32 v3, 0x7fffffff, v2
	s_mov_b32 s16, 0x43800000
	v_cmp_gt_u32_e32 vcc, s16, v3
	v_mov_b32_e32 v6, 0x80
	s_and_saveexec_b64 s[16:17], vcc
	s_cbranch_execz .LBB8_737
; %bb.732:
	s_mov_b32 s18, 0x3bffffff
	v_cmp_lt_u32_e32 vcc, s18, v3
	s_mov_b64 s[18:19], 0
                                        ; implicit-def: $vgpr3
	s_and_saveexec_b64 s[20:21], vcc
	s_xor_b64 s[20:21], exec, s[20:21]
	s_cbranch_execz .LBB8_855
; %bb.733:
	v_bfe_u32 v3, v2, 20, 1
	s_mov_b32 s22, 0x487ffff
	v_add3_u32 v3, v2, v3, s22
	s_mov_b64 s[18:19], exec
	v_lshrrev_b32_e32 v3, 20, v3
	s_or_saveexec_b64 s[20:21], s[20:21]
                                        ; implicit-def: $sgpr22
	s_xor_b64 exec, exec, s[20:21]
	s_cbranch_execnz .LBB8_856
.LBB8_734:
	s_or_b64 exec, exec, s[20:21]
	v_mov_b32_e32 v6, s22
	s_and_saveexec_b64 s[20:21], s[18:19]
.LBB8_735:
	v_lshrrev_b32_e32 v2, 24, v2
	s_movk_i32 s18, 0x80
	v_and_or_b32 v6, v2, s18, v3
.LBB8_736:
	s_or_b64 exec, exec, s[20:21]
.LBB8_737:
	s_or_b64 exec, exec, s[16:17]
	global_store_byte v[4:5], v6, off
.LBB8_738:
	s_mov_b64 s[16:17], -1
.LBB8_739:
	s_mov_b64 s[18:19], 0
.LBB8_740:
	s_and_b64 vcc, exec, s[18:19]
	s_cbranch_vccz .LBB8_781
; %bb.741:
	v_mov_b32_e32 v2, 22
	v_cmp_gt_i16_sdwa s[20:21], s79, v2 src0_sel:BYTE_0 src1_sel:DWORD
	s_mov_b64 s[18:19], -1
	s_and_b64 vcc, exec, s[20:21]
	s_cbranch_vccz .LBB8_773
; %bb.742:
	v_mov_b32_e32 v2, 24
	v_cmp_lt_i16_sdwa s[18:19], s79, v2 src0_sel:BYTE_0 src1_sel:DWORD
	s_mov_b64 s[16:17], -1
	s_and_b64 vcc, exec, s[18:19]
	s_cbranch_vccnz .LBB8_762
; %bb.743:
	v_cmp_gt_i16_sdwa s[18:19], s79, v2 src0_sel:BYTE_0 src1_sel:DWORD
	s_and_b64 vcc, exec, s[18:19]
	s_cbranch_vccz .LBB8_751
; %bb.744:
	v_cvt_f32_f64_e32 v2, v[0:1]
	v_and_b32_e32 v3, 0x7fffffff, v2
	s_mov_b32 s16, 0x47800000
	v_cmp_gt_u32_e32 vcc, s16, v3
	v_mov_b32_e32 v6, 0x80
	s_and_saveexec_b64 s[16:17], vcc
	s_cbranch_execz .LBB8_750
; %bb.745:
	s_mov_b32 s18, 0x37ffffff
	v_cmp_lt_u32_e32 vcc, s18, v3
	s_mov_b64 s[18:19], 0
                                        ; implicit-def: $vgpr3
	s_and_saveexec_b64 s[20:21], vcc
	s_xor_b64 s[20:21], exec, s[20:21]
	s_cbranch_execz .LBB8_858
; %bb.746:
	v_bfe_u32 v3, v2, 21, 1
	s_mov_b32 s22, 0x88fffff
	v_add3_u32 v3, v2, v3, s22
	s_mov_b64 s[18:19], exec
	v_lshrrev_b32_e32 v3, 21, v3
	s_or_saveexec_b64 s[20:21], s[20:21]
                                        ; implicit-def: $sgpr22
	s_xor_b64 exec, exec, s[20:21]
	s_cbranch_execnz .LBB8_859
.LBB8_747:
	s_or_b64 exec, exec, s[20:21]
	v_mov_b32_e32 v6, s22
	s_and_saveexec_b64 s[20:21], s[18:19]
.LBB8_748:
	v_lshrrev_b32_e32 v2, 24, v2
	s_movk_i32 s18, 0x80
	v_and_or_b32 v6, v2, s18, v3
.LBB8_749:
	s_or_b64 exec, exec, s[20:21]
.LBB8_750:
	s_or_b64 exec, exec, s[16:17]
	s_mov_b64 s[16:17], 0
	global_store_byte v[4:5], v6, off
.LBB8_751:
	s_and_b64 vcc, exec, s[16:17]
	s_cbranch_vccz .LBB8_761
; %bb.752:
	v_cvt_f32_f64_e32 v2, v[0:1]
	v_and_b32_e32 v6, 0x7fffffff, v2
	s_mov_b32 s16, 0x43f00000
	v_cmp_gt_u32_e32 vcc, s16, v6
                                        ; implicit-def: $vgpr3
	s_and_saveexec_b64 s[16:17], vcc
	s_xor_b64 s[16:17], exec, s[16:17]
	s_cbranch_execz .LBB8_758
; %bb.753:
	s_mov_b32 s18, 0x3c7fffff
	v_cmp_lt_u32_e32 vcc, s18, v6
                                        ; implicit-def: $vgpr3
	s_and_saveexec_b64 s[18:19], vcc
	s_xor_b64 s[18:19], exec, s[18:19]
; %bb.754:
	v_bfe_u32 v3, v2, 20, 1
	s_mov_b32 s20, 0x407ffff
	v_add3_u32 v3, v2, v3, s20
	v_lshrrev_b32_e32 v6, 20, v3
	v_and_b32_e32 v3, 0xff00000, v3
	s_mov_b32 s20, 0x7f00000
	v_mov_b32_e32 v7, 0x7e
	v_cmp_ne_u32_e32 vcc, s20, v3
	v_cndmask_b32_e32 v3, v7, v6, vcc
; %bb.755:
	s_andn2_saveexec_b64 s[18:19], s[18:19]
; %bb.756:
	s_mov_b32 s20, 0x46800000
	v_add_f32_e64 v3, |v2|, s20
; %bb.757:
	s_or_b64 exec, exec, s[18:19]
                                        ; implicit-def: $vgpr6
.LBB8_758:
	s_andn2_saveexec_b64 s[16:17], s[16:17]
; %bb.759:
	s_mov_b32 s18, 0x7f800000
	v_mov_b32_e32 v3, 0x7e
	v_mov_b32_e32 v7, 0x7f
	v_cmp_lt_u32_e32 vcc, s18, v6
	v_cndmask_b32_e32 v3, v3, v7, vcc
; %bb.760:
	s_or_b64 exec, exec, s[16:17]
	v_lshrrev_b32_e32 v2, 24, v2
	s_movk_i32 s16, 0x80
	v_and_or_b32 v2, v2, s16, v3
	global_store_byte v[4:5], v2, off
.LBB8_761:
	s_mov_b64 s[16:17], 0
.LBB8_762:
	s_andn2_b64 vcc, exec, s[16:17]
	s_cbranch_vccnz .LBB8_772
; %bb.763:
	v_cvt_f32_f64_e32 v2, v[0:1]
	v_and_b32_e32 v6, 0x7fffffff, v2
	s_mov_b32 s16, 0x47800000
	v_cmp_gt_u32_e32 vcc, s16, v6
                                        ; implicit-def: $vgpr3
	s_and_saveexec_b64 s[16:17], vcc
	s_xor_b64 s[16:17], exec, s[16:17]
	s_cbranch_execz .LBB8_769
; %bb.764:
	s_mov_b32 s18, 0x387fffff
	v_cmp_lt_u32_e32 vcc, s18, v6
                                        ; implicit-def: $vgpr3
	s_and_saveexec_b64 s[18:19], vcc
	s_xor_b64 s[18:19], exec, s[18:19]
; %bb.765:
	v_bfe_u32 v3, v2, 21, 1
	s_mov_b32 s20, 0x80fffff
	v_add3_u32 v3, v2, v3, s20
	v_lshrrev_b32_e32 v3, 21, v3
; %bb.766:
	s_andn2_saveexec_b64 s[18:19], s[18:19]
; %bb.767:
	s_mov_b32 s20, 0x43000000
	v_add_f32_e64 v3, |v2|, s20
; %bb.768:
	s_or_b64 exec, exec, s[18:19]
                                        ; implicit-def: $vgpr6
.LBB8_769:
	s_andn2_saveexec_b64 s[16:17], s[16:17]
; %bb.770:
	s_mov_b32 s18, 0x7f800000
	v_mov_b32_e32 v3, 0x7c
	v_mov_b32_e32 v7, 0x7f
	v_cmp_lt_u32_e32 vcc, s18, v6
	v_cndmask_b32_e32 v3, v3, v7, vcc
; %bb.771:
	s_or_b64 exec, exec, s[16:17]
	v_lshrrev_b32_e32 v2, 24, v2
	s_movk_i32 s16, 0x80
	v_and_or_b32 v2, v2, s16, v3
	global_store_byte v[4:5], v2, off
.LBB8_772:
	s_mov_b64 s[18:19], 0
	s_mov_b64 s[16:17], -1
.LBB8_773:
	s_andn2_b64 vcc, exec, s[18:19]
	s_cbranch_vccnz .LBB8_781
; %bb.774:
	v_mov_b32_e32 v2, 14
	v_cmp_gt_i16_sdwa s[20:21], s79, v2 src0_sel:BYTE_0 src1_sel:DWORD
	s_mov_b64 s[18:19], -1
	s_and_b64 vcc, exec, s[20:21]
	s_cbranch_vccz .LBB8_778
; %bb.775:
	v_mov_b32_e32 v2, 15
	v_cmp_eq_u16_sdwa s[18:19], s79, v2 src0_sel:BYTE_0 src1_sel:DWORD
	s_mov_b64 s[0:1], -1
	s_and_b64 vcc, exec, s[18:19]
	s_cbranch_vccz .LBB8_777
; %bb.776:
	v_cvt_f32_f64_e32 v2, v[0:1]
	v_bfe_u32 v3, v2, 16, 1
	s_movk_i32 s0, 0x7fff
	v_add3_u32 v3, v2, v3, s0
	v_lshrrev_b32_e32 v3, 16, v3
	v_mov_b32_e32 v6, 0x7fc0
	v_cmp_o_f32_e32 vcc, v2, v2
	v_cndmask_b32_e32 v2, v6, v3, vcc
	global_store_short v[4:5], v2, off
	s_mov_b64 s[16:17], -1
	s_mov_b64 s[0:1], 0
.LBB8_777:
	s_mov_b64 s[18:19], 0
.LBB8_778:
	s_and_b64 vcc, exec, s[18:19]
	s_cbranch_vccz .LBB8_781
; %bb.779:
	v_mov_b32_e32 v2, 11
	v_cmp_eq_u16_sdwa s[18:19], s79, v2 src0_sel:BYTE_0 src1_sel:DWORD
	s_mov_b64 s[0:1], -1
	s_and_b64 vcc, exec, s[18:19]
	s_cbranch_vccz .LBB8_781
; %bb.780:
	v_cmp_neq_f64_e32 vcc, 0, v[0:1]
	s_mov_b64 s[0:1], 0
	v_cndmask_b32_e64 v2, 0, 1, vcc
	s_mov_b64 s[16:17], -1
	global_store_byte v[4:5], v2, off
.LBB8_781:
	s_mov_b64 s[18:19], 0
.LBB8_782:
	s_and_b64 vcc, exec, s[18:19]
	s_cbranch_vccz .LBB8_821
; %bb.783:
	v_mov_b32_e32 v2, 5
	v_cmp_lt_i16_sdwa s[18:19], s79, v2 src0_sel:BYTE_0 src1_sel:DWORD
	s_mov_b64 s[16:17], -1
	s_and_b64 vcc, exec, s[18:19]
	s_cbranch_vccnz .LBB8_804
; %bb.784:
	v_mov_b32_e32 v2, 8
	v_cmp_lt_i16_sdwa s[18:19], s79, v2 src0_sel:BYTE_0 src1_sel:DWORD
	s_and_b64 vcc, exec, s[18:19]
	s_cbranch_vccnz .LBB8_794
; %bb.785:
	v_mov_b32_e32 v2, 9
	v_cmp_lt_i16_sdwa s[18:19], s79, v2 src0_sel:BYTE_0 src1_sel:DWORD
	s_and_b64 vcc, exec, s[18:19]
	s_cbranch_vccnz .LBB8_791
; %bb.786:
	v_cmp_gt_i16_sdwa s[18:19], s79, v2 src0_sel:BYTE_0 src1_sel:DWORD
	s_and_b64 vcc, exec, s[18:19]
	s_cbranch_vccz .LBB8_788
; %bb.787:
	v_mov_b32_e32 v2, 0
	v_mov_b32_e32 v3, v2
	s_mov_b64 s[16:17], 0
	global_store_dwordx4 v[4:5], v[0:3], off
.LBB8_788:
	s_andn2_b64 vcc, exec, s[16:17]
	s_cbranch_vccnz .LBB8_790
; %bb.789:
	v_cvt_f32_f64_e32 v2, v[0:1]
	v_mov_b32_e32 v3, 0
	global_store_dwordx2 v[4:5], v[2:3], off
.LBB8_790:
	s_mov_b64 s[16:17], 0
.LBB8_791:
	s_andn2_b64 vcc, exec, s[16:17]
	s_cbranch_vccnz .LBB8_793
; %bb.792:
	v_cvt_f32_f64_e32 v2, v[0:1]
	v_cvt_f16_f32_e32 v2, v2
	global_store_dword v[4:5], v2, off
.LBB8_793:
	s_mov_b64 s[16:17], 0
.LBB8_794:
	s_andn2_b64 vcc, exec, s[16:17]
	s_cbranch_vccnz .LBB8_803
; %bb.795:
	v_mov_b32_e32 v2, 6
	v_cmp_lt_i16_sdwa s[18:19], s79, v2 src0_sel:BYTE_0 src1_sel:DWORD
	s_mov_b64 s[16:17], -1
	s_and_b64 vcc, exec, s[18:19]
	s_cbranch_vccnz .LBB8_801
; %bb.796:
	v_cmp_gt_i16_sdwa s[18:19], s79, v2 src0_sel:BYTE_0 src1_sel:DWORD
	s_and_b64 vcc, exec, s[18:19]
	s_cbranch_vccz .LBB8_798
; %bb.797:
	s_mov_b64 s[16:17], 0
	global_store_dwordx2 v[4:5], v[0:1], off
.LBB8_798:
	s_andn2_b64 vcc, exec, s[16:17]
	s_cbranch_vccnz .LBB8_800
; %bb.799:
	v_cvt_f32_f64_e32 v2, v[0:1]
	global_store_dword v[4:5], v2, off
.LBB8_800:
	s_mov_b64 s[16:17], 0
.LBB8_801:
	s_andn2_b64 vcc, exec, s[16:17]
	s_cbranch_vccnz .LBB8_803
; %bb.802:
	v_cvt_f32_f64_e32 v2, v[0:1]
	v_cvt_f16_f32_e32 v2, v2
	global_store_short v[4:5], v2, off
.LBB8_803:
	s_mov_b64 s[16:17], 0
.LBB8_804:
	s_andn2_b64 vcc, exec, s[16:17]
	s_cbranch_vccnz .LBB8_820
; %bb.805:
	v_mov_b32_e32 v2, 2
	v_cmp_lt_i16_sdwa s[18:19], s79, v2 src0_sel:BYTE_0 src1_sel:DWORD
	s_mov_b64 s[16:17], -1
	s_and_b64 vcc, exec, s[18:19]
	s_cbranch_vccnz .LBB8_815
; %bb.806:
	v_mov_b32_e32 v2, 3
	v_cmp_lt_i16_sdwa s[18:19], s79, v2 src0_sel:BYTE_0 src1_sel:DWORD
	s_and_b64 vcc, exec, s[18:19]
	s_cbranch_vccnz .LBB8_812
; %bb.807:
	v_cmp_gt_i16_sdwa s[18:19], s79, v2 src0_sel:BYTE_0 src1_sel:DWORD
	s_and_b64 vcc, exec, s[18:19]
	s_cbranch_vccz .LBB8_809
; %bb.808:
	v_trunc_f64_e32 v[2:3], v[0:1]
	s_movk_i32 s16, 0xffe0
	v_ldexp_f64 v[6:7], v[2:3], s16
	v_floor_f64_e32 v[6:7], v[6:7]
	v_fmac_f64_e32 v[2:3], 0xc1f00000, v[6:7]
	v_cvt_i32_f64_e32 v11, v[6:7]
	v_cvt_u32_f64_e32 v10, v[2:3]
	s_mov_b64 s[16:17], 0
	global_store_dwordx2 v[4:5], v[10:11], off
.LBB8_809:
	s_andn2_b64 vcc, exec, s[16:17]
	s_cbranch_vccnz .LBB8_811
; %bb.810:
	v_cvt_i32_f64_e32 v2, v[0:1]
	global_store_dword v[4:5], v2, off
.LBB8_811:
	s_mov_b64 s[16:17], 0
.LBB8_812:
	s_andn2_b64 vcc, exec, s[16:17]
	s_cbranch_vccnz .LBB8_814
; %bb.813:
	v_cvt_i32_f64_e32 v2, v[0:1]
	global_store_short v[4:5], v2, off
.LBB8_814:
	s_mov_b64 s[16:17], 0
.LBB8_815:
	s_andn2_b64 vcc, exec, s[16:17]
	s_cbranch_vccnz .LBB8_820
; %bb.816:
	v_mov_b32_e32 v2, 0
	v_cmp_gt_i16_sdwa s[18:19], s79, v2 src0_sel:BYTE_0 src1_sel:DWORD
	s_mov_b64 s[16:17], -1
	s_and_b64 vcc, exec, s[18:19]
	s_cbranch_vccz .LBB8_818
; %bb.817:
	v_cvt_i32_f64_e32 v2, v[0:1]
	s_mov_b64 s[16:17], 0
	global_store_byte v[4:5], v2, off
.LBB8_818:
	s_andn2_b64 vcc, exec, s[16:17]
	s_cbranch_vccnz .LBB8_820
; %bb.819:
	v_trunc_f64_e32 v[0:1], v[0:1]
	s_movk_i32 s16, 0xffe0
	v_ldexp_f64 v[2:3], v[0:1], s16
	v_floor_f64_e32 v[2:3], v[2:3]
	v_fmac_f64_e32 v[0:1], 0xc1f00000, v[2:3]
	v_cvt_u32_f64_e32 v0, v[0:1]
	global_store_byte v[4:5], v0, off
.LBB8_820:
	s_mov_b64 s[16:17], -1
.LBB8_821:
	s_andn2_b64 vcc, exec, s[16:17]
	s_cbranch_vccnz .LBB8_823
; %bb.822:
	v_add_u32_e32 v12, 0x80, v12
	s_mov_b64 s[16:17], -1
	s_branch .LBB8_825
.LBB8_823:
	s_mov_b64 s[16:17], 0
.LBB8_824:
                                        ; implicit-def: $vgpr12
.LBB8_825:
	s_andn2_b64 s[18:19], s[64:65], exec
	s_and_b64 s[0:1], s[0:1], exec
	s_or_b64 s[72:73], s[18:19], s[0:1]
	s_andn2_b64 s[0:1], s[62:63], exec
	s_and_b64 s[2:3], s[2:3], exec
	s_or_b64 s[70:71], s[0:1], s[2:3]
	s_orn2_b64 s[2:3], s[16:17], exec
.LBB8_826:
	s_or_b64 exec, exec, s[68:69]
	s_mov_b64 s[0:1], 0
	s_mov_b64 s[16:17], 0
	;; [unrolled: 1-line block ×3, first 2 shown]
                                        ; implicit-def: $vgpr0_vgpr1
                                        ; implicit-def: $vgpr2
                                        ; implicit-def: $vgpr6_vgpr7
	s_and_saveexec_b64 s[68:69], s[2:3]
	s_cbranch_execz .LBB8_926
; %bb.827:
	v_cmp_gt_i32_e32 vcc, s76, v12
	s_mov_b64 s[2:3], 0
	s_mov_b64 s[20:21], s[70:71]
                                        ; implicit-def: $vgpr0_vgpr1
                                        ; implicit-def: $vgpr2
                                        ; implicit-def: $vgpr6_vgpr7
	s_and_saveexec_b64 s[74:75], vcc
	s_cbranch_execz .LBB8_925
; %bb.828:
	s_andn2_b64 vcc, exec, s[44:45]
	s_cbranch_vccnz .LBB8_834
; %bb.829:
	s_mov_b32 s76, 0
	s_andn2_b64 vcc, exec, s[54:55]
	v_mov_b32_e32 v0, 0
	v_mov_b32_e32 v2, 0
	s_cbranch_vccnz .LBB8_840
; %bb.830:
	s_add_i32 s80, s77, 1
	s_cmp_eq_u32 s78, 2
	s_cbranch_scc1 .LBB8_835
; %bb.831:
	s_and_b32 s76, s80, 28
	s_mov_b32 s77, 0
	v_mov_b32_e32 v2, 0
	s_mov_b64 s[54:55], s[34:35]
	v_mov_b32_e32 v1, v12
	v_mov_b32_e32 v0, 0
.LBB8_832:                              ; =>This Inner Loop Header: Depth=1
	s_load_dwordx8 s[24:31], s[54:55], 0x4
	s_load_dwordx4 s[0:3], s[54:55], 0x24
	s_load_dwordx8 s[16:23], s[52:53], 0x0
	s_add_u32 s54, s54, 48
	s_addc_u32 s55, s55, 0
	s_waitcnt lgkmcnt(0)
	v_mul_hi_u32 v3, s25, v1
	v_add_u32_e32 v3, v1, v3
	v_lshrrev_b32_e32 v3, s26, v3
	v_mul_lo_u32 v4, v3, s24
	v_mul_hi_u32 v5, s28, v3
	v_sub_u32_e32 v1, v1, v4
	v_add_u32_e32 v4, v3, v5
	v_lshrrev_b32_e32 v4, s29, v4
	s_waitcnt vmcnt(0)
	v_mul_lo_u32 v6, v4, s27
	v_mul_hi_u32 v7, s31, v4
	v_sub_u32_e32 v3, v3, v6
	v_add_u32_e32 v6, v4, v7
	v_mul_lo_u32 v5, v1, s17
	v_mul_lo_u32 v1, v1, s16
	;; [unrolled: 1-line block ×4, first 2 shown]
	v_lshrrev_b32_e32 v6, s0, v6
	v_add3_u32 v2, v1, v2, v3
	v_mul_lo_u32 v1, v6, s30
	v_mul_hi_u32 v3, s2, v6
	v_sub_u32_e32 v1, v4, v1
	v_add_u32_e32 v3, v6, v3
	v_add3_u32 v0, v5, v0, v7
	v_mul_lo_u32 v4, v1, s20
	v_mul_lo_u32 v5, v1, s21
	v_lshrrev_b32_e32 v1, s3, v3
	s_add_i32 s77, s77, 4
	v_mul_lo_u32 v3, v1, s1
	s_add_u32 s52, s52, 32
	v_sub_u32_e32 v3, v6, v3
	s_addc_u32 s53, s53, 0
	v_mul_lo_u32 v6, v3, s22
	v_mul_lo_u32 v3, v3, s23
	s_cmp_eq_u32 s76, s77
	v_add3_u32 v0, v5, v0, v3
	v_add3_u32 v2, v4, v2, v6
	s_cbranch_scc0 .LBB8_832
; %bb.833:
	v_mov_b32_e32 v3, v0
	s_branch .LBB8_836
.LBB8_834:
	s_mov_b64 s[0:1], -1
                                        ; implicit-def: $vgpr0
                                        ; implicit-def: $vgpr2
	s_branch .LBB8_841
.LBB8_835:
	s_mov_b32 s77, s76
	v_pk_mov_b32 v[2:3], s[76:77], s[76:77] op_sel:[0,1]
                                        ; implicit-def: $vgpr0
	v_mov_b32_e32 v1, v12
.LBB8_836:
	s_and_b32 s16, s80, 3
	s_cmp_eq_u32 s16, 0
	s_cbranch_scc1 .LBB8_840
; %bb.837:
	s_lshl_b32 s0, s76, 3
	s_add_u32 s0, s0, s34
	s_addc_u32 s1, s35, 0
	s_add_u32 s0, s0, 0xc4
	s_addc_u32 s1, s1, 0
	s_mul_i32 s2, s76, 12
	s_add_u32 s2, s34, s2
	s_addc_u32 s3, s35, 0
.LBB8_838:                              ; =>This Inner Loop Header: Depth=1
	s_load_dwordx2 s[18:19], s[2:3], 0x4
	s_load_dword s17, s[2:3], 0xc
	s_load_dwordx2 s[20:21], s[0:1], 0x0
	v_mov_b32_e32 v0, v3
	s_add_u32 s2, s2, 12
	s_waitcnt lgkmcnt(0)
	v_mul_hi_u32 v3, s19, v1
	v_add_u32_e32 v3, v1, v3
	v_lshrrev_b32_e32 v3, s17, v3
	s_addc_u32 s3, s3, 0
	v_mul_lo_u32 v4, v3, s18
	s_add_u32 s0, s0, 8
	s_waitcnt vmcnt(0)
	v_sub_u32_e32 v6, v1, v4
	v_mov_b32_e32 v1, v3
	s_addc_u32 s1, s1, 0
	s_add_i32 s16, s16, -1
	v_mad_u64_u32 v[4:5], s[18:19], v6, s21, v[0:1]
	v_mad_u64_u32 v[2:3], s[18:19], v6, s20, v[2:3]
	s_cmp_lg_u32 s16, 0
	v_mov_b32_e32 v3, v4
	s_cbranch_scc1 .LBB8_838
; %bb.839:
	v_mov_b32_e32 v0, v3
.LBB8_840:
	s_mov_b64 s[0:1], 0
.LBB8_841:
	s_andn2_b64 vcc, exec, s[0:1]
	s_cbranch_vccnz .LBB8_844
; %bb.842:
	v_mul_hi_u32 v0, s37, v12
	v_add_u32_e32 v0, v12, v0
	v_lshrrev_b32_e32 v1, s38, v0
	v_mul_lo_u32 v0, v1, s36
	v_sub_u32_e32 v2, v12, v0
	v_mul_lo_u32 v0, v2, s41
	s_andn2_b64 vcc, exec, s[50:51]
	v_mul_lo_u32 v2, v2, s40
	s_cbranch_vccnz .LBB8_844
; %bb.843:
	v_mul_hi_u32 v3, s48, v1
	v_add_u32_e32 v3, v1, v3
	v_lshrrev_b32_e32 v3, s49, v3
	v_mul_lo_u32 v3, v3, s39
	v_sub_u32_e32 v1, v1, v3
	v_mad_u64_u32 v[2:3], s[0:1], v1, s42, v[2:3]
	v_mad_u64_u32 v[0:1], s[0:1], v1, s43, v[0:1]
.LBB8_844:
	v_mov_b32_e32 v1, s11
	v_add_co_u32_e32 v0, vcc, s10, v0
	v_addc_co_u32_e32 v1, vcc, 0, v1, vcc
	v_cmp_gt_i16_e32 vcc, 11, v8
	s_cbranch_vccnz .LBB8_851
; %bb.845:
	v_cmp_lt_i16_e32 vcc, 25, v8
	s_mov_b64 s[2:3], 0
	s_cbranch_vccz .LBB8_852
; %bb.846:
	v_cmp_lt_i16_e32 vcc, 28, v8
	s_cbranch_vccz .LBB8_853
; %bb.847:
	v_cmp_lt_i16_e32 vcc, 43, v8
	;; [unrolled: 3-line block ×3, first 2 shown]
	s_cbranch_vccz .LBB8_857
; %bb.849:
	v_cmp_eq_u16_e32 vcc, 46, v8
	s_mov_b64 s[16:17], 0
	s_cbranch_vccz .LBB8_860
; %bb.850:
	global_load_dword v3, v[0:1], off
	s_mov_b64 s[0:1], 0
	s_mov_b64 s[10:11], -1
	s_waitcnt vmcnt(0)
	v_lshlrev_b32_e32 v3, 16, v3
	v_cvt_f64_f32_e32 v[6:7], v3
	s_branch .LBB8_861
.LBB8_851:
	s_mov_b64 s[16:17], -1
	s_mov_b64 s[10:11], 0
	s_mov_b64 s[2:3], 0
	;; [unrolled: 1-line block ×3, first 2 shown]
                                        ; implicit-def: $vgpr6_vgpr7
	s_branch .LBB8_924
.LBB8_852:
	s_mov_b64 s[16:17], -1
	s_mov_b64 s[10:11], 0
	s_mov_b64 s[0:1], s[70:71]
                                        ; implicit-def: $vgpr6_vgpr7
	s_branch .LBB8_890
.LBB8_853:
	s_mov_b64 s[16:17], -1
	s_mov_b64 s[10:11], 0
	s_mov_b64 s[0:1], s[70:71]
                                        ; implicit-def: $vgpr6_vgpr7
	s_branch .LBB8_871
.LBB8_854:
	s_mov_b64 s[16:17], -1
	s_mov_b64 s[10:11], 0
	s_mov_b64 s[0:1], s[70:71]
                                        ; implicit-def: $vgpr6_vgpr7
	s_branch .LBB8_866
.LBB8_855:
	s_or_saveexec_b64 s[20:21], s[20:21]
                                        ; implicit-def: $sgpr22
	s_xor_b64 exec, exec, s[20:21]
	s_cbranch_execz .LBB8_734
.LBB8_856:
	s_mov_b32 s22, 0x46000000
	v_add_f32_e64 v3, |v2|, s22
	v_and_b32_e32 v3, 0xff, v3
	v_cmp_ne_u32_e32 vcc, 0, v3
	s_andn2_b64 s[18:19], s[18:19], exec
	s_and_b64 s[24:25], vcc, exec
	s_mov_b32 s22, 0
	s_or_b64 s[18:19], s[18:19], s[24:25]
	s_or_b64 exec, exec, s[20:21]
	v_mov_b32_e32 v6, s22
	s_and_saveexec_b64 s[20:21], s[18:19]
	s_cbranch_execnz .LBB8_735
	s_branch .LBB8_736
.LBB8_857:
	s_mov_b64 s[16:17], -1
	s_mov_b64 s[10:11], 0
	s_mov_b64 s[0:1], s[70:71]
                                        ; implicit-def: $vgpr6_vgpr7
	s_branch .LBB8_861
.LBB8_858:
	s_or_saveexec_b64 s[20:21], s[20:21]
                                        ; implicit-def: $sgpr22
	s_xor_b64 exec, exec, s[20:21]
	s_cbranch_execz .LBB8_747
.LBB8_859:
	s_mov_b32 s22, 0x42800000
	v_add_f32_e64 v3, |v2|, s22
	v_and_b32_e32 v3, 0xff, v3
	v_cmp_ne_u32_e32 vcc, 0, v3
	s_andn2_b64 s[18:19], s[18:19], exec
	s_and_b64 s[24:25], vcc, exec
	s_mov_b32 s22, 0
	s_or_b64 s[18:19], s[18:19], s[24:25]
	s_or_b64 exec, exec, s[20:21]
	v_mov_b32_e32 v6, s22
	s_and_saveexec_b64 s[20:21], s[18:19]
	s_cbranch_execnz .LBB8_748
	s_branch .LBB8_749
.LBB8_860:
	s_mov_b64 s[0:1], -1
                                        ; implicit-def: $vgpr6_vgpr7
	s_mov_b64 s[10:11], 0
.LBB8_861:
	s_and_b64 vcc, exec, s[16:17]
	s_cbranch_vccz .LBB8_865
; %bb.862:
	v_cmp_eq_u16_e32 vcc, 44, v8
	s_cbranch_vccz .LBB8_864
; %bb.863:
	global_load_ubyte v3, v[0:1], off
	s_movk_i32 s10, 0xff
	s_waitcnt vmcnt(1)
	v_bfrev_b32_e32 v6, 4
	v_mov_b32_e32 v7, 0x7ff80000
	v_bfrev_b32_e32 v9, 28
	s_mov_b64 s[0:1], 0
	s_waitcnt vmcnt(0)
	v_lshlrev_b32_e32 v4, 23, v3
	v_cvt_f64_f32_e32 v[4:5], v4
	v_cmp_ne_u32_e32 vcc, s10, v3
	v_cndmask_b32_e32 v4, v6, v4, vcc
	v_cndmask_b32_e32 v5, v7, v5, vcc
	v_cmp_ne_u32_e32 vcc, 0, v3
	v_cndmask_b32_e32 v7, v9, v5, vcc
	v_cndmask_b32_e32 v6, 0, v4, vcc
	s_mov_b64 s[10:11], -1
	s_branch .LBB8_865
.LBB8_864:
	s_mov_b64 s[0:1], -1
                                        ; implicit-def: $vgpr6_vgpr7
.LBB8_865:
	s_mov_b64 s[16:17], 0
.LBB8_866:
	s_and_b64 vcc, exec, s[16:17]
	s_cbranch_vccz .LBB8_870
; %bb.867:
	v_cmp_eq_u16_e32 vcc, 29, v8
	s_cbranch_vccz .LBB8_869
; %bb.868:
	global_load_dwordx2 v[4:5], v[0:1], off
	s_mov_b64 s[0:1], 0
	s_mov_b64 s[10:11], -1
	s_mov_b64 s[16:17], 0
	s_waitcnt vmcnt(0)
	v_cvt_f64_u32_e32 v[6:7], v5
	v_cvt_f64_u32_e32 v[4:5], v4
	v_ldexp_f64 v[6:7], v[6:7], 32
	v_add_f64 v[6:7], v[6:7], v[4:5]
	s_branch .LBB8_871
.LBB8_869:
	s_mov_b64 s[0:1], -1
                                        ; implicit-def: $vgpr6_vgpr7
.LBB8_870:
	s_mov_b64 s[16:17], 0
.LBB8_871:
	s_and_b64 vcc, exec, s[16:17]
	s_cbranch_vccz .LBB8_889
; %bb.872:
	v_cmp_gt_i16_e32 vcc, 27, v8
	s_cbranch_vccnz .LBB8_875
; %bb.873:
	v_cmp_lt_i16_e32 vcc, 27, v8
	s_cbranch_vccz .LBB8_876
; %bb.874:
	global_load_dword v3, v[0:1], off
	s_mov_b64 s[10:11], 0
	s_waitcnt vmcnt(0)
	v_cvt_f64_u32_e32 v[6:7], v3
	s_branch .LBB8_877
.LBB8_875:
	s_mov_b64 s[10:11], -1
                                        ; implicit-def: $vgpr6_vgpr7
	s_branch .LBB8_880
.LBB8_876:
	s_mov_b64 s[10:11], -1
                                        ; implicit-def: $vgpr6_vgpr7
.LBB8_877:
	s_andn2_b64 vcc, exec, s[10:11]
	s_cbranch_vccnz .LBB8_879
; %bb.878:
	global_load_ushort v3, v[0:1], off
	s_waitcnt vmcnt(0)
	v_cvt_f64_u32_e32 v[6:7], v3
.LBB8_879:
	s_mov_b64 s[10:11], 0
.LBB8_880:
	s_andn2_b64 vcc, exec, s[10:11]
	s_cbranch_vccnz .LBB8_888
; %bb.881:
	global_load_ubyte v3, v[0:1], off
	s_movk_i32 s10, 0x7f
                                        ; implicit-def: $sgpr16_sgpr17
	s_waitcnt vmcnt(0)
	v_cmp_lt_i16_e32 vcc, s10, v3
	s_mov_b64 s[10:11], 0
	s_and_saveexec_b64 s[18:19], vcc
	s_xor_b64 s[18:19], exec, s[18:19]
	s_cbranch_execz .LBB8_902
; %bb.882:
	s_movk_i32 s10, 0x80
	v_cmp_eq_u16_e32 vcc, s10, v3
	s_mov_b64 s[20:21], -1
                                        ; implicit-def: $sgpr16_sgpr17
	s_and_saveexec_b64 s[10:11], vcc
; %bb.883:
	s_mov_b32 s17, 0x7ff80000
	s_brev_b32 s16, 4
	s_xor_b64 s[20:21], exec, -1
; %bb.884:
	s_or_b64 exec, exec, s[10:11]
	s_and_b64 s[10:11], s[20:21], exec
	s_or_saveexec_b64 s[18:19], s[18:19]
	v_pk_mov_b32 v[6:7], s[16:17], s[16:17] op_sel:[0,1]
	s_xor_b64 exec, exec, s[18:19]
	s_cbranch_execnz .LBB8_903
.LBB8_885:
	s_or_b64 exec, exec, s[18:19]
	s_and_saveexec_b64 s[16:17], s[10:11]
	s_cbranch_execz .LBB8_887
.LBB8_886:
	v_lshlrev_b32_e32 v4, 24, v3
	v_and_b32_e32 v3, 0xffff, v3
	v_and_b32_e32 v5, 7, v3
	v_ffbh_u32_e32 v7, v5
	v_min_u32_e32 v7, 32, v7
	v_subrev_u32_e32 v9, 28, v7
	v_bfe_u32 v6, v3, 3, 4
	v_lshlrev_b32_e32 v3, v9, v3
	v_sub_u32_e32 v7, 29, v7
	v_and_b32_e32 v3, 7, v3
	v_cmp_eq_u32_e32 vcc, 0, v6
	v_cndmask_b32_e32 v6, v6, v7, vcc
	v_cndmask_b32_e32 v3, v5, v3, vcc
	v_mov_b32_e32 v5, 0x3b800000
	v_lshlrev_b32_e32 v3, 20, v3
	v_and_b32_e32 v4, 0x80000000, v4
	v_lshl_add_u32 v5, v6, 23, v5
	v_or3_b32 v3, v4, v5, v3
	v_cvt_f64_f32_e32 v[6:7], v3
.LBB8_887:
	s_or_b64 exec, exec, s[16:17]
.LBB8_888:
	s_mov_b64 s[10:11], -1
.LBB8_889:
	s_mov_b64 s[16:17], 0
.LBB8_890:
	s_and_b64 vcc, exec, s[16:17]
	s_cbranch_vccz .LBB8_923
; %bb.891:
	v_cmp_lt_i16_e32 vcc, 22, v8
	s_cbranch_vccz .LBB8_901
; %bb.892:
	v_cmp_gt_i16_e32 vcc, 24, v8
	s_cbranch_vccnz .LBB8_904
; %bb.893:
	v_cmp_lt_i16_e32 vcc, 24, v8
	s_cbranch_vccz .LBB8_905
; %bb.894:
	global_load_ubyte v3, v[0:1], off
	s_movk_i32 s2, 0x7f
                                        ; implicit-def: $sgpr10_sgpr11
	s_waitcnt vmcnt(0)
	v_cmp_lt_i16_e32 vcc, s2, v3
	s_mov_b64 s[2:3], 0
	s_and_saveexec_b64 s[16:17], vcc
	s_xor_b64 s[16:17], exec, s[16:17]
	s_cbranch_execz .LBB8_917
; %bb.895:
	s_movk_i32 s2, 0x80
	v_cmp_eq_u16_e32 vcc, s2, v3
	s_mov_b64 s[18:19], -1
                                        ; implicit-def: $sgpr10_sgpr11
	s_and_saveexec_b64 s[2:3], vcc
; %bb.896:
	s_mov_b32 s11, 0x7ff80000
	s_brev_b32 s10, 4
	s_xor_b64 s[18:19], exec, -1
; %bb.897:
	s_or_b64 exec, exec, s[2:3]
	s_and_b64 s[2:3], s[18:19], exec
	s_or_saveexec_b64 s[16:17], s[16:17]
	v_pk_mov_b32 v[6:7], s[10:11], s[10:11] op_sel:[0,1]
	s_xor_b64 exec, exec, s[16:17]
	s_cbranch_execnz .LBB8_918
.LBB8_898:
	s_or_b64 exec, exec, s[16:17]
	s_and_saveexec_b64 s[10:11], s[2:3]
	s_cbranch_execz .LBB8_900
.LBB8_899:
	v_lshlrev_b32_e32 v4, 24, v3
	v_and_b32_e32 v3, 0xffff, v3
	v_and_b32_e32 v5, 3, v3
	v_ffbh_u32_e32 v7, v5
	v_min_u32_e32 v7, 32, v7
	v_subrev_u32_e32 v9, 29, v7
	v_bfe_u32 v6, v3, 2, 5
	v_lshlrev_b32_e32 v3, v9, v3
	v_sub_u32_e32 v7, 30, v7
	v_and_b32_e32 v3, 3, v3
	v_cmp_eq_u32_e32 vcc, 0, v6
	v_cndmask_b32_e32 v6, v6, v7, vcc
	v_cndmask_b32_e32 v3, v5, v3, vcc
	v_mov_b32_e32 v5, 0x37800000
	v_lshlrev_b32_e32 v3, 21, v3
	v_and_b32_e32 v4, 0x80000000, v4
	v_lshl_add_u32 v5, v6, 23, v5
	v_or3_b32 v3, v4, v5, v3
	v_cvt_f64_f32_e32 v[6:7], v3
.LBB8_900:
	s_or_b64 exec, exec, s[10:11]
	s_mov_b64 s[2:3], 0
	s_branch .LBB8_906
.LBB8_901:
	s_mov_b64 s[2:3], -1
                                        ; implicit-def: $vgpr6_vgpr7
	s_branch .LBB8_912
.LBB8_902:
	s_or_saveexec_b64 s[18:19], s[18:19]
	v_pk_mov_b32 v[6:7], s[16:17], s[16:17] op_sel:[0,1]
	s_xor_b64 exec, exec, s[18:19]
	s_cbranch_execz .LBB8_885
.LBB8_903:
	v_cmp_ne_u16_e32 vcc, 0, v3
	s_andn2_b64 s[10:11], s[10:11], exec
	s_and_b64 s[16:17], vcc, exec
	v_pk_mov_b32 v[6:7], 0, 0
	s_or_b64 s[10:11], s[10:11], s[16:17]
	s_or_b64 exec, exec, s[18:19]
	s_and_saveexec_b64 s[16:17], s[10:11]
	s_cbranch_execnz .LBB8_886
	s_branch .LBB8_887
.LBB8_904:
	s_mov_b64 s[2:3], -1
                                        ; implicit-def: $vgpr6_vgpr7
	s_branch .LBB8_909
.LBB8_905:
	s_mov_b64 s[2:3], -1
                                        ; implicit-def: $vgpr6_vgpr7
.LBB8_906:
	s_and_b64 vcc, exec, s[2:3]
	s_cbranch_vccz .LBB8_908
; %bb.907:
	global_load_ubyte v3, v[0:1], off
	s_mov_b32 s2, 0x7f800000
	s_waitcnt vmcnt(0)
	v_lshlrev_b32_e32 v3, 24, v3
	v_and_b32_e32 v4, 0x7f000000, v3
	v_ffbh_u32_e32 v5, v4
	v_min_u32_e32 v5, 32, v5
	v_sub_u32_e64 v5, v5, 4 clamp
	v_lshlrev_b32_e32 v7, v5, v4
	v_lshlrev_b32_e32 v5, 23, v5
	v_lshrrev_b32_e32 v7, 4, v7
	v_add_u32_e32 v6, 0x1000000, v4
	v_sub_u32_e32 v5, v7, v5
	v_ashrrev_i32_e32 v6, 8, v6
	v_add_u32_e32 v5, 0x3c000000, v5
	v_and_or_b32 v5, v6, s2, v5
	v_cmp_ne_u32_e32 vcc, 0, v4
	v_cndmask_b32_e32 v4, 0, v5, vcc
	s_brev_b32 s2, 1
	v_and_or_b32 v3, v3, s2, v4
	v_cvt_f64_f32_e32 v[6:7], v3
.LBB8_908:
	s_mov_b64 s[2:3], 0
.LBB8_909:
	s_andn2_b64 vcc, exec, s[2:3]
	s_cbranch_vccnz .LBB8_911
; %bb.910:
	global_load_ubyte v3, v[0:1], off
	s_movk_i32 s2, 0x7f00
	s_brev_b32 s3, 16
	s_waitcnt vmcnt(0)
	v_lshlrev_b16_e32 v4, 8, v3
	v_lshlrev_b32_e32 v3, 25, v3
	v_lshrrev_b32_e32 v5, 4, v3
	v_and_or_b32 v6, v4, s2, 0.5
	v_or_b32_e32 v5, 0x70000000, v5
	v_add_f32_e32 v6, -0.5, v6
	v_mul_f32_e32 v5, 0x7800000, v5
	v_cmp_gt_u32_e32 vcc, s3, v3
	v_bfe_i32 v4, v4, 0, 16
	v_cndmask_b32_e32 v3, v5, v6, vcc
	s_brev_b32 s2, 1
	v_and_or_b32 v3, v4, s2, v3
	v_cvt_f64_f32_e32 v[6:7], v3
.LBB8_911:
	s_mov_b64 s[2:3], 0
	s_mov_b64 s[10:11], -1
.LBB8_912:
	s_andn2_b64 vcc, exec, s[2:3]
	s_mov_b64 s[2:3], 0
	s_cbranch_vccnz .LBB8_923
; %bb.913:
	v_cmp_lt_i16_e32 vcc, 14, v8
	s_cbranch_vccz .LBB8_916
; %bb.914:
	v_cmp_eq_u16_e32 vcc, 15, v8
	s_cbranch_vccz .LBB8_919
; %bb.915:
	global_load_ushort v3, v[0:1], off
	s_mov_b64 s[0:1], 0
	s_mov_b64 s[10:11], -1
	s_waitcnt vmcnt(0)
	v_lshlrev_b32_e32 v3, 16, v3
	v_cvt_f64_f32_e32 v[6:7], v3
	s_branch .LBB8_920
.LBB8_916:
	s_mov_b64 s[16:17], -1
                                        ; implicit-def: $vgpr6_vgpr7
	s_branch .LBB8_921
.LBB8_917:
	s_or_saveexec_b64 s[16:17], s[16:17]
	v_pk_mov_b32 v[6:7], s[10:11], s[10:11] op_sel:[0,1]
	s_xor_b64 exec, exec, s[16:17]
	s_cbranch_execz .LBB8_898
.LBB8_918:
	v_cmp_ne_u16_e32 vcc, 0, v3
	s_andn2_b64 s[2:3], s[2:3], exec
	s_and_b64 s[10:11], vcc, exec
	v_pk_mov_b32 v[6:7], 0, 0
	s_or_b64 s[2:3], s[2:3], s[10:11]
	s_or_b64 exec, exec, s[16:17]
	s_and_saveexec_b64 s[10:11], s[2:3]
	s_cbranch_execnz .LBB8_899
	s_branch .LBB8_900
.LBB8_919:
	s_mov_b64 s[0:1], -1
                                        ; implicit-def: $vgpr6_vgpr7
.LBB8_920:
	s_mov_b64 s[16:17], 0
.LBB8_921:
	s_and_b64 vcc, exec, s[16:17]
	s_cbranch_vccz .LBB8_923
; %bb.922:
	v_cmp_ne_u16_e32 vcc, 11, v8
	s_andn2_b64 s[0:1], s[0:1], exec
	s_and_b64 s[16:17], vcc, exec
	s_mov_b64 s[2:3], -1
	s_or_b64 s[0:1], s[0:1], s[16:17]
                                        ; implicit-def: $vgpr6_vgpr7
.LBB8_923:
	s_mov_b64 s[16:17], 0
.LBB8_924:
	s_and_b64 s[18:19], s[10:11], exec
	s_andn2_b64 s[10:11], s[70:71], exec
	s_and_b64 s[0:1], s[0:1], exec
	s_and_b64 s[16:17], s[16:17], exec
	;; [unrolled: 1-line block ×3, first 2 shown]
	s_or_b64 s[20:21], s[10:11], s[0:1]
.LBB8_925:
	s_or_b64 exec, exec, s[74:75]
	s_and_b64 s[0:1], s[2:3], exec
	s_andn2_b64 s[2:3], s[70:71], exec
	s_and_b64 s[10:11], s[20:21], exec
	s_and_b64 s[18:19], s[18:19], exec
	s_and_b64 s[16:17], s[16:17], exec
	s_or_b64 s[70:71], s[2:3], s[10:11]
.LBB8_926:
	s_or_b64 exec, exec, s[68:69]
	s_andn2_b64 s[2:3], s[64:65], exec
	s_and_b64 s[10:11], s[72:73], exec
	s_or_b64 s[64:65], s[2:3], s[10:11]
	s_and_b64 s[2:3], s[0:1], exec
	s_andn2_b64 s[0:1], s[62:63], exec
	s_and_b64 s[10:11], s[70:71], exec
	s_and_b64 s[18:19], s[18:19], exec
	s_and_b64 s[16:17], s[16:17], exec
	s_or_b64 s[62:63], s[0:1], s[10:11]
.LBB8_927:
	s_or_b64 exec, exec, s[66:67]
	s_andn2_b64 s[0:1], s[56:57], exec
	s_and_b64 s[10:11], s[64:65], exec
	s_or_b64 s[56:57], s[0:1], s[10:11]
	s_and_b64 s[64:65], s[2:3], exec
	s_andn2_b64 s[2:3], s[58:59], exec
	s_and_b64 s[10:11], s[62:63], exec
	s_and_b64 s[0:1], s[18:19], exec
	;; [unrolled: 1-line block ×3, first 2 shown]
	s_or_b64 s[58:59], s[2:3], s[10:11]
	s_or_b64 exec, exec, s[60:61]
	s_mov_b64 s[2:3], 0
	s_and_saveexec_b64 s[10:11], s[58:59]
	s_cbranch_execz .LBB8_278
.LBB8_928:
	s_mov_b64 s[2:3], exec
	s_andn2_b64 s[64:65], s[64:65], exec
	s_trap 2
                                        ; implicit-def: $vgpr6_vgpr7
	s_or_b64 exec, exec, s[10:11]
	s_and_saveexec_b64 s[10:11], s[64:65]
	s_xor_b64 s[10:11], exec, s[10:11]
	s_cbranch_execnz .LBB8_279
.LBB8_929:
	s_or_b64 exec, exec, s[10:11]
	s_and_saveexec_b64 s[10:11], s[16:17]
	s_cbranch_execz .LBB8_975
.LBB8_930:
	v_cmp_gt_i16_e32 vcc, 5, v8
	s_cbranch_vccnz .LBB8_935
; %bb.931:
	v_cmp_gt_i16_e32 vcc, 8, v8
	s_cbranch_vccnz .LBB8_936
; %bb.932:
	;; [unrolled: 3-line block ×3, first 2 shown]
	v_cmp_lt_i16_e32 vcc, 9, v8
	s_cbranch_vccz .LBB8_938
; %bb.934:
	global_load_dwordx2 v[6:7], v[0:1], off
	s_mov_b64 s[16:17], 0
	s_branch .LBB8_939
.LBB8_935:
                                        ; implicit-def: $vgpr6_vgpr7
	s_branch .LBB8_956
.LBB8_936:
                                        ; implicit-def: $vgpr6_vgpr7
	s_branch .LBB8_945
.LBB8_937:
	s_mov_b64 s[16:17], -1
                                        ; implicit-def: $vgpr6_vgpr7
	s_branch .LBB8_942
.LBB8_938:
	s_mov_b64 s[16:17], -1
                                        ; implicit-def: $vgpr6_vgpr7
.LBB8_939:
	s_andn2_b64 vcc, exec, s[16:17]
	s_cbranch_vccnz .LBB8_941
; %bb.940:
	global_load_dword v3, v[0:1], off
	s_waitcnt vmcnt(0)
	v_cvt_f64_f32_e32 v[6:7], v3
.LBB8_941:
	s_mov_b64 s[16:17], 0
.LBB8_942:
	s_andn2_b64 vcc, exec, s[16:17]
	s_cbranch_vccnz .LBB8_944
; %bb.943:
	global_load_dword v3, v[0:1], off
	s_waitcnt vmcnt(0)
	v_cvt_f32_f16_e32 v3, v3
	v_cvt_f64_f32_e32 v[6:7], v3
.LBB8_944:
	s_cbranch_execnz .LBB8_955
.LBB8_945:
	v_cmp_gt_i16_e32 vcc, 6, v8
	s_cbranch_vccnz .LBB8_948
; %bb.946:
	v_cmp_lt_i16_e32 vcc, 6, v8
	s_cbranch_vccz .LBB8_949
; %bb.947:
	global_load_dwordx2 v[6:7], v[0:1], off
	s_mov_b64 s[16:17], 0
	s_branch .LBB8_950
.LBB8_948:
	s_mov_b64 s[16:17], -1
                                        ; implicit-def: $vgpr6_vgpr7
	s_branch .LBB8_953
.LBB8_949:
	s_mov_b64 s[16:17], -1
                                        ; implicit-def: $vgpr6_vgpr7
.LBB8_950:
	s_andn2_b64 vcc, exec, s[16:17]
	s_cbranch_vccnz .LBB8_952
; %bb.951:
	global_load_dword v3, v[0:1], off
	s_waitcnt vmcnt(0)
	v_cvt_f64_f32_e32 v[6:7], v3
.LBB8_952:
	s_mov_b64 s[16:17], 0
.LBB8_953:
	s_andn2_b64 vcc, exec, s[16:17]
	s_cbranch_vccnz .LBB8_955
; %bb.954:
	global_load_ushort v3, v[0:1], off
	s_waitcnt vmcnt(0)
	v_cvt_f32_f16_e32 v3, v3
	v_cvt_f64_f32_e32 v[6:7], v3
.LBB8_955:
	s_cbranch_execnz .LBB8_974
.LBB8_956:
	v_cmp_gt_i16_e32 vcc, 2, v8
	s_cbranch_vccnz .LBB8_960
; %bb.957:
	v_cmp_gt_i16_e32 vcc, 3, v8
	s_cbranch_vccnz .LBB8_961
; %bb.958:
	v_cmp_lt_i16_e32 vcc, 3, v8
	s_cbranch_vccz .LBB8_962
; %bb.959:
	global_load_dwordx2 v[4:5], v[0:1], off
	s_mov_b64 s[16:17], 0
	s_waitcnt vmcnt(0)
	v_cvt_f64_i32_e32 v[6:7], v5
	v_cvt_f64_u32_e32 v[4:5], v4
	v_ldexp_f64 v[6:7], v[6:7], 32
	v_add_f64 v[6:7], v[6:7], v[4:5]
	s_branch .LBB8_963
.LBB8_960:
                                        ; implicit-def: $vgpr6_vgpr7
	s_branch .LBB8_969
.LBB8_961:
	s_mov_b64 s[16:17], -1
                                        ; implicit-def: $vgpr6_vgpr7
	s_branch .LBB8_966
.LBB8_962:
	s_mov_b64 s[16:17], -1
                                        ; implicit-def: $vgpr6_vgpr7
.LBB8_963:
	s_andn2_b64 vcc, exec, s[16:17]
	s_cbranch_vccnz .LBB8_965
; %bb.964:
	global_load_dword v3, v[0:1], off
	s_waitcnt vmcnt(0)
	v_cvt_f64_i32_e32 v[6:7], v3
.LBB8_965:
	s_mov_b64 s[16:17], 0
.LBB8_966:
	s_andn2_b64 vcc, exec, s[16:17]
	s_cbranch_vccnz .LBB8_968
; %bb.967:
	global_load_sshort v3, v[0:1], off
	s_waitcnt vmcnt(0)
	v_cvt_f64_i32_e32 v[6:7], v3
.LBB8_968:
	s_cbranch_execnz .LBB8_974
.LBB8_969:
	v_cmp_lt_i16_e32 vcc, 0, v8
	s_cbranch_vccz .LBB8_971
; %bb.970:
	global_load_sbyte v3, v[0:1], off
	s_mov_b64 s[16:17], 0
	s_waitcnt vmcnt(0)
	v_cvt_f64_i32_e32 v[6:7], v3
	s_branch .LBB8_972
.LBB8_971:
	s_mov_b64 s[16:17], -1
                                        ; implicit-def: $vgpr6_vgpr7
.LBB8_972:
	s_andn2_b64 vcc, exec, s[16:17]
	s_cbranch_vccnz .LBB8_974
; %bb.973:
	global_load_ubyte v0, v[0:1], off
	s_waitcnt vmcnt(0)
	v_cvt_f64_u32_e32 v[6:7], v0
.LBB8_974:
	s_or_b64 s[0:1], s[0:1], exec
.LBB8_975:
	s_or_b64 exec, exec, s[10:11]
	s_mov_b64 s[18:19], 0
	s_mov_b64 s[16:17], 0
                                        ; implicit-def: $vgpr8
                                        ; implicit-def: $vgpr4_vgpr5
                                        ; implicit-def: $vgpr0_vgpr1
	s_and_saveexec_b64 s[10:11], s[0:1]
	s_cbranch_execz .LBB8_1052
; %bb.976:
	s_waitcnt vmcnt(0)
	v_cvt_f32_f64_e32 v0, v[6:7]
	s_mov_b32 s0, 0x7f800000
	v_cmp_nlg_f32_e64 s[16:17], |v0|, s0
	s_and_saveexec_b64 s[0:1], s[16:17]
	s_cbranch_execz .LBB8_978
; %bb.977:
	v_mov_b32_e32 v0, 0
	v_mov_b32_e32 v1, 1.0
	global_store_dword v0, v1, s[12:13]
.LBB8_978:
	s_or_b64 exec, exec, s[0:1]
	v_mov_b32_e32 v0, 0
	global_load_dword v3, v0, s[14:15]
	v_mov_b32_e32 v0, s9
	v_mov_b32_e32 v1, 0xff
	v_add_co_u32_e32 v4, vcc, s8, v2
	v_addc_co_u32_e32 v5, vcc, 0, v0, vcc
	v_and_b32_e32 v8, s79, v1
	v_cmp_gt_i16_e32 vcc, 11, v8
	s_and_b64 vcc, exec, vcc
	s_waitcnt vmcnt(0)
	v_cvt_f64_f32_e32 v[0:1], v3
	v_mul_f64 v[0:1], v[6:7], v[0:1]
	v_cmp_eq_f32_e64 s[0:1], 1.0, v3
	v_cndmask_b32_e64 v1, v1, v7, s[0:1]
	v_cndmask_b32_e64 v0, v0, v6, s[0:1]
	s_cbranch_vccnz .LBB8_1055
; %bb.979:
	v_cmp_lt_i16_e32 vcc, 25, v8
	s_mov_b64 s[12:13], -1
	s_mov_b64 s[0:1], s[56:57]
	s_cbranch_vccz .LBB8_1012
; %bb.980:
	v_cmp_lt_i16_e32 vcc, 28, v8
	s_mov_b64 s[8:9], -1
	s_mov_b64 s[0:1], s[56:57]
	s_cbranch_vccz .LBB8_996
; %bb.981:
	v_cmp_lt_i16_e32 vcc, 43, v8
	s_mov_b64 s[0:1], s[56:57]
	s_cbranch_vccz .LBB8_992
; %bb.982:
	v_cmp_lt_i16_e32 vcc, 45, v8
	s_mov_b64 s[0:1], s[56:57]
	s_cbranch_vccz .LBB8_986
; %bb.983:
	v_cmp_eq_u16_e32 vcc, 46, v8
	s_mov_b64 s[0:1], -1
	s_cbranch_vccz .LBB8_985
; %bb.984:
	v_cvt_f32_f64_e32 v2, v[0:1]
	v_bfe_u32 v3, v2, 16, 1
	s_movk_i32 s0, 0x7fff
	v_add3_u32 v3, v2, v3, s0
	v_lshrrev_b32_e32 v3, 16, v3
	v_mov_b32_e32 v6, 0x7fc0
	v_cmp_o_f32_e32 vcc, v2, v2
	v_cndmask_b32_e32 v2, v6, v3, vcc
	global_store_dword v[4:5], v2, off
	s_mov_b64 s[0:1], 0
.LBB8_985:
	s_mov_b64 s[8:9], 0
.LBB8_986:
	s_and_b64 vcc, exec, s[8:9]
	s_cbranch_vccz .LBB8_991
; %bb.987:
	v_cmp_eq_u16_e32 vcc, 44, v8
	s_mov_b64 s[0:1], -1
	s_cbranch_vccz .LBB8_991
; %bb.988:
	v_cvt_f32_f64_e32 v2, v[0:1]
	v_bfe_u32 v3, v2, 23, 8
	s_movk_i32 s0, 0xff
	v_cmp_ne_u32_e32 vcc, s0, v3
	v_mov_b32_e32 v6, 0xff
	s_and_saveexec_b64 s[8:9], vcc
; %bb.989:
	s_mov_b32 s0, 0x3fffff
	v_lshrrev_b32_e32 v6, 23, v2
	v_and_b32_e32 v7, 0x400000, v2
	v_and_or_b32 v2, v2, s0, v3
	v_cmp_ne_u32_e32 vcc, 0, v7
	v_cmp_ne_u32_e64 s[0:1], 0, v2
	s_and_b64 s[0:1], vcc, s[0:1]
	v_cndmask_b32_e64 v2, 0, 1, s[0:1]
	v_add_u32_e32 v6, v6, v2
; %bb.990:
	s_or_b64 exec, exec, s[8:9]
	s_mov_b64 s[0:1], 0
	global_store_byte v[4:5], v6, off
.LBB8_991:
	s_mov_b64 s[8:9], 0
.LBB8_992:
	s_and_b64 vcc, exec, s[8:9]
	s_cbranch_vccz .LBB8_995
; %bb.993:
	v_cmp_eq_u16_e32 vcc, 29, v8
	s_mov_b64 s[0:1], -1
	s_cbranch_vccz .LBB8_995
; %bb.994:
	v_trunc_f64_e32 v[2:3], v[0:1]
	s_movk_i32 s0, 0xffe0
	v_ldexp_f64 v[6:7], v[2:3], s0
	v_floor_f64_e32 v[6:7], v[6:7]
	v_fmac_f64_e32 v[2:3], 0xc1f00000, v[6:7]
	v_cvt_u32_f64_e32 v11, v[6:7]
	v_cvt_u32_f64_e32 v10, v[2:3]
	global_store_dwordx2 v[4:5], v[10:11], off
	s_mov_b64 s[0:1], 0
.LBB8_995:
	s_mov_b64 s[8:9], 0
.LBB8_996:
	s_and_b64 vcc, exec, s[8:9]
	s_cbranch_vccz .LBB8_1011
; %bb.997:
	v_cmp_gt_i16_e32 vcc, 27, v8
	s_mov_b64 s[8:9], -1
	s_cbranch_vccnz .LBB8_1003
; %bb.998:
	v_cmp_lt_i16_e32 vcc, 27, v8
	s_cbranch_vccz .LBB8_1000
; %bb.999:
	v_cvt_u32_f64_e32 v2, v[0:1]
	s_mov_b64 s[8:9], 0
	global_store_dword v[4:5], v2, off
.LBB8_1000:
	s_andn2_b64 vcc, exec, s[8:9]
	s_cbranch_vccnz .LBB8_1002
; %bb.1001:
	v_cvt_u32_f64_e32 v2, v[0:1]
	global_store_short v[4:5], v2, off
.LBB8_1002:
	s_mov_b64 s[8:9], 0
.LBB8_1003:
	s_andn2_b64 vcc, exec, s[8:9]
	s_cbranch_vccnz .LBB8_1011
; %bb.1004:
	v_cvt_f32_f64_e32 v2, v[0:1]
	v_and_b32_e32 v3, 0x7fffffff, v2
	s_mov_b32 s8, 0x43800000
	v_cmp_gt_u32_e32 vcc, s8, v3
	v_mov_b32_e32 v6, 0x80
	s_and_saveexec_b64 s[8:9], vcc
	s_cbranch_execz .LBB8_1010
; %bb.1005:
	s_mov_b32 s12, 0x3bffffff
	v_cmp_lt_u32_e32 vcc, s12, v3
	s_mov_b64 s[12:13], 0
                                        ; implicit-def: $vgpr3
	s_and_saveexec_b64 s[14:15], vcc
	s_xor_b64 s[14:15], exec, s[14:15]
	s_cbranch_execz .LBB8_1168
; %bb.1006:
	v_bfe_u32 v3, v2, 20, 1
	s_mov_b32 s16, 0x487ffff
	v_add3_u32 v3, v2, v3, s16
	s_mov_b64 s[12:13], exec
	v_lshrrev_b32_e32 v3, 20, v3
	s_or_saveexec_b64 s[14:15], s[14:15]
                                        ; implicit-def: $sgpr16
	s_xor_b64 exec, exec, s[14:15]
	s_cbranch_execnz .LBB8_1169
.LBB8_1007:
	s_or_b64 exec, exec, s[14:15]
	v_mov_b32_e32 v6, s16
	s_and_saveexec_b64 s[14:15], s[12:13]
.LBB8_1008:
	v_lshrrev_b32_e32 v2, 24, v2
	s_movk_i32 s12, 0x80
	v_and_or_b32 v6, v2, s12, v3
.LBB8_1009:
	s_or_b64 exec, exec, s[14:15]
.LBB8_1010:
	s_or_b64 exec, exec, s[8:9]
	global_store_byte v[4:5], v6, off
.LBB8_1011:
	s_mov_b64 s[12:13], 0
.LBB8_1012:
	s_mov_b64 s[8:9], 0
	s_and_b64 vcc, exec, s[12:13]
	s_cbranch_vccz .LBB8_1056
; %bb.1013:
	v_cmp_lt_i16_e32 vcc, 22, v8
	s_mov_b64 s[12:13], -1
	s_cbranch_vccz .LBB8_1045
; %bb.1014:
	v_cmp_gt_i16_e32 vcc, 24, v8
	s_cbranch_vccnz .LBB8_1034
; %bb.1015:
	v_cmp_lt_i16_e32 vcc, 24, v8
	s_cbranch_vccz .LBB8_1023
; %bb.1016:
	v_cvt_f32_f64_e32 v2, v[0:1]
	v_and_b32_e32 v3, 0x7fffffff, v2
	s_mov_b32 s12, 0x47800000
	v_cmp_gt_u32_e32 vcc, s12, v3
	v_mov_b32_e32 v6, 0x80
	s_and_saveexec_b64 s[12:13], vcc
	s_cbranch_execz .LBB8_1022
; %bb.1017:
	s_mov_b32 s14, 0x37ffffff
	v_cmp_lt_u32_e32 vcc, s14, v3
	s_mov_b64 s[14:15], 0
                                        ; implicit-def: $vgpr3
	s_and_saveexec_b64 s[16:17], vcc
	s_xor_b64 s[16:17], exec, s[16:17]
	s_cbranch_execz .LBB8_1295
; %bb.1018:
	v_bfe_u32 v3, v2, 21, 1
	s_mov_b32 s18, 0x88fffff
	v_add3_u32 v3, v2, v3, s18
	s_mov_b64 s[14:15], exec
	v_lshrrev_b32_e32 v3, 21, v3
	s_or_saveexec_b64 s[16:17], s[16:17]
                                        ; implicit-def: $sgpr18
	s_xor_b64 exec, exec, s[16:17]
	s_cbranch_execnz .LBB8_1296
.LBB8_1019:
	s_or_b64 exec, exec, s[16:17]
	v_mov_b32_e32 v6, s18
	s_and_saveexec_b64 s[16:17], s[14:15]
.LBB8_1020:
	v_lshrrev_b32_e32 v2, 24, v2
	s_movk_i32 s14, 0x80
	v_and_or_b32 v6, v2, s14, v3
.LBB8_1021:
	s_or_b64 exec, exec, s[16:17]
.LBB8_1022:
	s_or_b64 exec, exec, s[12:13]
	s_mov_b64 s[12:13], 0
	global_store_byte v[4:5], v6, off
.LBB8_1023:
	s_and_b64 vcc, exec, s[12:13]
	s_cbranch_vccz .LBB8_1033
; %bb.1024:
	v_cvt_f32_f64_e32 v2, v[0:1]
	v_and_b32_e32 v6, 0x7fffffff, v2
	s_mov_b32 s12, 0x43f00000
	v_cmp_gt_u32_e32 vcc, s12, v6
                                        ; implicit-def: $vgpr3
	s_and_saveexec_b64 s[12:13], vcc
	s_xor_b64 s[12:13], exec, s[12:13]
	s_cbranch_execz .LBB8_1030
; %bb.1025:
	s_mov_b32 s14, 0x3c7fffff
	v_cmp_lt_u32_e32 vcc, s14, v6
                                        ; implicit-def: $vgpr3
	s_and_saveexec_b64 s[14:15], vcc
	s_xor_b64 s[14:15], exec, s[14:15]
; %bb.1026:
	v_bfe_u32 v3, v2, 20, 1
	s_mov_b32 s16, 0x407ffff
	v_add3_u32 v3, v2, v3, s16
	v_lshrrev_b32_e32 v6, 20, v3
	v_and_b32_e32 v3, 0xff00000, v3
	s_mov_b32 s16, 0x7f00000
	v_mov_b32_e32 v7, 0x7e
	v_cmp_ne_u32_e32 vcc, s16, v3
	v_cndmask_b32_e32 v3, v7, v6, vcc
; %bb.1027:
	s_andn2_saveexec_b64 s[14:15], s[14:15]
; %bb.1028:
	s_mov_b32 s16, 0x46800000
	v_add_f32_e64 v3, |v2|, s16
; %bb.1029:
	s_or_b64 exec, exec, s[14:15]
                                        ; implicit-def: $vgpr6
.LBB8_1030:
	s_andn2_saveexec_b64 s[12:13], s[12:13]
; %bb.1031:
	s_mov_b32 s14, 0x7f800000
	v_mov_b32_e32 v3, 0x7e
	v_mov_b32_e32 v7, 0x7f
	v_cmp_lt_u32_e32 vcc, s14, v6
	v_cndmask_b32_e32 v3, v3, v7, vcc
; %bb.1032:
	s_or_b64 exec, exec, s[12:13]
	v_lshrrev_b32_e32 v2, 24, v2
	s_movk_i32 s12, 0x80
	v_and_or_b32 v2, v2, s12, v3
	global_store_byte v[4:5], v2, off
.LBB8_1033:
	s_mov_b64 s[12:13], 0
.LBB8_1034:
	s_andn2_b64 vcc, exec, s[12:13]
	s_cbranch_vccnz .LBB8_1044
; %bb.1035:
	v_cvt_f32_f64_e32 v2, v[0:1]
	v_and_b32_e32 v6, 0x7fffffff, v2
	s_mov_b32 s12, 0x47800000
	v_cmp_gt_u32_e32 vcc, s12, v6
                                        ; implicit-def: $vgpr3
	s_and_saveexec_b64 s[12:13], vcc
	s_xor_b64 s[12:13], exec, s[12:13]
	s_cbranch_execz .LBB8_1041
; %bb.1036:
	s_mov_b32 s14, 0x387fffff
	v_cmp_lt_u32_e32 vcc, s14, v6
                                        ; implicit-def: $vgpr3
	s_and_saveexec_b64 s[14:15], vcc
	s_xor_b64 s[14:15], exec, s[14:15]
; %bb.1037:
	v_bfe_u32 v3, v2, 21, 1
	s_mov_b32 s16, 0x80fffff
	v_add3_u32 v3, v2, v3, s16
	v_lshrrev_b32_e32 v3, 21, v3
; %bb.1038:
	s_andn2_saveexec_b64 s[14:15], s[14:15]
; %bb.1039:
	s_mov_b32 s16, 0x43000000
	v_add_f32_e64 v3, |v2|, s16
; %bb.1040:
	s_or_b64 exec, exec, s[14:15]
                                        ; implicit-def: $vgpr6
.LBB8_1041:
	s_andn2_saveexec_b64 s[12:13], s[12:13]
; %bb.1042:
	s_mov_b32 s14, 0x7f800000
	v_mov_b32_e32 v3, 0x7c
	v_mov_b32_e32 v7, 0x7f
	v_cmp_lt_u32_e32 vcc, s14, v6
	v_cndmask_b32_e32 v3, v3, v7, vcc
; %bb.1043:
	s_or_b64 exec, exec, s[12:13]
	v_lshrrev_b32_e32 v2, 24, v2
	s_movk_i32 s12, 0x80
	v_and_or_b32 v2, v2, s12, v3
	global_store_byte v[4:5], v2, off
.LBB8_1044:
	s_mov_b64 s[12:13], 0
.LBB8_1045:
	s_andn2_b64 vcc, exec, s[12:13]
	s_mov_b64 s[12:13], 0
	s_cbranch_vccnz .LBB8_1057
; %bb.1046:
	v_cmp_lt_i16_e32 vcc, 14, v8
	s_mov_b64 s[14:15], -1
	s_cbranch_vccz .LBB8_1050
; %bb.1047:
	v_cmp_eq_u16_e32 vcc, 15, v8
	s_mov_b64 s[0:1], -1
	s_cbranch_vccz .LBB8_1049
; %bb.1048:
	v_cvt_f32_f64_e32 v2, v[0:1]
	v_bfe_u32 v3, v2, 16, 1
	s_movk_i32 s0, 0x7fff
	v_add3_u32 v3, v2, v3, s0
	v_lshrrev_b32_e32 v3, 16, v3
	v_mov_b32_e32 v6, 0x7fc0
	v_cmp_o_f32_e32 vcc, v2, v2
	v_cndmask_b32_e32 v2, v6, v3, vcc
	global_store_short v[4:5], v2, off
	s_mov_b64 s[0:1], 0
.LBB8_1049:
	s_mov_b64 s[14:15], 0
.LBB8_1050:
	s_and_b64 vcc, exec, s[14:15]
	s_cbranch_vccz .LBB8_1057
; %bb.1051:
	v_cmp_ne_u16_e32 vcc, 11, v8
	s_andn2_b64 s[0:1], s[0:1], exec
	s_and_b64 s[14:15], vcc, exec
	s_mov_b64 s[12:13], -1
	s_or_b64 s[0:1], s[0:1], s[14:15]
	s_branch .LBB8_1057
.LBB8_1052:
	s_or_b64 exec, exec, s[10:11]
	s_and_saveexec_b64 s[0:1], s[56:57]
	s_cbranch_execnz .LBB8_1058
.LBB8_1053:
	s_or_b64 exec, exec, s[0:1]
	s_and_saveexec_b64 s[0:1], s[18:19]
	s_xor_b64 s[0:1], exec, s[0:1]
	s_cbranch_execz .LBB8_1059
.LBB8_1054:
	v_cmp_neq_f64_e32 vcc, 0, v[0:1]
	v_cndmask_b32_e64 v2, 0, 1, vcc
	global_store_byte v[4:5], v2, off
	s_or_b64 exec, exec, s[0:1]
	s_and_saveexec_b64 s[0:1], s[16:17]
	s_xor_b64 s[0:1], exec, s[0:1]
	s_cbranch_execz .LBB8_1097
	s_branch .LBB8_1060
.LBB8_1055:
	s_mov_b64 s[12:13], 0
	s_mov_b64 s[8:9], -1
	s_mov_b64 s[0:1], s[56:57]
	s_branch .LBB8_1057
.LBB8_1056:
	s_mov_b64 s[12:13], 0
.LBB8_1057:
	s_and_b64 s[16:17], s[8:9], exec
	s_andn2_b64 s[8:9], s[56:57], exec
	s_and_b64 s[0:1], s[0:1], exec
	s_and_b64 s[18:19], s[12:13], exec
	s_or_b64 s[56:57], s[8:9], s[0:1]
	s_or_b64 exec, exec, s[10:11]
	s_and_saveexec_b64 s[0:1], s[56:57]
	s_cbranch_execz .LBB8_1053
.LBB8_1058:
	s_or_b64 s[2:3], s[2:3], exec
	s_andn2_b64 s[18:19], s[18:19], exec
	s_trap 2
	s_or_b64 exec, exec, s[0:1]
	s_and_saveexec_b64 s[0:1], s[18:19]
	s_xor_b64 s[0:1], exec, s[0:1]
	s_cbranch_execnz .LBB8_1054
.LBB8_1059:
	s_or_b64 exec, exec, s[0:1]
	s_and_saveexec_b64 s[0:1], s[16:17]
	s_xor_b64 s[0:1], exec, s[0:1]
	s_cbranch_execz .LBB8_1097
.LBB8_1060:
	v_cmp_gt_i16_e32 vcc, 5, v8
	s_mov_b64 s[8:9], -1
	s_cbranch_vccnz .LBB8_1081
; %bb.1061:
	v_cmp_gt_i16_e32 vcc, 8, v8
	s_cbranch_vccnz .LBB8_1071
; %bb.1062:
	v_cmp_gt_i16_e32 vcc, 9, v8
	s_cbranch_vccnz .LBB8_1068
; %bb.1063:
	v_cmp_lt_i16_e32 vcc, 9, v8
	s_cbranch_vccz .LBB8_1065
; %bb.1064:
	v_mov_b32_e32 v2, 0
	v_mov_b32_e32 v3, v2
	s_mov_b64 s[8:9], 0
	global_store_dwordx4 v[4:5], v[0:3], off
.LBB8_1065:
	s_andn2_b64 vcc, exec, s[8:9]
	s_cbranch_vccnz .LBB8_1067
; %bb.1066:
	v_cvt_f32_f64_e32 v2, v[0:1]
	v_mov_b32_e32 v3, 0
	global_store_dwordx2 v[4:5], v[2:3], off
.LBB8_1067:
	s_mov_b64 s[8:9], 0
.LBB8_1068:
	s_andn2_b64 vcc, exec, s[8:9]
	s_cbranch_vccnz .LBB8_1070
; %bb.1069:
	v_cvt_f32_f64_e32 v2, v[0:1]
	v_cvt_f16_f32_e32 v2, v2
	global_store_dword v[4:5], v2, off
.LBB8_1070:
	s_mov_b64 s[8:9], 0
.LBB8_1071:
	s_andn2_b64 vcc, exec, s[8:9]
	s_cbranch_vccnz .LBB8_1080
; %bb.1072:
	v_cmp_gt_i16_e32 vcc, 6, v8
	s_mov_b64 s[8:9], -1
	s_cbranch_vccnz .LBB8_1078
; %bb.1073:
	v_cmp_lt_i16_e32 vcc, 6, v8
	s_cbranch_vccz .LBB8_1075
; %bb.1074:
	s_mov_b64 s[8:9], 0
	global_store_dwordx2 v[4:5], v[0:1], off
.LBB8_1075:
	s_andn2_b64 vcc, exec, s[8:9]
	s_cbranch_vccnz .LBB8_1077
; %bb.1076:
	v_cvt_f32_f64_e32 v2, v[0:1]
	global_store_dword v[4:5], v2, off
.LBB8_1077:
	s_mov_b64 s[8:9], 0
.LBB8_1078:
	s_andn2_b64 vcc, exec, s[8:9]
	s_cbranch_vccnz .LBB8_1080
; %bb.1079:
	v_cvt_f32_f64_e32 v2, v[0:1]
	v_cvt_f16_f32_e32 v2, v2
	global_store_short v[4:5], v2, off
.LBB8_1080:
	s_mov_b64 s[8:9], 0
.LBB8_1081:
	s_andn2_b64 vcc, exec, s[8:9]
	s_cbranch_vccnz .LBB8_1097
; %bb.1082:
	v_cmp_gt_i16_e32 vcc, 2, v8
	s_mov_b64 s[8:9], -1
	s_cbranch_vccnz .LBB8_1092
; %bb.1083:
	v_cmp_gt_i16_e32 vcc, 3, v8
	s_cbranch_vccnz .LBB8_1089
; %bb.1084:
	v_cmp_lt_i16_e32 vcc, 3, v8
	s_cbranch_vccz .LBB8_1086
; %bb.1085:
	v_trunc_f64_e32 v[2:3], v[0:1]
	s_movk_i32 s8, 0xffe0
	s_waitcnt vmcnt(0)
	v_ldexp_f64 v[6:7], v[2:3], s8
	v_floor_f64_e32 v[6:7], v[6:7]
	v_fmac_f64_e32 v[2:3], 0xc1f00000, v[6:7]
	v_cvt_i32_f64_e32 v11, v[6:7]
	v_cvt_u32_f64_e32 v10, v[2:3]
	s_mov_b64 s[8:9], 0
	global_store_dwordx2 v[4:5], v[10:11], off
.LBB8_1086:
	s_andn2_b64 vcc, exec, s[8:9]
	s_cbranch_vccnz .LBB8_1088
; %bb.1087:
	v_cvt_i32_f64_e32 v2, v[0:1]
	global_store_dword v[4:5], v2, off
.LBB8_1088:
	s_mov_b64 s[8:9], 0
.LBB8_1089:
	s_andn2_b64 vcc, exec, s[8:9]
	s_cbranch_vccnz .LBB8_1091
; %bb.1090:
	v_cvt_i32_f64_e32 v2, v[0:1]
	global_store_short v[4:5], v2, off
.LBB8_1091:
	s_mov_b64 s[8:9], 0
.LBB8_1092:
	s_andn2_b64 vcc, exec, s[8:9]
	s_cbranch_vccnz .LBB8_1097
; %bb.1093:
	v_cmp_lt_i16_e32 vcc, 0, v8
	s_mov_b64 s[8:9], -1
	s_cbranch_vccz .LBB8_1095
; %bb.1094:
	v_cvt_i32_f64_e32 v2, v[0:1]
	s_mov_b64 s[8:9], 0
	global_store_byte v[4:5], v2, off
.LBB8_1095:
	s_andn2_b64 vcc, exec, s[8:9]
	s_cbranch_vccnz .LBB8_1097
; %bb.1096:
	v_trunc_f64_e32 v[0:1], v[0:1]
	s_movk_i32 s8, 0xffe0
	v_ldexp_f64 v[2:3], v[0:1], s8
	v_floor_f64_e32 v[2:3], v[2:3]
	v_fmac_f64_e32 v[0:1], 0xc1f00000, v[2:3]
	v_cvt_u32_f64_e32 v0, v[0:1]
	global_store_byte v[4:5], v0, off
.LBB8_1097:
	s_or_b64 exec, exec, s[0:1]
	s_and_b64 s[28:29], s[2:3], exec
                                        ; implicit-def: $vgpr15
                                        ; implicit-def: $vgpr12
.LBB8_1098:
	s_or_saveexec_b64 s[30:31], s[46:47]
	s_mov_b64 s[0:1], 0
                                        ; implicit-def: $vgpr4_vgpr5
                                        ; implicit-def: $sgpr16
                                        ; implicit-def: $vgpr0_vgpr1
	s_xor_b64 exec, exec, s[30:31]
	s_cbranch_execz .LBB8_2062
; %bb.1099:
	v_cndmask_b32_e64 v0, 0, 1, s[44:45]
	v_cmp_ne_u32_e64 s[0:1], 1, v0
	s_andn2_b64 vcc, exec, s[44:45]
	s_cbranch_vccnz .LBB8_1106
; %bb.1100:
	s_mov_b32 s2, 0
	s_cmp_lg_u32 s33, 0
	v_mov_b32_e32 v0, 0
	v_mov_b32_e32 v2, 0
	s_cbranch_scc0 .LBB8_1105
; %bb.1101:
	s_min_u32 s38, s78, 15
	s_add_i32 s38, s38, 1
	s_cmp_eq_u32 s78, 2
	s_cbranch_scc1 .LBB8_1107
; %bb.1102:
	s_add_u32 s6, s34, 0xc4
	s_addc_u32 s7, s35, 0
	s_and_b32 s2, s38, 28
	s_mov_b32 s3, 0
	v_mov_b32_e32 v2, 0
	s_mov_b64 s[36:37], s[34:35]
	v_mov_b32_e32 v1, v12
	v_mov_b32_e32 v0, 0
.LBB8_1103:                             ; =>This Inner Loop Header: Depth=1
	s_load_dwordx8 s[16:23], s[36:37], 0x4
	s_load_dwordx4 s[24:27], s[36:37], 0x24
	s_load_dwordx8 s[8:15], s[6:7], 0x0
	s_add_u32 s36, s36, 48
	s_addc_u32 s37, s37, 0
	s_waitcnt lgkmcnt(0)
	v_mul_hi_u32 v3, s17, v1
	v_add_u32_e32 v3, v1, v3
	v_lshrrev_b32_e32 v3, s18, v3
	v_mul_lo_u32 v4, v3, s16
	v_mul_hi_u32 v5, s20, v3
	v_sub_u32_e32 v1, v1, v4
	v_add_u32_e32 v4, v3, v5
	v_lshrrev_b32_e32 v4, s21, v4
	s_waitcnt vmcnt(0)
	v_mul_lo_u32 v6, v4, s19
	v_mul_hi_u32 v7, s23, v4
	v_sub_u32_e32 v3, v3, v6
	v_add_u32_e32 v6, v4, v7
	v_mul_lo_u32 v5, v1, s9
	v_mul_lo_u32 v1, v1, s8
	;; [unrolled: 1-line block ×4, first 2 shown]
	v_lshrrev_b32_e32 v6, s24, v6
	v_add3_u32 v2, v1, v2, v3
	v_mul_lo_u32 v1, v6, s22
	v_mul_hi_u32 v3, s26, v6
	v_sub_u32_e32 v1, v4, v1
	v_add_u32_e32 v3, v6, v3
	v_add3_u32 v0, v5, v0, v7
	v_mul_lo_u32 v4, v1, s12
	v_mul_lo_u32 v5, v1, s13
	v_lshrrev_b32_e32 v1, s27, v3
	s_add_i32 s3, s3, 4
	v_mul_lo_u32 v3, v1, s25
	s_add_u32 s6, s6, 32
	v_sub_u32_e32 v3, v6, v3
	s_addc_u32 s7, s7, 0
	v_mul_lo_u32 v6, v3, s14
	v_mul_lo_u32 v3, v3, s15
	s_cmp_lg_u32 s2, s3
	v_add3_u32 v0, v5, v0, v3
	v_add3_u32 v2, v4, v2, v6
	s_cbranch_scc1 .LBB8_1103
; %bb.1104:
	v_mov_b32_e32 v3, v0
	s_and_b32 s8, s38, 3
	s_cmp_eq_u32 s8, 0
	s_cbranch_scc0 .LBB8_1108
.LBB8_1105:
	s_cbranch_execz .LBB8_1111
	s_branch .LBB8_1113
.LBB8_1106:
                                        ; implicit-def: $vgpr0
                                        ; implicit-def: $vgpr2
	s_branch .LBB8_1111
.LBB8_1107:
	s_mov_b32 s3, s2
	v_pk_mov_b32 v[2:3], s[2:3], s[2:3] op_sel:[0,1]
                                        ; implicit-def: $vgpr0
	v_mov_b32_e32 v1, v12
	s_and_b32 s8, s38, 3
	s_cmp_eq_u32 s8, 0
	s_cbranch_scc1 .LBB8_1105
.LBB8_1108:
	s_lshl_b32 s3, s2, 3
	s_add_u32 s3, s3, s34
	s_addc_u32 s7, 0, s35
	s_add_u32 s6, s3, 0xc4
	s_addc_u32 s7, s7, 0
	s_mul_i32 s2, s2, 12
	s_add_u32 s2, s34, s2
	s_addc_u32 s3, 0, s35
.LBB8_1109:                             ; =>This Inner Loop Header: Depth=1
	s_load_dwordx2 s[10:11], s[2:3], 0x4
	s_load_dword s9, s[2:3], 0xc
	s_load_dwordx2 s[12:13], s[6:7], 0x0
	v_mov_b32_e32 v0, v3
	s_add_u32 s2, s2, 12
	s_waitcnt lgkmcnt(0)
	v_mul_hi_u32 v3, s11, v1
	v_add_u32_e32 v3, v1, v3
	v_lshrrev_b32_e32 v3, s9, v3
	s_addc_u32 s3, s3, 0
	v_mul_lo_u32 v4, v3, s10
	s_add_u32 s6, s6, 8
	s_waitcnt vmcnt(0)
	v_sub_u32_e32 v6, v1, v4
	v_mov_b32_e32 v1, v3
	s_addc_u32 s7, s7, 0
	s_add_i32 s8, s8, -1
	v_mad_u64_u32 v[4:5], s[10:11], v6, s13, v[0:1]
	v_mad_u64_u32 v[2:3], s[10:11], v6, s12, v[2:3]
	s_cmp_lg_u32 s8, 0
	v_mov_b32_e32 v3, v4
	s_cbranch_scc1 .LBB8_1109
; %bb.1110:
	v_mov_b32_e32 v0, v3
	s_cbranch_execnz .LBB8_1113
.LBB8_1111:
	s_load_dwordx4 s[8:11], s[34:35], 0x4
	s_load_dwordx2 s[2:3], s[34:35], 0xc4
	s_cmp_lt_u32 s33, 2
	s_waitcnt lgkmcnt(0)
	v_mul_hi_u32 v0, s9, v12
	v_add_u32_e32 v0, v12, v0
	v_lshrrev_b32_e32 v1, s10, v0
	v_mul_lo_u32 v0, v1, s8
	v_sub_u32_e32 v2, v12, v0
	v_mul_lo_u32 v0, v2, s3
	v_mul_lo_u32 v2, v2, s2
	s_cbranch_scc1 .LBB8_1113
; %bb.1112:
	s_load_dwordx4 s[8:11], s[34:35], 0x10
	s_load_dwordx2 s[2:3], s[34:35], 0xcc
	s_waitcnt lgkmcnt(0)
	v_mul_hi_u32 v3, s9, v1
	v_add_u32_e32 v3, v1, v3
	v_lshrrev_b32_e32 v3, s10, v3
	v_mul_lo_u32 v3, v3, s8
	v_sub_u32_e32 v1, v1, v3
	v_mad_u64_u32 v[2:3], s[6:7], v1, s2, v[2:3]
	v_mad_u64_u32 v[0:1], s[2:3], v1, s3, v[0:1]
.LBB8_1113:
	s_and_b64 vcc, exec, s[0:1]
	v_add_u32_e32 v1, 0x80, v12
	s_cbranch_vccnz .LBB8_1120
; %bb.1114:
	s_mov_b32 s2, 0
	s_cmp_lg_u32 s33, 0
	v_mov_b32_e32 v10, 0
	v_mov_b32_e32 v8, 0
	s_cbranch_scc0 .LBB8_1119
; %bb.1115:
	s_min_u32 s38, s78, 15
	s_add_i32 s38, s38, 1
	s_cmp_eq_u32 s78, 2
	s_cbranch_scc1 .LBB8_1121
; %bb.1116:
	s_add_u32 s6, s34, 0xc4
	s_addc_u32 s7, s35, 0
	s_and_b32 s2, s38, 28
	s_mov_b32 s3, 0
	v_mov_b32_e32 v8, 0
	s_mov_b64 s[36:37], s[34:35]
	v_mov_b32_e32 v3, v1
	v_mov_b32_e32 v10, 0
.LBB8_1117:                             ; =>This Inner Loop Header: Depth=1
	s_load_dwordx8 s[16:23], s[36:37], 0x4
	s_load_dwordx4 s[24:27], s[36:37], 0x24
	s_load_dwordx8 s[8:15], s[6:7], 0x0
	s_add_u32 s36, s36, 48
	s_addc_u32 s37, s37, 0
	s_waitcnt lgkmcnt(0)
	v_mul_hi_u32 v4, s17, v3
	v_add_u32_e32 v4, v3, v4
	v_lshrrev_b32_e32 v4, s18, v4
	v_mul_lo_u32 v5, v4, s16
	s_waitcnt vmcnt(0)
	v_mul_hi_u32 v6, s20, v4
	v_sub_u32_e32 v3, v3, v5
	v_add_u32_e32 v5, v4, v6
	v_lshrrev_b32_e32 v5, s21, v5
	v_mul_lo_u32 v7, v5, s19
	v_mul_hi_u32 v9, s23, v5
	v_sub_u32_e32 v4, v4, v7
	v_add_u32_e32 v7, v5, v9
	v_mul_lo_u32 v6, v3, s9
	v_mul_lo_u32 v3, v3, s8
	;; [unrolled: 1-line block ×4, first 2 shown]
	v_lshrrev_b32_e32 v7, s24, v7
	v_add3_u32 v4, v3, v8, v4
	v_mul_lo_u32 v3, v7, s22
	v_mul_hi_u32 v8, s26, v7
	v_sub_u32_e32 v3, v5, v3
	v_add_u32_e32 v5, v7, v8
	v_add3_u32 v6, v6, v10, v9
	v_mul_lo_u32 v8, v3, s12
	v_mul_lo_u32 v9, v3, s13
	v_lshrrev_b32_e32 v3, s27, v5
	s_add_i32 s3, s3, 4
	v_mul_lo_u32 v5, v3, s25
	s_add_u32 s6, s6, 32
	v_sub_u32_e32 v5, v7, v5
	s_addc_u32 s7, s7, 0
	v_mul_lo_u32 v7, v5, s14
	v_mul_lo_u32 v5, v5, s15
	s_cmp_lg_u32 s2, s3
	v_add3_u32 v10, v9, v6, v5
	v_add3_u32 v8, v8, v4, v7
	s_cbranch_scc1 .LBB8_1117
; %bb.1118:
	v_mov_b32_e32 v9, v10
	s_and_b32 s8, s38, 3
	s_cmp_eq_u32 s8, 0
	s_cbranch_scc0 .LBB8_1122
.LBB8_1119:
	s_cbranch_execz .LBB8_1125
	s_branch .LBB8_1127
.LBB8_1120:
                                        ; implicit-def: $vgpr10
                                        ; implicit-def: $vgpr8
	s_branch .LBB8_1125
.LBB8_1121:
	s_mov_b32 s3, s2
	v_pk_mov_b32 v[8:9], s[2:3], s[2:3] op_sel:[0,1]
                                        ; implicit-def: $vgpr10
	v_mov_b32_e32 v3, v1
	s_and_b32 s8, s38, 3
	s_cmp_eq_u32 s8, 0
	s_cbranch_scc1 .LBB8_1119
.LBB8_1122:
	s_lshl_b32 s3, s2, 3
	s_add_u32 s3, s3, s34
	s_addc_u32 s7, 0, s35
	s_add_u32 s6, s3, 0xc4
	s_addc_u32 s7, s7, 0
	s_mul_i32 s2, s2, 12
	s_add_u32 s2, s34, s2
	s_addc_u32 s3, 0, s35
.LBB8_1123:                             ; =>This Inner Loop Header: Depth=1
	s_load_dwordx2 s[10:11], s[2:3], 0x4
	s_load_dword s9, s[2:3], 0xc
	s_load_dwordx2 s[12:13], s[6:7], 0x0
	s_add_u32 s2, s2, 12
	s_addc_u32 s3, s3, 0
	s_waitcnt lgkmcnt(0)
	v_mul_hi_u32 v5, s11, v3
	v_add_u32_e32 v5, v3, v5
	v_lshrrev_b32_e32 v5, s9, v5
	s_waitcnt vmcnt(0)
	v_mul_lo_u32 v6, v5, s10
	v_mov_b32_e32 v4, v9
	s_add_u32 s6, s6, 8
	v_sub_u32_e32 v6, v3, v6
	s_addc_u32 s7, s7, 0
	s_add_i32 s8, s8, -1
	v_mov_b32_e32 v3, v5
	v_mad_u64_u32 v[4:5], s[10:11], v6, s13, v[4:5]
	v_mad_u64_u32 v[8:9], s[10:11], v6, s12, v[8:9]
	s_cmp_lg_u32 s8, 0
	v_mov_b32_e32 v9, v4
	s_cbranch_scc1 .LBB8_1123
; %bb.1124:
	v_mov_b32_e32 v10, v9
	s_cbranch_execnz .LBB8_1127
.LBB8_1125:
	s_load_dwordx4 s[8:11], s[34:35], 0x4
	s_load_dwordx2 s[2:3], s[34:35], 0xc4
	s_cmp_lt_u32 s33, 2
	s_waitcnt lgkmcnt(0)
	v_mul_hi_u32 v3, s9, v1
	v_add_u32_e32 v3, v1, v3
	v_lshrrev_b32_e32 v3, s10, v3
	v_mul_lo_u32 v4, v3, s8
	v_sub_u32_e32 v1, v1, v4
	v_mul_lo_u32 v10, v1, s3
	v_mul_lo_u32 v8, v1, s2
	s_cbranch_scc1 .LBB8_1127
; %bb.1126:
	s_load_dwordx4 s[8:11], s[34:35], 0x10
	s_load_dwordx2 s[2:3], s[34:35], 0xcc
	s_waitcnt lgkmcnt(0)
	v_mul_hi_u32 v1, s9, v3
	v_add_u32_e32 v1, v3, v1
	v_lshrrev_b32_e32 v1, s10, v1
	v_mul_lo_u32 v1, v1, s8
	v_sub_u32_e32 v1, v3, v1
	v_mad_u64_u32 v[8:9], s[6:7], v1, s2, v[8:9]
	v_mad_u64_u32 v[10:11], s[2:3], v1, s3, v[10:11]
.LBB8_1127:
	s_and_b64 vcc, exec, s[0:1]
	v_add_u32_e32 v1, 0x100, v12
	s_cbranch_vccnz .LBB8_1134
; %bb.1128:
	s_mov_b32 s2, 0
	s_cmp_lg_u32 s33, 0
	v_mov_b32_e32 v12, 0
	s_waitcnt vmcnt(0)
	v_mov_b32_e32 v6, 0
	s_cbranch_scc0 .LBB8_1133
; %bb.1129:
	s_min_u32 s38, s78, 15
	s_add_i32 s38, s38, 1
	s_cmp_eq_u32 s78, 2
	s_cbranch_scc1 .LBB8_1135
; %bb.1130:
	s_add_u32 s6, s34, 0xc4
	s_addc_u32 s7, s35, 0
	s_and_b32 s2, s38, 28
	s_mov_b32 s3, 0
	v_mov_b32_e32 v6, 0
	s_mov_b64 s[36:37], s[34:35]
	v_mov_b32_e32 v3, v1
	v_mov_b32_e32 v12, 0
.LBB8_1131:                             ; =>This Inner Loop Header: Depth=1
	s_load_dwordx8 s[16:23], s[36:37], 0x4
	s_load_dwordx4 s[24:27], s[36:37], 0x24
	s_load_dwordx8 s[8:15], s[6:7], 0x0
	s_add_u32 s36, s36, 48
	s_addc_u32 s37, s37, 0
	s_waitcnt lgkmcnt(0)
	v_mul_hi_u32 v4, s17, v3
	v_add_u32_e32 v4, v3, v4
	v_lshrrev_b32_e32 v4, s18, v4
	v_mul_lo_u32 v5, v4, s16
	v_mul_hi_u32 v7, s20, v4
	v_sub_u32_e32 v3, v3, v5
	v_add_u32_e32 v5, v4, v7
	v_lshrrev_b32_e32 v5, s21, v5
	v_mul_lo_u32 v9, v5, s19
	v_mul_hi_u32 v11, s23, v5
	v_sub_u32_e32 v4, v4, v9
	v_add_u32_e32 v9, v5, v11
	v_mul_lo_u32 v7, v3, s9
	v_mul_lo_u32 v3, v3, s8
	;; [unrolled: 1-line block ×4, first 2 shown]
	v_lshrrev_b32_e32 v9, s24, v9
	v_add3_u32 v4, v3, v6, v4
	v_add3_u32 v6, v7, v12, v11
	v_mul_lo_u32 v3, v9, s22
	v_mul_hi_u32 v7, s26, v9
	v_sub_u32_e32 v3, v5, v3
	v_add_u32_e32 v5, v9, v7
	v_mul_lo_u32 v7, v3, s12
	v_mul_lo_u32 v11, v3, s13
	v_lshrrev_b32_e32 v3, s27, v5
	s_add_i32 s3, s3, 4
	v_mul_lo_u32 v5, v3, s25
	s_add_u32 s6, s6, 32
	v_sub_u32_e32 v5, v9, v5
	s_addc_u32 s7, s7, 0
	v_mul_lo_u32 v9, v5, s14
	v_mul_lo_u32 v5, v5, s15
	s_cmp_lg_u32 s2, s3
	v_add3_u32 v12, v11, v6, v5
	v_add3_u32 v6, v7, v4, v9
	s_cbranch_scc1 .LBB8_1131
; %bb.1132:
	v_mov_b32_e32 v7, v12
	s_and_b32 s8, s38, 3
	s_cmp_eq_u32 s8, 0
	s_cbranch_scc0 .LBB8_1136
.LBB8_1133:
	s_cbranch_execz .LBB8_1139
	s_branch .LBB8_1141
.LBB8_1134:
                                        ; implicit-def: $vgpr12
                                        ; implicit-def: $vgpr6
	s_branch .LBB8_1139
.LBB8_1135:
	s_mov_b32 s3, s2
	v_pk_mov_b32 v[6:7], s[2:3], s[2:3] op_sel:[0,1]
                                        ; implicit-def: $vgpr12
	v_mov_b32_e32 v3, v1
	s_and_b32 s8, s38, 3
	s_cmp_eq_u32 s8, 0
	s_cbranch_scc1 .LBB8_1133
.LBB8_1136:
	s_lshl_b32 s3, s2, 3
	s_add_u32 s3, s3, s34
	s_addc_u32 s7, 0, s35
	s_add_u32 s6, s3, 0xc4
	s_addc_u32 s7, s7, 0
	s_mul_i32 s2, s2, 12
	s_add_u32 s2, s34, s2
	s_addc_u32 s3, 0, s35
.LBB8_1137:                             ; =>This Inner Loop Header: Depth=1
	s_load_dwordx2 s[10:11], s[2:3], 0x4
	s_load_dword s9, s[2:3], 0xc
	s_load_dwordx2 s[12:13], s[6:7], 0x0
	s_add_u32 s2, s2, 12
	v_mov_b32_e32 v4, v7
	s_waitcnt lgkmcnt(0)
	v_mul_hi_u32 v5, s11, v3
	v_add_u32_e32 v5, v3, v5
	v_lshrrev_b32_e32 v5, s9, v5
	s_addc_u32 s3, s3, 0
	v_mul_lo_u32 v7, v5, s10
	s_add_u32 s6, s6, 8
	v_sub_u32_e32 v7, v3, v7
	s_addc_u32 s7, s7, 0
	s_add_i32 s8, s8, -1
	v_mov_b32_e32 v3, v5
	v_mad_u64_u32 v[4:5], s[10:11], v7, s13, v[4:5]
	v_mad_u64_u32 v[6:7], s[10:11], v7, s12, v[6:7]
	s_cmp_lg_u32 s8, 0
	v_mov_b32_e32 v7, v4
	s_cbranch_scc1 .LBB8_1137
; %bb.1138:
	v_mov_b32_e32 v12, v7
	s_cbranch_execnz .LBB8_1141
.LBB8_1139:
	s_load_dwordx4 s[8:11], s[34:35], 0x4
	s_load_dwordx2 s[2:3], s[34:35], 0xc4
	s_cmp_lt_u32 s33, 2
	s_waitcnt lgkmcnt(0)
	v_mul_hi_u32 v3, s9, v1
	v_add_u32_e32 v3, v1, v3
	v_lshrrev_b32_e32 v3, s10, v3
	v_mul_lo_u32 v4, v3, s8
	v_sub_u32_e32 v1, v1, v4
	v_mul_lo_u32 v12, v1, s3
	s_waitcnt vmcnt(0)
	v_mul_lo_u32 v6, v1, s2
	s_cbranch_scc1 .LBB8_1141
; %bb.1140:
	s_load_dwordx4 s[8:11], s[34:35], 0x10
	s_load_dwordx2 s[2:3], s[34:35], 0xcc
	s_waitcnt lgkmcnt(0)
	v_mul_hi_u32 v1, s9, v3
	v_add_u32_e32 v1, v3, v1
	v_lshrrev_b32_e32 v1, s10, v1
	v_mul_lo_u32 v1, v1, s8
	v_sub_u32_e32 v1, v3, v1
	v_mad_u64_u32 v[6:7], s[6:7], v1, s2, v[6:7]
	v_mad_u64_u32 v[12:13], s[2:3], v1, s3, v[12:13]
.LBB8_1141:
	s_and_b64 vcc, exec, s[0:1]
	s_cbranch_vccnz .LBB8_1148
; %bb.1142:
	s_mov_b32 s6, 0
	s_cmp_lg_u32 s33, 0
	v_mov_b32_e32 v14, 0
	v_mov_b32_e32 v4, 0
	s_cbranch_scc0 .LBB8_1147
; %bb.1143:
	s_min_u32 s36, s78, 15
	s_add_i32 s36, s36, 1
	s_cmp_eq_u32 s78, 2
	s_cbranch_scc1 .LBB8_1149
; %bb.1144:
	s_add_u32 s24, s34, 0xc4
	s_addc_u32 s25, s35, 0
	s_and_b32 s6, s36, 28
	s_mov_b32 s7, 0
	v_mov_b32_e32 v4, 0
	s_mov_b64 s[26:27], s[34:35]
	v_mov_b32_e32 v1, v15
	v_mov_b32_e32 v14, 0
.LBB8_1145:                             ; =>This Inner Loop Header: Depth=1
	s_load_dwordx8 s[16:23], s[26:27], 0x4
	s_load_dwordx4 s[0:3], s[26:27], 0x24
	s_load_dwordx8 s[8:15], s[24:25], 0x0
	s_add_u32 s26, s26, 48
	s_addc_u32 s27, s27, 0
	s_waitcnt lgkmcnt(0)
	v_mul_hi_u32 v3, s17, v1
	v_add_u32_e32 v3, v1, v3
	v_lshrrev_b32_e32 v3, s18, v3
	v_mul_lo_u32 v5, v3, s16
	s_waitcnt vmcnt(0)
	v_mul_hi_u32 v7, s20, v3
	v_sub_u32_e32 v1, v1, v5
	v_add_u32_e32 v5, v3, v7
	v_lshrrev_b32_e32 v5, s21, v5
	v_mul_lo_u32 v9, v5, s19
	v_mul_hi_u32 v11, s23, v5
	v_sub_u32_e32 v3, v3, v9
	v_add_u32_e32 v9, v5, v11
	v_mul_lo_u32 v7, v1, s9
	v_mul_lo_u32 v1, v1, s8
	;; [unrolled: 1-line block ×4, first 2 shown]
	v_lshrrev_b32_e32 v9, s0, v9
	v_add3_u32 v3, v1, v4, v3
	v_add3_u32 v4, v7, v14, v11
	v_mul_lo_u32 v1, v9, s22
	v_mul_hi_u32 v7, s2, v9
	v_sub_u32_e32 v1, v5, v1
	v_add_u32_e32 v5, v9, v7
	v_mul_lo_u32 v7, v1, s12
	v_mul_lo_u32 v11, v1, s13
	v_lshrrev_b32_e32 v1, s3, v5
	s_add_i32 s7, s7, 4
	v_mul_lo_u32 v5, v1, s1
	s_add_u32 s24, s24, 32
	v_sub_u32_e32 v5, v9, v5
	s_addc_u32 s25, s25, 0
	v_mul_lo_u32 v9, v5, s14
	v_mul_lo_u32 v5, v5, s15
	s_cmp_lg_u32 s6, s7
	v_add3_u32 v14, v11, v4, v5
	v_add3_u32 v4, v7, v3, v9
	s_cbranch_scc1 .LBB8_1145
; %bb.1146:
	v_mov_b32_e32 v5, v14
	s_and_b32 s7, s36, 3
	s_cmp_eq_u32 s7, 0
	s_cbranch_scc0 .LBB8_1150
.LBB8_1147:
	s_cbranch_execz .LBB8_1153
	s_branch .LBB8_1155
.LBB8_1148:
                                        ; implicit-def: $vgpr14
                                        ; implicit-def: $vgpr4
	s_branch .LBB8_1153
.LBB8_1149:
	s_mov_b32 s7, s6
	v_pk_mov_b32 v[4:5], s[6:7], s[6:7] op_sel:[0,1]
                                        ; implicit-def: $vgpr14
	v_mov_b32_e32 v1, v15
	s_and_b32 s7, s36, 3
	s_cmp_eq_u32 s7, 0
	s_cbranch_scc1 .LBB8_1147
.LBB8_1150:
	s_lshl_b32 s0, s6, 3
	s_add_u32 s0, s0, s34
	s_addc_u32 s1, 0, s35
	s_add_u32 s0, s0, 0xc4
	s_addc_u32 s1, s1, 0
	s_mul_i32 s2, s6, 12
	s_add_u32 s2, s34, s2
	s_addc_u32 s3, 0, s35
.LBB8_1151:                             ; =>This Inner Loop Header: Depth=1
	s_load_dwordx2 s[8:9], s[2:3], 0x4
	s_load_dword s6, s[2:3], 0xc
	s_load_dwordx2 s[10:11], s[0:1], 0x0
	s_add_u32 s2, s2, 12
	v_mov_b32_e32 v14, v5
	s_waitcnt lgkmcnt(0)
	v_mul_hi_u32 v3, s9, v1
	v_add_u32_e32 v3, v1, v3
	v_lshrrev_b32_e32 v3, s6, v3
	s_addc_u32 s3, s3, 0
	v_mul_lo_u32 v5, v3, s8
	s_add_u32 s0, s0, 8
	v_sub_u32_e32 v5, v1, v5
	s_addc_u32 s1, s1, 0
	s_add_i32 s7, s7, -1
	v_mad_u64_u32 v[16:17], s[8:9], v5, s11, v[14:15]
	v_mad_u64_u32 v[4:5], s[8:9], v5, s10, v[4:5]
	s_cmp_lg_u32 s7, 0
	v_mov_b32_e32 v1, v3
	v_mov_b32_e32 v5, v16
	s_cbranch_scc1 .LBB8_1151
; %bb.1152:
	v_mov_b32_e32 v14, v5
	s_cbranch_execnz .LBB8_1155
.LBB8_1153:
	s_load_dwordx4 s[0:3], s[34:35], 0x4
	s_load_dwordx2 s[6:7], s[34:35], 0xc4
	s_cmp_lt_u32 s33, 2
	s_waitcnt lgkmcnt(0)
	v_mul_hi_u32 v1, s1, v15
	v_add_u32_e32 v1, v15, v1
	v_lshrrev_b32_e32 v1, s2, v1
	v_mul_lo_u32 v3, v1, s0
	v_sub_u32_e32 v3, v15, v3
	v_mul_lo_u32 v14, v3, s7
	v_mul_lo_u32 v4, v3, s6
	s_cbranch_scc1 .LBB8_1155
; %bb.1154:
	s_load_dwordx4 s[0:3], s[34:35], 0x10
	s_load_dwordx2 s[6:7], s[34:35], 0xcc
	s_waitcnt lgkmcnt(0)
	v_mul_hi_u32 v3, s1, v1
	v_add_u32_e32 v3, v1, v3
	v_lshrrev_b32_e32 v3, s2, v3
	v_mul_lo_u32 v3, v3, s0
	v_sub_u32_e32 v1, v1, v3
	v_mad_u64_u32 v[4:5], s[0:1], v1, s6, v[4:5]
	v_mad_u64_u32 v[14:15], s[0:1], v1, s7, v[14:15]
.LBB8_1155:
	s_load_dword s0, s[4:5], 0x170
	s_load_dwordx8 s[8:15], s[34:35], 0x148
	s_waitcnt lgkmcnt(0)
	s_lshr_b32 s22, s0, 8
	v_mov_b32_e32 v1, s11
	v_add_co_u32_e32 v16, vcc, s10, v0
	v_mov_b32_e32 v0, 11
	v_addc_co_u32_e32 v17, vcc, 0, v1, vcc
	v_cmp_lt_i16_sdwa s[0:1], s22, v0 src0_sel:BYTE_0 src1_sel:DWORD
	s_and_b64 vcc, exec, s[0:1]
	s_cbranch_vccnz .LBB8_1162
; %bb.1156:
	v_mov_b32_e32 v0, 25
	v_cmp_gt_i16_sdwa s[0:1], s22, v0 src0_sel:BYTE_0 src1_sel:DWORD
	s_mov_b64 s[4:5], 0
	s_and_b64 vcc, exec, s[0:1]
	s_cbranch_vccz .LBB8_1164
; %bb.1157:
	v_mov_b32_e32 v0, 28
	v_cmp_gt_i16_sdwa s[0:1], s22, v0 src0_sel:BYTE_0 src1_sel:DWORD
	s_and_b64 vcc, exec, s[0:1]
	s_cbranch_vccz .LBB8_1165
; %bb.1158:
	v_mov_b32_e32 v0, 43
	v_cmp_gt_i16_sdwa s[0:1], s22, v0 src0_sel:BYTE_0 src1_sel:DWORD
	;; [unrolled: 5-line block ×3, first 2 shown]
	s_and_b64 vcc, exec, s[0:1]
	s_cbranch_vccz .LBB8_1167
; %bb.1160:
	v_mov_b32_e32 v0, 46
	v_cmp_eq_u16_sdwa s[0:1], s22, v0 src0_sel:BYTE_0 src1_sel:DWORD
	s_mov_b64 s[2:3], 0
	s_and_b64 vcc, exec, s[0:1]
	s_cbranch_vccz .LBB8_1170
; %bb.1161:
	global_load_dword v0, v[16:17], off
	s_mov_b64 s[0:1], 0
	s_mov_b64 s[6:7], -1
	s_waitcnt vmcnt(0)
	v_lshlrev_b32_e32 v0, 16, v0
	v_cvt_f64_f32_e32 v[0:1], v0
	s_branch .LBB8_1171
.LBB8_1162:
	s_mov_b64 s[6:7], 0
                                        ; implicit-def: $vgpr0_vgpr1
	s_mov_b64 s[2:3], s[28:29]
	s_cbranch_execnz .LBB8_1234
.LBB8_1163:
	s_andn2_b64 vcc, exec, s[6:7]
	s_cbranch_vccz .LBB8_1279
	s_branch .LBB8_2060
.LBB8_1164:
	s_mov_b64 s[6:7], 0
	s_mov_b64 s[0:1], 0
                                        ; implicit-def: $vgpr0_vgpr1
	s_cbranch_execnz .LBB8_1199
	s_branch .LBB8_1230
.LBB8_1165:
	s_mov_b64 s[2:3], -1
	s_mov_b64 s[6:7], 0
	s_mov_b64 s[0:1], 0
                                        ; implicit-def: $vgpr0_vgpr1
	s_branch .LBB8_1180
.LBB8_1166:
	s_mov_b64 s[6:7], 0
	s_mov_b64 s[0:1], 0
                                        ; implicit-def: $vgpr0_vgpr1
	s_cbranch_execnz .LBB8_1176
	s_branch .LBB8_1179
.LBB8_1167:
	s_mov_b64 s[2:3], -1
	s_mov_b64 s[6:7], 0
	s_mov_b64 s[0:1], 0
                                        ; implicit-def: $vgpr0_vgpr1
	s_branch .LBB8_1171
.LBB8_1168:
	s_or_saveexec_b64 s[14:15], s[14:15]
                                        ; implicit-def: $sgpr16
	s_xor_b64 exec, exec, s[14:15]
	s_cbranch_execz .LBB8_1007
.LBB8_1169:
	s_mov_b32 s16, 0x46000000
	v_add_f32_e64 v3, |v2|, s16
	v_and_b32_e32 v3, 0xff, v3
	v_cmp_ne_u32_e32 vcc, 0, v3
	s_andn2_b64 s[12:13], s[12:13], exec
	s_and_b64 s[18:19], vcc, exec
	s_mov_b32 s16, 0
	s_or_b64 s[12:13], s[12:13], s[18:19]
	s_or_b64 exec, exec, s[14:15]
	v_mov_b32_e32 v6, s16
	s_and_saveexec_b64 s[14:15], s[12:13]
	s_cbranch_execnz .LBB8_1008
	s_branch .LBB8_1009
.LBB8_1170:
	s_mov_b64 s[0:1], -1
                                        ; implicit-def: $vgpr0_vgpr1
	s_mov_b64 s[6:7], 0
.LBB8_1171:
	s_and_b64 vcc, exec, s[2:3]
	s_cbranch_vccz .LBB8_1174
; %bb.1172:
	v_mov_b32_e32 v0, 44
	v_cmp_eq_u16_sdwa s[0:1], s22, v0 src0_sel:BYTE_0 src1_sel:DWORD
	s_and_b64 vcc, exec, s[0:1]
	s_cbranch_vccz .LBB8_1175
; %bb.1173:
	global_load_ubyte v3, v[16:17], off
	s_movk_i32 s2, 0xff
	v_bfrev_b32_e32 v5, 4
	s_waitcnt vmcnt(1)
	v_mov_b32_e32 v7, 0x7ff80000
	v_bfrev_b32_e32 v9, 28
	s_mov_b64 s[0:1], 0
	s_mov_b64 s[6:7], -1
	s_waitcnt vmcnt(0)
	v_lshlrev_b32_e32 v0, 23, v3
	v_cvt_f64_f32_e32 v[0:1], v0
	v_cmp_ne_u32_e32 vcc, s2, v3
	v_cndmask_b32_e32 v0, v5, v0, vcc
	v_cndmask_b32_e32 v1, v7, v1, vcc
	v_cmp_ne_u32_e32 vcc, 0, v3
	v_cndmask_b32_e32 v1, v9, v1, vcc
	v_cndmask_b32_e32 v0, 0, v0, vcc
.LBB8_1174:
	s_branch .LBB8_1179
.LBB8_1175:
	s_mov_b64 s[0:1], -1
                                        ; implicit-def: $vgpr0_vgpr1
	s_branch .LBB8_1179
.LBB8_1176:
	v_mov_b32_e32 v0, 29
	v_cmp_eq_u16_sdwa s[0:1], s22, v0 src0_sel:BYTE_0 src1_sel:DWORD
	s_and_b64 vcc, exec, s[0:1]
	s_cbranch_vccz .LBB8_1178
; %bb.1177:
	global_load_dwordx2 v[0:1], v[16:17], off
	s_mov_b64 s[0:1], 0
	s_mov_b64 s[6:7], -1
	s_mov_b64 s[2:3], 0
	s_waitcnt vmcnt(0)
	v_cvt_f64_u32_e32 v[18:19], v1
	v_cvt_f64_u32_e32 v[0:1], v0
	v_ldexp_f64 v[18:19], v[18:19], 32
	v_add_f64 v[0:1], v[18:19], v[0:1]
	s_branch .LBB8_1180
.LBB8_1178:
	s_mov_b64 s[0:1], -1
                                        ; implicit-def: $vgpr0_vgpr1
.LBB8_1179:
	s_mov_b64 s[2:3], 0
.LBB8_1180:
	s_and_b64 vcc, exec, s[2:3]
	s_cbranch_vccz .LBB8_1198
; %bb.1181:
	v_mov_b32_e32 v0, 27
	v_cmp_lt_i16_sdwa s[2:3], s22, v0 src0_sel:BYTE_0 src1_sel:DWORD
	s_and_b64 vcc, exec, s[2:3]
	s_cbranch_vccnz .LBB8_1184
; %bb.1182:
	v_cmp_gt_i16_sdwa s[2:3], s22, v0 src0_sel:BYTE_0 src1_sel:DWORD
	s_and_b64 vcc, exec, s[2:3]
	s_cbranch_vccz .LBB8_1185
; %bb.1183:
	global_load_dword v0, v[16:17], off
	s_mov_b64 s[2:3], 0
	s_waitcnt vmcnt(0)
	v_cvt_f64_u32_e32 v[0:1], v0
	s_branch .LBB8_1186
.LBB8_1184:
	s_mov_b64 s[2:3], -1
                                        ; implicit-def: $vgpr0_vgpr1
	s_branch .LBB8_1189
.LBB8_1185:
	s_mov_b64 s[2:3], -1
                                        ; implicit-def: $vgpr0_vgpr1
.LBB8_1186:
	s_andn2_b64 vcc, exec, s[2:3]
	s_cbranch_vccnz .LBB8_1188
; %bb.1187:
	global_load_ushort v0, v[16:17], off
	s_waitcnt vmcnt(0)
	v_cvt_f64_u32_e32 v[0:1], v0
.LBB8_1188:
	s_mov_b64 s[2:3], 0
.LBB8_1189:
	s_andn2_b64 vcc, exec, s[2:3]
	s_cbranch_vccnz .LBB8_1197
; %bb.1190:
	global_load_ubyte v3, v[16:17], off
	s_movk_i32 s2, 0x7f
                                        ; implicit-def: $sgpr6_sgpr7
	s_waitcnt vmcnt(0)
	v_cmp_lt_i16_e32 vcc, s2, v3
	s_mov_b64 s[2:3], 0
	s_and_saveexec_b64 s[16:17], vcc
	s_xor_b64 s[16:17], exec, s[16:17]
	s_cbranch_execz .LBB8_1210
; %bb.1191:
	s_movk_i32 s2, 0x80
	v_cmp_eq_u16_e32 vcc, s2, v3
	s_mov_b64 s[18:19], -1
                                        ; implicit-def: $sgpr6_sgpr7
	s_and_saveexec_b64 s[2:3], vcc
; %bb.1192:
	s_mov_b32 s7, 0x7ff80000
	s_brev_b32 s6, 4
	s_xor_b64 s[18:19], exec, -1
; %bb.1193:
	s_or_b64 exec, exec, s[2:3]
	s_and_b64 s[2:3], s[18:19], exec
	s_or_saveexec_b64 s[16:17], s[16:17]
	v_pk_mov_b32 v[0:1], s[6:7], s[6:7] op_sel:[0,1]
	s_xor_b64 exec, exec, s[16:17]
	s_cbranch_execnz .LBB8_1211
.LBB8_1194:
	s_or_b64 exec, exec, s[16:17]
	s_and_saveexec_b64 s[6:7], s[2:3]
	s_cbranch_execz .LBB8_1196
.LBB8_1195:
	v_and_b32_e32 v1, 0xffff, v3
	v_lshlrev_b32_e32 v0, 24, v3
	v_and_b32_e32 v3, 7, v1
	v_ffbh_u32_e32 v7, v3
	v_min_u32_e32 v7, 32, v7
	v_subrev_u32_e32 v9, 28, v7
	v_bfe_u32 v5, v1, 3, 4
	v_lshlrev_b32_e32 v1, v9, v1
	v_sub_u32_e32 v7, 29, v7
	v_and_b32_e32 v1, 7, v1
	v_cmp_eq_u32_e32 vcc, 0, v5
	v_cndmask_b32_e32 v5, v5, v7, vcc
	v_cndmask_b32_e32 v1, v3, v1, vcc
	v_mov_b32_e32 v3, 0x3b800000
	v_lshlrev_b32_e32 v1, 20, v1
	v_and_b32_e32 v0, 0x80000000, v0
	v_lshl_add_u32 v3, v5, 23, v3
	v_or3_b32 v0, v0, v3, v1
	v_cvt_f64_f32_e32 v[0:1], v0
.LBB8_1196:
	s_or_b64 exec, exec, s[6:7]
.LBB8_1197:
	s_mov_b64 s[6:7], -1
.LBB8_1198:
	s_branch .LBB8_1230
.LBB8_1199:
	v_mov_b32_e32 v0, 22
	v_cmp_gt_i16_sdwa s[2:3], s22, v0 src0_sel:BYTE_0 src1_sel:DWORD
	s_and_b64 vcc, exec, s[2:3]
	s_cbranch_vccz .LBB8_1209
; %bb.1200:
	v_mov_b32_e32 v0, 24
	v_cmp_lt_i16_sdwa s[2:3], s22, v0 src0_sel:BYTE_0 src1_sel:DWORD
	s_and_b64 vcc, exec, s[2:3]
	s_cbranch_vccnz .LBB8_1212
; %bb.1201:
	v_cmp_gt_i16_sdwa s[2:3], s22, v0 src0_sel:BYTE_0 src1_sel:DWORD
	s_and_b64 vcc, exec, s[2:3]
	s_cbranch_vccz .LBB8_1213
; %bb.1202:
	global_load_ubyte v3, v[16:17], off
	s_movk_i32 s2, 0x7f
                                        ; implicit-def: $sgpr4_sgpr5
	s_waitcnt vmcnt(0)
	v_cmp_lt_i16_e32 vcc, s2, v3
	s_mov_b64 s[2:3], 0
	s_and_saveexec_b64 s[6:7], vcc
	s_xor_b64 s[6:7], exec, s[6:7]
	s_cbranch_execz .LBB8_1224
; %bb.1203:
	s_movk_i32 s2, 0x80
	v_cmp_eq_u16_e32 vcc, s2, v3
	s_mov_b64 s[16:17], -1
                                        ; implicit-def: $sgpr4_sgpr5
	s_and_saveexec_b64 s[2:3], vcc
; %bb.1204:
	s_mov_b32 s5, 0x7ff80000
	s_brev_b32 s4, 4
	s_xor_b64 s[16:17], exec, -1
; %bb.1205:
	s_or_b64 exec, exec, s[2:3]
	s_and_b64 s[2:3], s[16:17], exec
	s_or_saveexec_b64 s[6:7], s[6:7]
	v_pk_mov_b32 v[0:1], s[4:5], s[4:5] op_sel:[0,1]
	s_xor_b64 exec, exec, s[6:7]
	s_cbranch_execnz .LBB8_1225
.LBB8_1206:
	s_or_b64 exec, exec, s[6:7]
	s_and_saveexec_b64 s[4:5], s[2:3]
	s_cbranch_execz .LBB8_1208
.LBB8_1207:
	v_and_b32_e32 v1, 0xffff, v3
	v_lshlrev_b32_e32 v0, 24, v3
	v_and_b32_e32 v3, 3, v1
	v_ffbh_u32_e32 v7, v3
	v_min_u32_e32 v7, 32, v7
	v_subrev_u32_e32 v9, 29, v7
	v_bfe_u32 v5, v1, 2, 5
	v_lshlrev_b32_e32 v1, v9, v1
	v_sub_u32_e32 v7, 30, v7
	v_and_b32_e32 v1, 3, v1
	v_cmp_eq_u32_e32 vcc, 0, v5
	v_cndmask_b32_e32 v5, v5, v7, vcc
	v_cndmask_b32_e32 v1, v3, v1, vcc
	v_mov_b32_e32 v3, 0x37800000
	v_lshlrev_b32_e32 v1, 21, v1
	v_and_b32_e32 v0, 0x80000000, v0
	v_lshl_add_u32 v3, v5, 23, v3
	v_or3_b32 v0, v0, v3, v1
	v_cvt_f64_f32_e32 v[0:1], v0
.LBB8_1208:
	s_or_b64 exec, exec, s[4:5]
	s_mov_b64 s[2:3], 0
	s_branch .LBB8_1214
.LBB8_1209:
                                        ; implicit-def: $vgpr0_vgpr1
	s_mov_b64 s[4:5], 0
	s_branch .LBB8_1220
.LBB8_1210:
	s_or_saveexec_b64 s[16:17], s[16:17]
	v_pk_mov_b32 v[0:1], s[6:7], s[6:7] op_sel:[0,1]
	s_xor_b64 exec, exec, s[16:17]
	s_cbranch_execz .LBB8_1194
.LBB8_1211:
	v_cmp_ne_u16_e32 vcc, 0, v3
	s_andn2_b64 s[2:3], s[2:3], exec
	s_and_b64 s[6:7], vcc, exec
	v_pk_mov_b32 v[0:1], 0, 0
	s_or_b64 s[2:3], s[2:3], s[6:7]
	s_or_b64 exec, exec, s[16:17]
	s_and_saveexec_b64 s[6:7], s[2:3]
	s_cbranch_execnz .LBB8_1195
	s_branch .LBB8_1196
.LBB8_1212:
	s_mov_b64 s[2:3], -1
                                        ; implicit-def: $vgpr0_vgpr1
	s_branch .LBB8_1217
.LBB8_1213:
	s_mov_b64 s[2:3], -1
                                        ; implicit-def: $vgpr0_vgpr1
.LBB8_1214:
	s_and_b64 vcc, exec, s[2:3]
	s_cbranch_vccz .LBB8_1216
; %bb.1215:
	global_load_ubyte v0, v[16:17], off
	s_mov_b32 s2, 0x7f800000
	s_waitcnt vmcnt(0)
	v_lshlrev_b32_e32 v0, 24, v0
	v_and_b32_e32 v1, 0x7f000000, v0
	v_ffbh_u32_e32 v3, v1
	v_min_u32_e32 v3, 32, v3
	v_sub_u32_e64 v3, v3, 4 clamp
	v_lshlrev_b32_e32 v7, v3, v1
	v_lshlrev_b32_e32 v3, 23, v3
	v_lshrrev_b32_e32 v7, 4, v7
	v_add_u32_e32 v5, 0x1000000, v1
	v_sub_u32_e32 v3, v7, v3
	v_ashrrev_i32_e32 v5, 8, v5
	v_add_u32_e32 v3, 0x3c000000, v3
	v_and_or_b32 v3, v5, s2, v3
	v_cmp_ne_u32_e32 vcc, 0, v1
	v_cndmask_b32_e32 v1, 0, v3, vcc
	s_brev_b32 s2, 1
	v_and_or_b32 v0, v0, s2, v1
	v_cvt_f64_f32_e32 v[0:1], v0
.LBB8_1216:
	s_mov_b64 s[2:3], 0
.LBB8_1217:
	s_andn2_b64 vcc, exec, s[2:3]
	s_cbranch_vccnz .LBB8_1219
; %bb.1218:
	global_load_ubyte v0, v[16:17], off
	s_movk_i32 s2, 0x7f00
	s_brev_b32 s3, 16
	s_waitcnt vmcnt(0)
	v_lshlrev_b16_e32 v1, 8, v0
	v_lshlrev_b32_e32 v0, 25, v0
	v_lshrrev_b32_e32 v3, 4, v0
	v_and_or_b32 v5, v1, s2, 0.5
	v_or_b32_e32 v3, 0x70000000, v3
	v_add_f32_e32 v5, -0.5, v5
	v_mul_f32_e32 v3, 0x7800000, v3
	v_cmp_gt_u32_e32 vcc, s3, v0
	v_bfe_i32 v1, v1, 0, 16
	v_cndmask_b32_e32 v0, v3, v5, vcc
	s_brev_b32 s2, 1
	v_and_or_b32 v0, v1, s2, v0
	v_cvt_f64_f32_e32 v[0:1], v0
.LBB8_1219:
	s_mov_b64 s[6:7], -1
	s_mov_b64 s[4:5], 0
	s_cbranch_execnz .LBB8_1230
.LBB8_1220:
	v_mov_b32_e32 v0, 14
	v_cmp_gt_i16_sdwa s[2:3], s22, v0 src0_sel:BYTE_0 src1_sel:DWORD
	s_and_b64 vcc, exec, s[2:3]
	s_cbranch_vccz .LBB8_1223
; %bb.1221:
	v_mov_b32_e32 v0, 15
	v_cmp_eq_u16_sdwa s[0:1], s22, v0 src0_sel:BYTE_0 src1_sel:DWORD
	s_and_b64 vcc, exec, s[0:1]
	s_cbranch_vccz .LBB8_1226
; %bb.1222:
	global_load_ushort v0, v[16:17], off
	s_mov_b64 s[0:1], 0
	s_mov_b64 s[6:7], -1
	s_waitcnt vmcnt(0)
	v_lshlrev_b32_e32 v0, 16, v0
	v_cvt_f64_f32_e32 v[0:1], v0
	s_branch .LBB8_1227
.LBB8_1223:
	s_mov_b64 s[2:3], -1
                                        ; implicit-def: $vgpr0_vgpr1
	s_branch .LBB8_1228
.LBB8_1224:
	s_or_saveexec_b64 s[6:7], s[6:7]
	v_pk_mov_b32 v[0:1], s[4:5], s[4:5] op_sel:[0,1]
	s_xor_b64 exec, exec, s[6:7]
	s_cbranch_execz .LBB8_1206
.LBB8_1225:
	v_cmp_ne_u16_e32 vcc, 0, v3
	s_andn2_b64 s[2:3], s[2:3], exec
	s_and_b64 s[4:5], vcc, exec
	v_pk_mov_b32 v[0:1], 0, 0
	s_or_b64 s[2:3], s[2:3], s[4:5]
	s_or_b64 exec, exec, s[6:7]
	s_and_saveexec_b64 s[4:5], s[2:3]
	s_cbranch_execnz .LBB8_1207
	s_branch .LBB8_1208
.LBB8_1226:
	s_mov_b64 s[0:1], -1
                                        ; implicit-def: $vgpr0_vgpr1
.LBB8_1227:
	s_mov_b64 s[2:3], 0
.LBB8_1228:
	s_and_b64 vcc, exec, s[2:3]
	s_cbranch_vccz .LBB8_1230
; %bb.1229:
	v_mov_b32_e32 v0, 11
	v_cmp_ne_u16_sdwa s[0:1], s22, v0 src0_sel:BYTE_0 src1_sel:DWORD
	s_mov_b64 s[4:5], -1
                                        ; implicit-def: $vgpr0_vgpr1
.LBB8_1230:
	s_and_b64 vcc, exec, s[0:1]
	s_mov_b64 s[2:3], s[28:29]
	s_cbranch_vccnz .LBB8_1293
; %bb.1231:
	s_andn2_b64 vcc, exec, s[4:5]
	s_cbranch_vccnz .LBB8_1233
.LBB8_1232:
	global_load_ubyte v1, v[16:17], off
	v_mov_b32_e32 v3, 0x3ff00000
	v_mov_b32_e32 v0, 0
	s_mov_b64 s[6:7], -1
	s_waitcnt vmcnt(0)
	v_cmp_ne_u16_e32 vcc, 0, v1
	v_cndmask_b32_e32 v1, 0, v3, vcc
.LBB8_1233:
	s_branch .LBB8_1163
.LBB8_1234:
	v_mov_b32_e32 v0, 5
	v_cmp_lt_i16_sdwa s[0:1], s22, v0 src0_sel:BYTE_0 src1_sel:DWORD
	s_and_b64 vcc, exec, s[0:1]
	s_cbranch_vccnz .LBB8_1239
; %bb.1235:
	v_mov_b32_e32 v0, 8
	v_cmp_lt_i16_sdwa s[0:1], s22, v0 src0_sel:BYTE_0 src1_sel:DWORD
	s_and_b64 vcc, exec, s[0:1]
	s_cbranch_vccnz .LBB8_1240
; %bb.1236:
	;; [unrolled: 5-line block ×3, first 2 shown]
	v_cmp_gt_i16_sdwa s[0:1], s22, v0 src0_sel:BYTE_0 src1_sel:DWORD
	s_and_b64 vcc, exec, s[0:1]
	s_cbranch_vccz .LBB8_1242
; %bb.1238:
	global_load_dwordx2 v[0:1], v[16:17], off
	s_mov_b64 s[0:1], 0
	s_branch .LBB8_1243
.LBB8_1239:
                                        ; implicit-def: $vgpr0_vgpr1
	s_branch .LBB8_1260
.LBB8_1240:
                                        ; implicit-def: $vgpr0_vgpr1
	s_branch .LBB8_1249
.LBB8_1241:
	s_mov_b64 s[0:1], -1
                                        ; implicit-def: $vgpr0_vgpr1
	s_branch .LBB8_1246
.LBB8_1242:
	s_mov_b64 s[0:1], -1
                                        ; implicit-def: $vgpr0_vgpr1
.LBB8_1243:
	s_andn2_b64 vcc, exec, s[0:1]
	s_cbranch_vccnz .LBB8_1245
; %bb.1244:
	global_load_dword v0, v[16:17], off
	s_waitcnt vmcnt(0)
	v_cvt_f64_f32_e32 v[0:1], v0
.LBB8_1245:
	s_mov_b64 s[0:1], 0
.LBB8_1246:
	s_andn2_b64 vcc, exec, s[0:1]
	s_cbranch_vccnz .LBB8_1248
; %bb.1247:
	global_load_dword v0, v[16:17], off
	s_waitcnt vmcnt(0)
	v_cvt_f32_f16_e32 v0, v0
	v_cvt_f64_f32_e32 v[0:1], v0
.LBB8_1248:
	s_cbranch_execnz .LBB8_1259
.LBB8_1249:
	s_waitcnt vmcnt(0)
	v_mov_b32_e32 v0, 6
	v_cmp_lt_i16_sdwa s[0:1], s22, v0 src0_sel:BYTE_0 src1_sel:DWORD
	s_and_b64 vcc, exec, s[0:1]
	s_cbranch_vccnz .LBB8_1252
; %bb.1250:
	v_cmp_gt_i16_sdwa s[0:1], s22, v0 src0_sel:BYTE_0 src1_sel:DWORD
	s_and_b64 vcc, exec, s[0:1]
	s_cbranch_vccz .LBB8_1253
; %bb.1251:
	global_load_dwordx2 v[0:1], v[16:17], off
	s_mov_b64 s[0:1], 0
	s_branch .LBB8_1254
.LBB8_1252:
	s_mov_b64 s[0:1], -1
                                        ; implicit-def: $vgpr0_vgpr1
	s_branch .LBB8_1257
.LBB8_1253:
	s_mov_b64 s[0:1], -1
                                        ; implicit-def: $vgpr0_vgpr1
.LBB8_1254:
	s_andn2_b64 vcc, exec, s[0:1]
	s_cbranch_vccnz .LBB8_1256
; %bb.1255:
	global_load_dword v0, v[16:17], off
	s_waitcnt vmcnt(0)
	v_cvt_f64_f32_e32 v[0:1], v0
.LBB8_1256:
	s_mov_b64 s[0:1], 0
.LBB8_1257:
	s_andn2_b64 vcc, exec, s[0:1]
	s_cbranch_vccnz .LBB8_1259
; %bb.1258:
	global_load_ushort v0, v[16:17], off
	s_waitcnt vmcnt(0)
	v_cvt_f32_f16_e32 v0, v0
	v_cvt_f64_f32_e32 v[0:1], v0
.LBB8_1259:
	s_cbranch_execnz .LBB8_1278
.LBB8_1260:
	s_waitcnt vmcnt(0)
	v_mov_b32_e32 v0, 2
	v_cmp_lt_i16_sdwa s[0:1], s22, v0 src0_sel:BYTE_0 src1_sel:DWORD
	s_and_b64 vcc, exec, s[0:1]
	s_cbranch_vccnz .LBB8_1264
; %bb.1261:
	v_mov_b32_e32 v0, 3
	v_cmp_lt_i16_sdwa s[0:1], s22, v0 src0_sel:BYTE_0 src1_sel:DWORD
	s_and_b64 vcc, exec, s[0:1]
	s_cbranch_vccnz .LBB8_1265
; %bb.1262:
	v_cmp_gt_i16_sdwa s[0:1], s22, v0 src0_sel:BYTE_0 src1_sel:DWORD
	s_and_b64 vcc, exec, s[0:1]
	s_cbranch_vccz .LBB8_1266
; %bb.1263:
	global_load_dwordx2 v[0:1], v[16:17], off
	s_mov_b64 s[0:1], 0
	s_waitcnt vmcnt(0)
	v_cvt_f64_i32_e32 v[18:19], v1
	v_cvt_f64_u32_e32 v[0:1], v0
	v_ldexp_f64 v[18:19], v[18:19], 32
	v_add_f64 v[0:1], v[18:19], v[0:1]
	s_branch .LBB8_1267
.LBB8_1264:
                                        ; implicit-def: $vgpr0_vgpr1
	s_branch .LBB8_1273
.LBB8_1265:
	s_mov_b64 s[0:1], -1
                                        ; implicit-def: $vgpr0_vgpr1
	s_branch .LBB8_1270
.LBB8_1266:
	s_mov_b64 s[0:1], -1
                                        ; implicit-def: $vgpr0_vgpr1
.LBB8_1267:
	s_andn2_b64 vcc, exec, s[0:1]
	s_cbranch_vccnz .LBB8_1269
; %bb.1268:
	global_load_dword v0, v[16:17], off
	s_waitcnt vmcnt(0)
	v_cvt_f64_i32_e32 v[0:1], v0
.LBB8_1269:
	s_mov_b64 s[0:1], 0
.LBB8_1270:
	s_andn2_b64 vcc, exec, s[0:1]
	s_cbranch_vccnz .LBB8_1272
; %bb.1271:
	global_load_sshort v0, v[16:17], off
	s_waitcnt vmcnt(0)
	v_cvt_f64_i32_e32 v[0:1], v0
.LBB8_1272:
	s_cbranch_execnz .LBB8_1278
.LBB8_1273:
	v_mov_b32_e32 v0, 0
	v_cmp_gt_i16_sdwa s[0:1], s22, v0 src0_sel:BYTE_0 src1_sel:DWORD
	s_and_b64 vcc, exec, s[0:1]
	s_cbranch_vccz .LBB8_1275
; %bb.1274:
	global_load_sbyte v0, v[16:17], off
	s_mov_b64 s[0:1], 0
	s_waitcnt vmcnt(0)
	v_cvt_f64_i32_e32 v[0:1], v0
	s_branch .LBB8_1276
.LBB8_1275:
	s_mov_b64 s[0:1], -1
                                        ; implicit-def: $vgpr0_vgpr1
.LBB8_1276:
	s_andn2_b64 vcc, exec, s[0:1]
	s_cbranch_vccnz .LBB8_1278
; %bb.1277:
	global_load_ubyte v0, v[16:17], off
	s_waitcnt vmcnt(0)
	v_cvt_f64_u32_e32 v[0:1], v0
.LBB8_1278:
.LBB8_1279:
	s_waitcnt vmcnt(0)
	v_cvt_f32_f64_e32 v3, v[0:1]
	s_mov_b32 s0, 0x7f800000
	v_cmp_nlg_f32_e64 s[4:5], |v3|, s0
	s_and_saveexec_b64 s[0:1], s[4:5]
	s_cbranch_execz .LBB8_1281
; %bb.1280:
	v_mov_b32_e32 v3, 0
	v_mov_b32_e32 v5, 1.0
	global_store_dword v3, v5, s[12:13]
.LBB8_1281:
	s_or_b64 exec, exec, s[0:1]
	v_mov_b32_e32 v3, 0
	global_load_dword v3, v3, s[14:15]
	v_mov_b32_e32 v5, s11
	v_add_co_u32_e32 v16, vcc, s10, v10
	v_addc_co_u32_e32 v17, vcc, 0, v5, vcc
	v_mov_b32_e32 v5, 11
	v_cmp_lt_i16_sdwa s[0:1], s22, v5 src0_sel:BYTE_0 src1_sel:DWORD
	s_and_b64 vcc, exec, s[0:1]
	s_cbranch_vccnz .LBB8_1288
; %bb.1282:
	v_mov_b32_e32 v5, 25
	v_cmp_gt_i16_sdwa s[0:1], s22, v5 src0_sel:BYTE_0 src1_sel:DWORD
	s_mov_b64 s[4:5], 0
	s_and_b64 vcc, exec, s[0:1]
	s_cbranch_vccz .LBB8_1290
; %bb.1283:
	v_mov_b32_e32 v5, 28
	v_cmp_gt_i16_sdwa s[0:1], s22, v5 src0_sel:BYTE_0 src1_sel:DWORD
	s_and_b64 vcc, exec, s[0:1]
	s_cbranch_vccz .LBB8_1291
; %bb.1284:
	v_mov_b32_e32 v5, 43
	v_cmp_gt_i16_sdwa s[0:1], s22, v5 src0_sel:BYTE_0 src1_sel:DWORD
	;; [unrolled: 5-line block ×3, first 2 shown]
	s_and_b64 vcc, exec, s[0:1]
	s_cbranch_vccz .LBB8_1294
; %bb.1286:
	v_mov_b32_e32 v5, 46
	v_cmp_eq_u16_sdwa s[0:1], s22, v5 src0_sel:BYTE_0 src1_sel:DWORD
	s_mov_b64 s[16:17], 0
	s_and_b64 vcc, exec, s[0:1]
	s_cbranch_vccz .LBB8_1297
; %bb.1287:
	global_load_dword v5, v[16:17], off
	s_mov_b64 s[0:1], 0
	s_mov_b64 s[6:7], -1
	s_waitcnt vmcnt(0)
	v_lshlrev_b32_e32 v5, 16, v5
	v_cvt_f64_f32_e32 v[10:11], v5
	s_branch .LBB8_1298
.LBB8_1288:
	s_mov_b64 s[6:7], 0
                                        ; implicit-def: $vgpr10_vgpr11
	s_cbranch_execnz .LBB8_1363
.LBB8_1289:
	s_andn2_b64 vcc, exec, s[6:7]
	s_cbranch_vccnz .LBB8_2060
	s_branch .LBB8_1410
.LBB8_1290:
	s_mov_b64 s[6:7], 0
	s_mov_b64 s[0:1], 0
                                        ; implicit-def: $vgpr10_vgpr11
	s_cbranch_execnz .LBB8_1327
	s_branch .LBB8_1359
.LBB8_1291:
	s_mov_b64 s[16:17], -1
	s_mov_b64 s[6:7], 0
	s_mov_b64 s[0:1], 0
                                        ; implicit-def: $vgpr10_vgpr11
	s_branch .LBB8_1308
.LBB8_1292:
	s_mov_b64 s[16:17], -1
	s_mov_b64 s[6:7], 0
	s_mov_b64 s[0:1], 0
                                        ; implicit-def: $vgpr10_vgpr11
	s_branch .LBB8_1303
.LBB8_1293:
	s_or_b64 s[2:3], s[28:29], exec
	s_trap 2
                                        ; implicit-def: $vgpr0_vgpr1
	s_cbranch_execz .LBB8_1232
	s_branch .LBB8_1233
.LBB8_1294:
	s_mov_b64 s[16:17], -1
	s_mov_b64 s[6:7], 0
	s_mov_b64 s[0:1], 0
                                        ; implicit-def: $vgpr10_vgpr11
	s_branch .LBB8_1298
.LBB8_1295:
	s_or_saveexec_b64 s[16:17], s[16:17]
                                        ; implicit-def: $sgpr18
	s_xor_b64 exec, exec, s[16:17]
	s_cbranch_execz .LBB8_1019
.LBB8_1296:
	s_mov_b32 s18, 0x42800000
	v_add_f32_e64 v3, |v2|, s18
	v_and_b32_e32 v3, 0xff, v3
	v_cmp_ne_u32_e32 vcc, 0, v3
	s_andn2_b64 s[14:15], s[14:15], exec
	s_and_b64 s[20:21], vcc, exec
	s_mov_b32 s18, 0
	s_or_b64 s[14:15], s[14:15], s[20:21]
	s_or_b64 exec, exec, s[16:17]
	v_mov_b32_e32 v6, s18
	s_and_saveexec_b64 s[16:17], s[14:15]
	s_cbranch_execnz .LBB8_1020
	s_branch .LBB8_1021
.LBB8_1297:
	s_mov_b64 s[0:1], -1
                                        ; implicit-def: $vgpr10_vgpr11
	s_mov_b64 s[6:7], 0
.LBB8_1298:
	s_and_b64 vcc, exec, s[16:17]
	s_cbranch_vccz .LBB8_1302
; %bb.1299:
	v_mov_b32_e32 v5, 44
	v_cmp_eq_u16_sdwa s[0:1], s22, v5 src0_sel:BYTE_0 src1_sel:DWORD
	s_and_b64 vcc, exec, s[0:1]
	s_cbranch_vccz .LBB8_1301
; %bb.1300:
	global_load_ubyte v5, v[16:17], off
	s_movk_i32 s6, 0xff
	v_bfrev_b32_e32 v7, 4
	v_mov_b32_e32 v9, 0x7ff80000
	v_bfrev_b32_e32 v13, 28
	s_mov_b64 s[0:1], 0
	s_waitcnt vmcnt(0)
	v_lshlrev_b32_e32 v10, 23, v5
	v_cvt_f64_f32_e32 v[10:11], v10
	v_cmp_ne_u32_e32 vcc, s6, v5
	v_cndmask_b32_e32 v7, v7, v10, vcc
	v_cndmask_b32_e32 v9, v9, v11, vcc
	v_cmp_ne_u32_e32 vcc, 0, v5
	v_cndmask_b32_e32 v11, v13, v9, vcc
	v_cndmask_b32_e32 v10, 0, v7, vcc
	s_mov_b64 s[6:7], -1
	s_branch .LBB8_1302
.LBB8_1301:
	s_mov_b64 s[0:1], -1
                                        ; implicit-def: $vgpr10_vgpr11
.LBB8_1302:
	s_mov_b64 s[16:17], 0
.LBB8_1303:
	s_and_b64 vcc, exec, s[16:17]
	s_cbranch_vccz .LBB8_1307
; %bb.1304:
	v_mov_b32_e32 v5, 29
	v_cmp_eq_u16_sdwa s[0:1], s22, v5 src0_sel:BYTE_0 src1_sel:DWORD
	s_and_b64 vcc, exec, s[0:1]
	s_cbranch_vccz .LBB8_1306
; %bb.1305:
	global_load_dwordx2 v[10:11], v[16:17], off
	s_mov_b64 s[0:1], 0
	s_mov_b64 s[6:7], -1
	s_mov_b64 s[16:17], 0
	s_waitcnt vmcnt(0)
	v_cvt_f64_u32_e32 v[18:19], v11
	v_cvt_f64_u32_e32 v[10:11], v10
	v_ldexp_f64 v[18:19], v[18:19], 32
	v_add_f64 v[10:11], v[18:19], v[10:11]
	s_branch .LBB8_1308
.LBB8_1306:
	s_mov_b64 s[0:1], -1
                                        ; implicit-def: $vgpr10_vgpr11
.LBB8_1307:
	s_mov_b64 s[16:17], 0
.LBB8_1308:
	s_and_b64 vcc, exec, s[16:17]
	s_cbranch_vccz .LBB8_1326
; %bb.1309:
	v_mov_b32_e32 v5, 27
	v_cmp_lt_i16_sdwa s[6:7], s22, v5 src0_sel:BYTE_0 src1_sel:DWORD
	s_and_b64 vcc, exec, s[6:7]
	s_cbranch_vccnz .LBB8_1312
; %bb.1310:
	v_cmp_gt_i16_sdwa s[6:7], s22, v5 src0_sel:BYTE_0 src1_sel:DWORD
	s_and_b64 vcc, exec, s[6:7]
	s_cbranch_vccz .LBB8_1313
; %bb.1311:
	global_load_dword v5, v[16:17], off
	s_mov_b64 s[6:7], 0
	s_waitcnt vmcnt(0)
	v_cvt_f64_u32_e32 v[10:11], v5
	s_branch .LBB8_1314
.LBB8_1312:
	s_mov_b64 s[6:7], -1
                                        ; implicit-def: $vgpr10_vgpr11
	s_branch .LBB8_1317
.LBB8_1313:
	s_mov_b64 s[6:7], -1
                                        ; implicit-def: $vgpr10_vgpr11
.LBB8_1314:
	s_andn2_b64 vcc, exec, s[6:7]
	s_cbranch_vccnz .LBB8_1316
; %bb.1315:
	global_load_ushort v5, v[16:17], off
	s_waitcnt vmcnt(0)
	v_cvt_f64_u32_e32 v[10:11], v5
.LBB8_1316:
	s_mov_b64 s[6:7], 0
.LBB8_1317:
	s_andn2_b64 vcc, exec, s[6:7]
	s_cbranch_vccnz .LBB8_1325
; %bb.1318:
	global_load_ubyte v5, v[16:17], off
	s_movk_i32 s6, 0x7f
                                        ; implicit-def: $sgpr16_sgpr17
	s_waitcnt vmcnt(0)
	v_cmp_lt_i16_e32 vcc, s6, v5
	s_mov_b64 s[6:7], 0
	s_and_saveexec_b64 s[18:19], vcc
	s_xor_b64 s[18:19], exec, s[18:19]
	s_cbranch_execz .LBB8_1338
; %bb.1319:
	s_movk_i32 s6, 0x80
	v_cmp_eq_u16_e32 vcc, s6, v5
	s_mov_b64 s[20:21], -1
                                        ; implicit-def: $sgpr16_sgpr17
	s_and_saveexec_b64 s[6:7], vcc
; %bb.1320:
	s_mov_b32 s17, 0x7ff80000
	s_brev_b32 s16, 4
	s_xor_b64 s[20:21], exec, -1
; %bb.1321:
	s_or_b64 exec, exec, s[6:7]
	s_and_b64 s[6:7], s[20:21], exec
	s_or_saveexec_b64 s[18:19], s[18:19]
	v_pk_mov_b32 v[10:11], s[16:17], s[16:17] op_sel:[0,1]
	s_xor_b64 exec, exec, s[18:19]
	s_cbranch_execnz .LBB8_1339
.LBB8_1322:
	s_or_b64 exec, exec, s[18:19]
	s_and_saveexec_b64 s[16:17], s[6:7]
	s_cbranch_execz .LBB8_1324
.LBB8_1323:
	v_lshlrev_b32_e32 v7, 24, v5
	v_and_b32_e32 v5, 0xffff, v5
	v_and_b32_e32 v9, 7, v5
	v_ffbh_u32_e32 v11, v9
	v_min_u32_e32 v11, 32, v11
	v_subrev_u32_e32 v13, 28, v11
	v_bfe_u32 v10, v5, 3, 4
	v_lshlrev_b32_e32 v5, v13, v5
	v_sub_u32_e32 v11, 29, v11
	v_and_b32_e32 v5, 7, v5
	v_cmp_eq_u32_e32 vcc, 0, v10
	v_cndmask_b32_e32 v10, v10, v11, vcc
	v_cndmask_b32_e32 v5, v9, v5, vcc
	v_mov_b32_e32 v9, 0x3b800000
	v_lshlrev_b32_e32 v5, 20, v5
	v_and_b32_e32 v7, 0x80000000, v7
	v_lshl_add_u32 v9, v10, 23, v9
	v_or3_b32 v5, v7, v9, v5
	v_cvt_f64_f32_e32 v[10:11], v5
.LBB8_1324:
	s_or_b64 exec, exec, s[16:17]
.LBB8_1325:
	s_mov_b64 s[6:7], -1
.LBB8_1326:
	s_branch .LBB8_1359
.LBB8_1327:
	v_mov_b32_e32 v5, 22
	v_cmp_gt_i16_sdwa s[4:5], s22, v5 src0_sel:BYTE_0 src1_sel:DWORD
	s_and_b64 vcc, exec, s[4:5]
	s_cbranch_vccz .LBB8_1337
; %bb.1328:
	v_mov_b32_e32 v5, 24
	v_cmp_lt_i16_sdwa s[4:5], s22, v5 src0_sel:BYTE_0 src1_sel:DWORD
	s_and_b64 vcc, exec, s[4:5]
	s_cbranch_vccnz .LBB8_1340
; %bb.1329:
	v_cmp_gt_i16_sdwa s[4:5], s22, v5 src0_sel:BYTE_0 src1_sel:DWORD
	s_and_b64 vcc, exec, s[4:5]
	s_cbranch_vccz .LBB8_1341
; %bb.1330:
	global_load_ubyte v5, v[16:17], off
	s_movk_i32 s4, 0x7f
                                        ; implicit-def: $sgpr6_sgpr7
	s_waitcnt vmcnt(0)
	v_cmp_lt_i16_e32 vcc, s4, v5
	s_mov_b64 s[4:5], 0
	s_and_saveexec_b64 s[16:17], vcc
	s_xor_b64 s[16:17], exec, s[16:17]
	s_cbranch_execz .LBB8_1353
; %bb.1331:
	s_movk_i32 s4, 0x80
	v_cmp_eq_u16_e32 vcc, s4, v5
	s_mov_b64 s[18:19], -1
                                        ; implicit-def: $sgpr6_sgpr7
	s_and_saveexec_b64 s[4:5], vcc
; %bb.1332:
	s_mov_b32 s7, 0x7ff80000
	s_brev_b32 s6, 4
	s_xor_b64 s[18:19], exec, -1
; %bb.1333:
	s_or_b64 exec, exec, s[4:5]
	s_and_b64 s[4:5], s[18:19], exec
	s_or_saveexec_b64 s[16:17], s[16:17]
	v_pk_mov_b32 v[10:11], s[6:7], s[6:7] op_sel:[0,1]
	s_xor_b64 exec, exec, s[16:17]
	s_cbranch_execnz .LBB8_1354
.LBB8_1334:
	s_or_b64 exec, exec, s[16:17]
	s_and_saveexec_b64 s[6:7], s[4:5]
	s_cbranch_execz .LBB8_1336
.LBB8_1335:
	v_lshlrev_b32_e32 v7, 24, v5
	v_and_b32_e32 v5, 0xffff, v5
	v_and_b32_e32 v9, 3, v5
	v_ffbh_u32_e32 v11, v9
	v_min_u32_e32 v11, 32, v11
	v_subrev_u32_e32 v13, 29, v11
	v_bfe_u32 v10, v5, 2, 5
	v_lshlrev_b32_e32 v5, v13, v5
	v_sub_u32_e32 v11, 30, v11
	v_and_b32_e32 v5, 3, v5
	v_cmp_eq_u32_e32 vcc, 0, v10
	v_cndmask_b32_e32 v10, v10, v11, vcc
	v_cndmask_b32_e32 v5, v9, v5, vcc
	v_mov_b32_e32 v9, 0x37800000
	v_lshlrev_b32_e32 v5, 21, v5
	v_and_b32_e32 v7, 0x80000000, v7
	v_lshl_add_u32 v9, v10, 23, v9
	v_or3_b32 v5, v7, v9, v5
	v_cvt_f64_f32_e32 v[10:11], v5
.LBB8_1336:
	s_or_b64 exec, exec, s[6:7]
	s_mov_b64 s[4:5], 0
	s_branch .LBB8_1342
.LBB8_1337:
	s_mov_b64 s[4:5], -1
                                        ; implicit-def: $vgpr10_vgpr11
	s_branch .LBB8_1348
.LBB8_1338:
	s_or_saveexec_b64 s[18:19], s[18:19]
	v_pk_mov_b32 v[10:11], s[16:17], s[16:17] op_sel:[0,1]
	s_xor_b64 exec, exec, s[18:19]
	s_cbranch_execz .LBB8_1322
.LBB8_1339:
	v_cmp_ne_u16_e32 vcc, 0, v5
	s_andn2_b64 s[6:7], s[6:7], exec
	s_and_b64 s[16:17], vcc, exec
	v_pk_mov_b32 v[10:11], 0, 0
	s_or_b64 s[6:7], s[6:7], s[16:17]
	s_or_b64 exec, exec, s[18:19]
	s_and_saveexec_b64 s[16:17], s[6:7]
	s_cbranch_execnz .LBB8_1323
	s_branch .LBB8_1324
.LBB8_1340:
	s_mov_b64 s[4:5], -1
                                        ; implicit-def: $vgpr10_vgpr11
	s_branch .LBB8_1345
.LBB8_1341:
	s_mov_b64 s[4:5], -1
                                        ; implicit-def: $vgpr10_vgpr11
.LBB8_1342:
	s_and_b64 vcc, exec, s[4:5]
	s_cbranch_vccz .LBB8_1344
; %bb.1343:
	global_load_ubyte v5, v[16:17], off
	s_mov_b32 s4, 0x7f800000
	s_waitcnt vmcnt(0)
	v_lshlrev_b32_e32 v5, 24, v5
	v_and_b32_e32 v7, 0x7f000000, v5
	v_ffbh_u32_e32 v9, v7
	v_min_u32_e32 v9, 32, v9
	v_sub_u32_e64 v9, v9, 4 clamp
	v_lshlrev_b32_e32 v11, v9, v7
	v_lshlrev_b32_e32 v9, 23, v9
	v_lshrrev_b32_e32 v11, 4, v11
	v_add_u32_e32 v10, 0x1000000, v7
	v_sub_u32_e32 v9, v11, v9
	v_ashrrev_i32_e32 v10, 8, v10
	v_add_u32_e32 v9, 0x3c000000, v9
	v_and_or_b32 v9, v10, s4, v9
	v_cmp_ne_u32_e32 vcc, 0, v7
	v_cndmask_b32_e32 v7, 0, v9, vcc
	s_brev_b32 s4, 1
	v_and_or_b32 v5, v5, s4, v7
	v_cvt_f64_f32_e32 v[10:11], v5
.LBB8_1344:
	s_mov_b64 s[4:5], 0
.LBB8_1345:
	s_andn2_b64 vcc, exec, s[4:5]
	s_cbranch_vccnz .LBB8_1347
; %bb.1346:
	global_load_ubyte v5, v[16:17], off
	s_movk_i32 s4, 0x7f00
	s_brev_b32 s5, 16
	s_waitcnt vmcnt(0)
	v_lshlrev_b16_e32 v7, 8, v5
	v_lshlrev_b32_e32 v5, 25, v5
	v_lshrrev_b32_e32 v9, 4, v5
	v_and_or_b32 v10, v7, s4, 0.5
	v_or_b32_e32 v9, 0x70000000, v9
	v_add_f32_e32 v10, -0.5, v10
	v_mul_f32_e32 v9, 0x7800000, v9
	v_cmp_gt_u32_e32 vcc, s5, v5
	v_bfe_i32 v7, v7, 0, 16
	v_cndmask_b32_e32 v5, v9, v10, vcc
	s_brev_b32 s4, 1
	v_and_or_b32 v5, v7, s4, v5
	v_cvt_f64_f32_e32 v[10:11], v5
.LBB8_1347:
	s_mov_b64 s[4:5], 0
	s_mov_b64 s[6:7], -1
.LBB8_1348:
	s_andn2_b64 vcc, exec, s[4:5]
	s_mov_b64 s[4:5], 0
	s_cbranch_vccnz .LBB8_1359
; %bb.1349:
	v_mov_b32_e32 v5, 14
	v_cmp_gt_i16_sdwa s[4:5], s22, v5 src0_sel:BYTE_0 src1_sel:DWORD
	s_and_b64 vcc, exec, s[4:5]
	s_cbranch_vccz .LBB8_1352
; %bb.1350:
	v_mov_b32_e32 v5, 15
	v_cmp_eq_u16_sdwa s[0:1], s22, v5 src0_sel:BYTE_0 src1_sel:DWORD
	s_and_b64 vcc, exec, s[0:1]
	s_cbranch_vccz .LBB8_1355
; %bb.1351:
	global_load_ushort v5, v[16:17], off
	s_mov_b64 s[0:1], 0
	s_mov_b64 s[6:7], -1
	s_waitcnt vmcnt(0)
	v_lshlrev_b32_e32 v5, 16, v5
	v_cvt_f64_f32_e32 v[10:11], v5
	s_branch .LBB8_1356
.LBB8_1352:
	s_mov_b64 s[16:17], -1
                                        ; implicit-def: $vgpr10_vgpr11
	s_branch .LBB8_1357
.LBB8_1353:
	s_or_saveexec_b64 s[16:17], s[16:17]
	v_pk_mov_b32 v[10:11], s[6:7], s[6:7] op_sel:[0,1]
	s_xor_b64 exec, exec, s[16:17]
	s_cbranch_execz .LBB8_1334
.LBB8_1354:
	v_cmp_ne_u16_e32 vcc, 0, v5
	s_andn2_b64 s[4:5], s[4:5], exec
	s_and_b64 s[6:7], vcc, exec
	v_pk_mov_b32 v[10:11], 0, 0
	s_or_b64 s[4:5], s[4:5], s[6:7]
	s_or_b64 exec, exec, s[16:17]
	s_and_saveexec_b64 s[6:7], s[4:5]
	s_cbranch_execnz .LBB8_1335
	s_branch .LBB8_1336
.LBB8_1355:
	s_mov_b64 s[0:1], -1
                                        ; implicit-def: $vgpr10_vgpr11
.LBB8_1356:
	s_mov_b64 s[16:17], 0
.LBB8_1357:
	s_mov_b64 s[4:5], 0
	s_and_b64 vcc, exec, s[16:17]
	s_cbranch_vccz .LBB8_1359
; %bb.1358:
	v_mov_b32_e32 v5, 11
	v_cmp_ne_u16_sdwa s[0:1], s22, v5 src0_sel:BYTE_0 src1_sel:DWORD
	s_mov_b64 s[4:5], -1
                                        ; implicit-def: $vgpr10_vgpr11
.LBB8_1359:
	s_and_b64 vcc, exec, s[0:1]
	s_cbranch_vccnz .LBB8_1424
; %bb.1360:
	s_andn2_b64 vcc, exec, s[4:5]
	s_cbranch_vccnz .LBB8_1362
.LBB8_1361:
	global_load_ubyte v5, v[16:17], off
	v_mov_b32_e32 v7, 0x3ff00000
	v_mov_b32_e32 v10, 0
	s_mov_b64 s[6:7], -1
	s_waitcnt vmcnt(0)
	v_cmp_ne_u16_e32 vcc, 0, v5
	v_cndmask_b32_e32 v11, 0, v7, vcc
.LBB8_1362:
	s_branch .LBB8_1289
.LBB8_1363:
	v_mov_b32_e32 v5, 5
	v_cmp_lt_i16_sdwa s[0:1], s22, v5 src0_sel:BYTE_0 src1_sel:DWORD
	s_and_b64 vcc, exec, s[0:1]
	s_cbranch_vccnz .LBB8_1368
; %bb.1364:
	v_mov_b32_e32 v5, 8
	v_cmp_lt_i16_sdwa s[0:1], s22, v5 src0_sel:BYTE_0 src1_sel:DWORD
	s_and_b64 vcc, exec, s[0:1]
	s_cbranch_vccnz .LBB8_1369
; %bb.1365:
	;; [unrolled: 5-line block ×3, first 2 shown]
	v_cmp_gt_i16_sdwa s[0:1], s22, v5 src0_sel:BYTE_0 src1_sel:DWORD
	s_and_b64 vcc, exec, s[0:1]
	s_cbranch_vccz .LBB8_1371
; %bb.1367:
	global_load_dwordx2 v[10:11], v[16:17], off
	s_mov_b64 s[0:1], 0
	s_branch .LBB8_1372
.LBB8_1368:
                                        ; implicit-def: $vgpr10_vgpr11
	s_branch .LBB8_1390
.LBB8_1369:
	s_mov_b64 s[0:1], -1
                                        ; implicit-def: $vgpr10_vgpr11
	s_branch .LBB8_1378
.LBB8_1370:
	s_mov_b64 s[0:1], -1
                                        ; implicit-def: $vgpr10_vgpr11
	s_branch .LBB8_1375
.LBB8_1371:
	s_mov_b64 s[0:1], -1
                                        ; implicit-def: $vgpr10_vgpr11
.LBB8_1372:
	s_andn2_b64 vcc, exec, s[0:1]
	s_cbranch_vccnz .LBB8_1374
; %bb.1373:
	global_load_dword v5, v[16:17], off
	s_waitcnt vmcnt(0)
	v_cvt_f64_f32_e32 v[10:11], v5
.LBB8_1374:
	s_mov_b64 s[0:1], 0
.LBB8_1375:
	s_andn2_b64 vcc, exec, s[0:1]
	s_cbranch_vccnz .LBB8_1377
; %bb.1376:
	global_load_dword v5, v[16:17], off
	s_waitcnt vmcnt(0)
	v_cvt_f32_f16_e32 v5, v5
	v_cvt_f64_f32_e32 v[10:11], v5
.LBB8_1377:
	s_mov_b64 s[0:1], 0
.LBB8_1378:
	s_andn2_b64 vcc, exec, s[0:1]
	s_cbranch_vccnz .LBB8_1389
; %bb.1379:
	v_mov_b32_e32 v5, 6
	v_cmp_lt_i16_sdwa s[0:1], s22, v5 src0_sel:BYTE_0 src1_sel:DWORD
	s_and_b64 vcc, exec, s[0:1]
	s_cbranch_vccnz .LBB8_1382
; %bb.1380:
	v_cmp_gt_i16_sdwa s[0:1], s22, v5 src0_sel:BYTE_0 src1_sel:DWORD
	s_and_b64 vcc, exec, s[0:1]
	s_cbranch_vccz .LBB8_1383
; %bb.1381:
	global_load_dwordx2 v[10:11], v[16:17], off
	s_mov_b64 s[0:1], 0
	s_branch .LBB8_1384
.LBB8_1382:
	s_mov_b64 s[0:1], -1
                                        ; implicit-def: $vgpr10_vgpr11
	s_branch .LBB8_1387
.LBB8_1383:
	s_mov_b64 s[0:1], -1
                                        ; implicit-def: $vgpr10_vgpr11
.LBB8_1384:
	s_andn2_b64 vcc, exec, s[0:1]
	s_cbranch_vccnz .LBB8_1386
; %bb.1385:
	global_load_dword v5, v[16:17], off
	s_waitcnt vmcnt(0)
	v_cvt_f64_f32_e32 v[10:11], v5
.LBB8_1386:
	s_mov_b64 s[0:1], 0
.LBB8_1387:
	s_andn2_b64 vcc, exec, s[0:1]
	s_cbranch_vccnz .LBB8_1389
; %bb.1388:
	global_load_ushort v5, v[16:17], off
	s_waitcnt vmcnt(0)
	v_cvt_f32_f16_e32 v5, v5
	v_cvt_f64_f32_e32 v[10:11], v5
.LBB8_1389:
	s_cbranch_execnz .LBB8_1409
.LBB8_1390:
	v_mov_b32_e32 v5, 2
	v_cmp_lt_i16_sdwa s[0:1], s22, v5 src0_sel:BYTE_0 src1_sel:DWORD
	s_and_b64 vcc, exec, s[0:1]
	s_cbranch_vccnz .LBB8_1394
; %bb.1391:
	v_mov_b32_e32 v5, 3
	v_cmp_lt_i16_sdwa s[0:1], s22, v5 src0_sel:BYTE_0 src1_sel:DWORD
	s_and_b64 vcc, exec, s[0:1]
	s_cbranch_vccnz .LBB8_1395
; %bb.1392:
	v_cmp_gt_i16_sdwa s[0:1], s22, v5 src0_sel:BYTE_0 src1_sel:DWORD
	s_and_b64 vcc, exec, s[0:1]
	s_cbranch_vccz .LBB8_1396
; %bb.1393:
	global_load_dwordx2 v[10:11], v[16:17], off
	s_mov_b64 s[0:1], 0
	s_waitcnt vmcnt(0)
	v_cvt_f64_i32_e32 v[18:19], v11
	v_cvt_f64_u32_e32 v[10:11], v10
	v_ldexp_f64 v[18:19], v[18:19], 32
	v_add_f64 v[10:11], v[18:19], v[10:11]
	s_branch .LBB8_1397
.LBB8_1394:
	s_mov_b64 s[0:1], -1
                                        ; implicit-def: $vgpr10_vgpr11
	s_branch .LBB8_1403
.LBB8_1395:
	s_mov_b64 s[0:1], -1
                                        ; implicit-def: $vgpr10_vgpr11
	s_branch .LBB8_1400
.LBB8_1396:
	s_mov_b64 s[0:1], -1
                                        ; implicit-def: $vgpr10_vgpr11
.LBB8_1397:
	s_andn2_b64 vcc, exec, s[0:1]
	s_cbranch_vccnz .LBB8_1399
; %bb.1398:
	global_load_dword v5, v[16:17], off
	s_waitcnt vmcnt(0)
	v_cvt_f64_i32_e32 v[10:11], v5
.LBB8_1399:
	s_mov_b64 s[0:1], 0
.LBB8_1400:
	s_andn2_b64 vcc, exec, s[0:1]
	s_cbranch_vccnz .LBB8_1402
; %bb.1401:
	global_load_sshort v5, v[16:17], off
	s_waitcnt vmcnt(0)
	v_cvt_f64_i32_e32 v[10:11], v5
.LBB8_1402:
	s_mov_b64 s[0:1], 0
.LBB8_1403:
	s_andn2_b64 vcc, exec, s[0:1]
	s_cbranch_vccnz .LBB8_1409
; %bb.1404:
	v_mov_b32_e32 v5, 0
	v_cmp_gt_i16_sdwa s[0:1], s22, v5 src0_sel:BYTE_0 src1_sel:DWORD
	s_and_b64 vcc, exec, s[0:1]
	s_cbranch_vccz .LBB8_1406
; %bb.1405:
	global_load_sbyte v5, v[16:17], off
	s_mov_b64 s[0:1], 0
	s_waitcnt vmcnt(0)
	v_cvt_f64_i32_e32 v[10:11], v5
	s_branch .LBB8_1407
.LBB8_1406:
	s_mov_b64 s[0:1], -1
                                        ; implicit-def: $vgpr10_vgpr11
.LBB8_1407:
	s_andn2_b64 vcc, exec, s[0:1]
	s_cbranch_vccnz .LBB8_1409
; %bb.1408:
	global_load_ubyte v5, v[16:17], off
	s_waitcnt vmcnt(0)
	v_cvt_f64_u32_e32 v[10:11], v5
.LBB8_1409:
.LBB8_1410:
	s_waitcnt vmcnt(0)
	v_cvt_f64_f32_e32 v[22:23], v3
	v_cvt_f32_f64_e32 v5, v[10:11]
	s_mov_b32 s0, 0x7f800000
	v_cmp_nlg_f32_e64 s[4:5], |v5|, s0
	v_pk_mov_b32 v[16:17], v[22:23], v[22:23] op_sel:[0,1]
	v_mov_b32_e32 v5, v3
	s_and_saveexec_b64 s[0:1], s[4:5]
	s_cbranch_execz .LBB8_1412
; %bb.1411:
	v_mov_b32_e32 v5, 0
	v_mov_b32_e32 v7, 1.0
	global_store_dword v5, v7, s[12:13]
	global_load_dword v5, v5, s[14:15]
	s_waitcnt vmcnt(0)
	v_cvt_f64_f32_e32 v[16:17], v5
.LBB8_1412:
	s_or_b64 exec, exec, s[0:1]
	v_mov_b32_e32 v7, s11
	v_add_co_u32_e32 v18, vcc, s10, v12
	v_addc_co_u32_e32 v19, vcc, 0, v7, vcc
	v_mov_b32_e32 v7, 11
	v_cmp_lt_i16_sdwa s[0:1], s22, v7 src0_sel:BYTE_0 src1_sel:DWORD
	s_and_b64 vcc, exec, s[0:1]
	s_cbranch_vccnz .LBB8_1419
; %bb.1413:
	v_mov_b32_e32 v7, 25
	v_cmp_gt_i16_sdwa s[0:1], s22, v7 src0_sel:BYTE_0 src1_sel:DWORD
	s_mov_b64 s[4:5], 0
	s_and_b64 vcc, exec, s[0:1]
	s_cbranch_vccz .LBB8_1421
; %bb.1414:
	v_mov_b32_e32 v7, 28
	v_cmp_gt_i16_sdwa s[0:1], s22, v7 src0_sel:BYTE_0 src1_sel:DWORD
	s_and_b64 vcc, exec, s[0:1]
	s_cbranch_vccz .LBB8_1422
; %bb.1415:
	v_mov_b32_e32 v7, 43
	v_cmp_gt_i16_sdwa s[0:1], s22, v7 src0_sel:BYTE_0 src1_sel:DWORD
	;; [unrolled: 5-line block ×3, first 2 shown]
	s_and_b64 vcc, exec, s[0:1]
	s_cbranch_vccz .LBB8_1425
; %bb.1417:
	v_mov_b32_e32 v7, 46
	v_cmp_eq_u16_sdwa s[0:1], s22, v7 src0_sel:BYTE_0 src1_sel:DWORD
	s_mov_b64 s[16:17], 0
	s_and_b64 vcc, exec, s[0:1]
	s_cbranch_vccz .LBB8_1426
; %bb.1418:
	global_load_dword v7, v[18:19], off
	s_mov_b64 s[0:1], 0
	s_mov_b64 s[6:7], -1
	s_waitcnt vmcnt(0)
	v_lshlrev_b32_e32 v7, 16, v7
	v_cvt_f64_f32_e32 v[12:13], v7
	s_branch .LBB8_1427
.LBB8_1419:
	s_mov_b64 s[6:7], 0
                                        ; implicit-def: $vgpr12_vgpr13
	s_cbranch_execnz .LBB8_1493
.LBB8_1420:
	s_andn2_b64 vcc, exec, s[6:7]
	s_cbranch_vccnz .LBB8_2060
	s_branch .LBB8_1541
.LBB8_1421:
	s_mov_b64 s[16:17], -1
	s_mov_b64 s[6:7], 0
	s_mov_b64 s[0:1], 0
                                        ; implicit-def: $vgpr12_vgpr13
	s_branch .LBB8_1456
.LBB8_1422:
	s_mov_b64 s[16:17], -1
	s_mov_b64 s[6:7], 0
	s_mov_b64 s[0:1], 0
                                        ; implicit-def: $vgpr12_vgpr13
	s_branch .LBB8_1437
.LBB8_1423:
	s_mov_b64 s[16:17], -1
	s_mov_b64 s[6:7], 0
	s_mov_b64 s[0:1], 0
                                        ; implicit-def: $vgpr12_vgpr13
	s_branch .LBB8_1432
.LBB8_1424:
	s_trap 2
	s_or_b64 s[2:3], s[2:3], exec
                                        ; implicit-def: $vgpr10_vgpr11
	s_cbranch_execz .LBB8_1361
	s_branch .LBB8_1362
.LBB8_1425:
	s_mov_b64 s[16:17], -1
	s_mov_b64 s[6:7], 0
	s_mov_b64 s[0:1], 0
                                        ; implicit-def: $vgpr12_vgpr13
	s_branch .LBB8_1427
.LBB8_1426:
	s_mov_b64 s[0:1], -1
                                        ; implicit-def: $vgpr12_vgpr13
	s_mov_b64 s[6:7], 0
.LBB8_1427:
	s_and_b64 vcc, exec, s[16:17]
	s_cbranch_vccz .LBB8_1431
; %bb.1428:
	v_mov_b32_e32 v7, 44
	v_cmp_eq_u16_sdwa s[0:1], s22, v7 src0_sel:BYTE_0 src1_sel:DWORD
	s_and_b64 vcc, exec, s[0:1]
	s_cbranch_vccz .LBB8_1430
; %bb.1429:
	global_load_ubyte v7, v[18:19], off
	s_movk_i32 s6, 0xff
	v_bfrev_b32_e32 v9, 4
	v_mov_b32_e32 v15, 0x7ff80000
	v_bfrev_b32_e32 v20, 28
	s_mov_b64 s[0:1], 0
	s_waitcnt vmcnt(0)
	v_lshlrev_b32_e32 v12, 23, v7
	v_cvt_f64_f32_e32 v[12:13], v12
	v_cmp_ne_u32_e32 vcc, s6, v7
	v_cndmask_b32_e32 v9, v9, v12, vcc
	v_cndmask_b32_e32 v12, v15, v13, vcc
	v_cmp_ne_u32_e32 vcc, 0, v7
	v_cndmask_b32_e32 v13, v20, v12, vcc
	v_cndmask_b32_e32 v12, 0, v9, vcc
	s_mov_b64 s[6:7], -1
	s_branch .LBB8_1431
.LBB8_1430:
	s_mov_b64 s[0:1], -1
                                        ; implicit-def: $vgpr12_vgpr13
.LBB8_1431:
	s_mov_b64 s[16:17], 0
.LBB8_1432:
	s_and_b64 vcc, exec, s[16:17]
	s_cbranch_vccz .LBB8_1436
; %bb.1433:
	v_mov_b32_e32 v7, 29
	v_cmp_eq_u16_sdwa s[0:1], s22, v7 src0_sel:BYTE_0 src1_sel:DWORD
	s_and_b64 vcc, exec, s[0:1]
	s_cbranch_vccz .LBB8_1435
; %bb.1434:
	global_load_dwordx2 v[12:13], v[18:19], off
	s_mov_b64 s[0:1], 0
	s_mov_b64 s[6:7], -1
	s_mov_b64 s[16:17], 0
	s_waitcnt vmcnt(0)
	v_cvt_f64_u32_e32 v[20:21], v13
	v_cvt_f64_u32_e32 v[12:13], v12
	v_ldexp_f64 v[20:21], v[20:21], 32
	v_add_f64 v[12:13], v[20:21], v[12:13]
	s_branch .LBB8_1437
.LBB8_1435:
	s_mov_b64 s[0:1], -1
                                        ; implicit-def: $vgpr12_vgpr13
.LBB8_1436:
	s_mov_b64 s[16:17], 0
.LBB8_1437:
	s_and_b64 vcc, exec, s[16:17]
	s_cbranch_vccz .LBB8_1455
; %bb.1438:
	v_mov_b32_e32 v7, 27
	v_cmp_lt_i16_sdwa s[6:7], s22, v7 src0_sel:BYTE_0 src1_sel:DWORD
	s_and_b64 vcc, exec, s[6:7]
	s_cbranch_vccnz .LBB8_1441
; %bb.1439:
	v_cmp_gt_i16_sdwa s[6:7], s22, v7 src0_sel:BYTE_0 src1_sel:DWORD
	s_and_b64 vcc, exec, s[6:7]
	s_cbranch_vccz .LBB8_1442
; %bb.1440:
	global_load_dword v7, v[18:19], off
	s_mov_b64 s[6:7], 0
	s_waitcnt vmcnt(0)
	v_cvt_f64_u32_e32 v[12:13], v7
	s_branch .LBB8_1443
.LBB8_1441:
	s_mov_b64 s[6:7], -1
                                        ; implicit-def: $vgpr12_vgpr13
	s_branch .LBB8_1446
.LBB8_1442:
	s_mov_b64 s[6:7], -1
                                        ; implicit-def: $vgpr12_vgpr13
.LBB8_1443:
	s_andn2_b64 vcc, exec, s[6:7]
	s_cbranch_vccnz .LBB8_1445
; %bb.1444:
	global_load_ushort v7, v[18:19], off
	s_waitcnt vmcnt(0)
	v_cvt_f64_u32_e32 v[12:13], v7
.LBB8_1445:
	s_mov_b64 s[6:7], 0
.LBB8_1446:
	s_andn2_b64 vcc, exec, s[6:7]
	s_cbranch_vccnz .LBB8_1454
; %bb.1447:
	global_load_ubyte v7, v[18:19], off
	s_movk_i32 s6, 0x7f
                                        ; implicit-def: $sgpr16_sgpr17
	s_waitcnt vmcnt(0)
	v_cmp_lt_i16_e32 vcc, s6, v7
	s_mov_b64 s[6:7], 0
	s_and_saveexec_b64 s[18:19], vcc
	s_xor_b64 s[18:19], exec, s[18:19]
	s_cbranch_execz .LBB8_1468
; %bb.1448:
	s_movk_i32 s6, 0x80
	v_cmp_eq_u16_e32 vcc, s6, v7
	s_mov_b64 s[20:21], -1
                                        ; implicit-def: $sgpr16_sgpr17
	s_and_saveexec_b64 s[6:7], vcc
; %bb.1449:
	s_mov_b32 s17, 0x7ff80000
	s_brev_b32 s16, 4
	s_xor_b64 s[20:21], exec, -1
; %bb.1450:
	s_or_b64 exec, exec, s[6:7]
	s_and_b64 s[6:7], s[20:21], exec
	s_or_saveexec_b64 s[18:19], s[18:19]
	v_pk_mov_b32 v[12:13], s[16:17], s[16:17] op_sel:[0,1]
	s_xor_b64 exec, exec, s[18:19]
	s_cbranch_execnz .LBB8_1469
.LBB8_1451:
	s_or_b64 exec, exec, s[18:19]
	s_and_saveexec_b64 s[16:17], s[6:7]
	s_cbranch_execz .LBB8_1453
.LBB8_1452:
	v_lshlrev_b32_e32 v9, 24, v7
	v_and_b32_e32 v7, 0xffff, v7
	v_and_b32_e32 v12, 7, v7
	v_ffbh_u32_e32 v15, v12
	v_min_u32_e32 v15, 32, v15
	v_subrev_u32_e32 v20, 28, v15
	v_bfe_u32 v13, v7, 3, 4
	v_lshlrev_b32_e32 v7, v20, v7
	v_sub_u32_e32 v15, 29, v15
	v_and_b32_e32 v7, 7, v7
	v_cmp_eq_u32_e32 vcc, 0, v13
	v_cndmask_b32_e32 v13, v13, v15, vcc
	v_cndmask_b32_e32 v7, v12, v7, vcc
	v_mov_b32_e32 v12, 0x3b800000
	v_lshlrev_b32_e32 v7, 20, v7
	v_and_b32_e32 v9, 0x80000000, v9
	v_lshl_add_u32 v12, v13, 23, v12
	v_or3_b32 v7, v9, v12, v7
	v_cvt_f64_f32_e32 v[12:13], v7
.LBB8_1453:
	s_or_b64 exec, exec, s[16:17]
.LBB8_1454:
	s_mov_b64 s[6:7], -1
.LBB8_1455:
	s_mov_b64 s[16:17], 0
.LBB8_1456:
	s_and_b64 vcc, exec, s[16:17]
	s_cbranch_vccz .LBB8_1489
; %bb.1457:
	v_mov_b32_e32 v7, 22
	v_cmp_gt_i16_sdwa s[4:5], s22, v7 src0_sel:BYTE_0 src1_sel:DWORD
	s_and_b64 vcc, exec, s[4:5]
	s_cbranch_vccz .LBB8_1467
; %bb.1458:
	v_mov_b32_e32 v7, 24
	v_cmp_lt_i16_sdwa s[4:5], s22, v7 src0_sel:BYTE_0 src1_sel:DWORD
	s_and_b64 vcc, exec, s[4:5]
	s_cbranch_vccnz .LBB8_1470
; %bb.1459:
	v_cmp_gt_i16_sdwa s[4:5], s22, v7 src0_sel:BYTE_0 src1_sel:DWORD
	s_and_b64 vcc, exec, s[4:5]
	s_cbranch_vccz .LBB8_1471
; %bb.1460:
	global_load_ubyte v7, v[18:19], off
	s_movk_i32 s4, 0x7f
                                        ; implicit-def: $sgpr6_sgpr7
	s_waitcnt vmcnt(0)
	v_cmp_lt_i16_e32 vcc, s4, v7
	s_mov_b64 s[4:5], 0
	s_and_saveexec_b64 s[16:17], vcc
	s_xor_b64 s[16:17], exec, s[16:17]
	s_cbranch_execz .LBB8_1483
; %bb.1461:
	s_movk_i32 s4, 0x80
	v_cmp_eq_u16_e32 vcc, s4, v7
	s_mov_b64 s[18:19], -1
                                        ; implicit-def: $sgpr6_sgpr7
	s_and_saveexec_b64 s[4:5], vcc
; %bb.1462:
	s_mov_b32 s7, 0x7ff80000
	s_brev_b32 s6, 4
	s_xor_b64 s[18:19], exec, -1
; %bb.1463:
	s_or_b64 exec, exec, s[4:5]
	s_and_b64 s[4:5], s[18:19], exec
	s_or_saveexec_b64 s[16:17], s[16:17]
	v_pk_mov_b32 v[12:13], s[6:7], s[6:7] op_sel:[0,1]
	s_xor_b64 exec, exec, s[16:17]
	s_cbranch_execnz .LBB8_1484
.LBB8_1464:
	s_or_b64 exec, exec, s[16:17]
	s_and_saveexec_b64 s[6:7], s[4:5]
	s_cbranch_execz .LBB8_1466
.LBB8_1465:
	v_lshlrev_b32_e32 v9, 24, v7
	v_and_b32_e32 v7, 0xffff, v7
	v_and_b32_e32 v12, 3, v7
	v_ffbh_u32_e32 v15, v12
	v_min_u32_e32 v15, 32, v15
	v_subrev_u32_e32 v20, 29, v15
	v_bfe_u32 v13, v7, 2, 5
	v_lshlrev_b32_e32 v7, v20, v7
	v_sub_u32_e32 v15, 30, v15
	v_and_b32_e32 v7, 3, v7
	v_cmp_eq_u32_e32 vcc, 0, v13
	v_cndmask_b32_e32 v13, v13, v15, vcc
	v_cndmask_b32_e32 v7, v12, v7, vcc
	v_mov_b32_e32 v12, 0x37800000
	v_lshlrev_b32_e32 v7, 21, v7
	v_and_b32_e32 v9, 0x80000000, v9
	v_lshl_add_u32 v12, v13, 23, v12
	v_or3_b32 v7, v9, v12, v7
	v_cvt_f64_f32_e32 v[12:13], v7
.LBB8_1466:
	s_or_b64 exec, exec, s[6:7]
	s_mov_b64 s[4:5], 0
	s_branch .LBB8_1472
.LBB8_1467:
	s_mov_b64 s[4:5], -1
                                        ; implicit-def: $vgpr12_vgpr13
	s_branch .LBB8_1478
.LBB8_1468:
	s_or_saveexec_b64 s[18:19], s[18:19]
	v_pk_mov_b32 v[12:13], s[16:17], s[16:17] op_sel:[0,1]
	s_xor_b64 exec, exec, s[18:19]
	s_cbranch_execz .LBB8_1451
.LBB8_1469:
	v_cmp_ne_u16_e32 vcc, 0, v7
	s_andn2_b64 s[6:7], s[6:7], exec
	s_and_b64 s[16:17], vcc, exec
	v_pk_mov_b32 v[12:13], 0, 0
	s_or_b64 s[6:7], s[6:7], s[16:17]
	s_or_b64 exec, exec, s[18:19]
	s_and_saveexec_b64 s[16:17], s[6:7]
	s_cbranch_execnz .LBB8_1452
	s_branch .LBB8_1453
.LBB8_1470:
	s_mov_b64 s[4:5], -1
                                        ; implicit-def: $vgpr12_vgpr13
	s_branch .LBB8_1475
.LBB8_1471:
	s_mov_b64 s[4:5], -1
                                        ; implicit-def: $vgpr12_vgpr13
.LBB8_1472:
	s_and_b64 vcc, exec, s[4:5]
	s_cbranch_vccz .LBB8_1474
; %bb.1473:
	global_load_ubyte v7, v[18:19], off
	s_mov_b32 s4, 0x7f800000
	s_waitcnt vmcnt(0)
	v_lshlrev_b32_e32 v7, 24, v7
	v_and_b32_e32 v9, 0x7f000000, v7
	v_ffbh_u32_e32 v12, v9
	v_min_u32_e32 v12, 32, v12
	v_sub_u32_e64 v12, v12, 4 clamp
	v_lshlrev_b32_e32 v15, v12, v9
	v_lshlrev_b32_e32 v12, 23, v12
	v_lshrrev_b32_e32 v15, 4, v15
	v_add_u32_e32 v13, 0x1000000, v9
	v_sub_u32_e32 v12, v15, v12
	v_ashrrev_i32_e32 v13, 8, v13
	v_add_u32_e32 v12, 0x3c000000, v12
	v_and_or_b32 v12, v13, s4, v12
	v_cmp_ne_u32_e32 vcc, 0, v9
	v_cndmask_b32_e32 v9, 0, v12, vcc
	s_brev_b32 s4, 1
	v_and_or_b32 v7, v7, s4, v9
	v_cvt_f64_f32_e32 v[12:13], v7
.LBB8_1474:
	s_mov_b64 s[4:5], 0
.LBB8_1475:
	s_andn2_b64 vcc, exec, s[4:5]
	s_cbranch_vccnz .LBB8_1477
; %bb.1476:
	global_load_ubyte v7, v[18:19], off
	s_movk_i32 s4, 0x7f00
	s_brev_b32 s5, 16
	s_waitcnt vmcnt(0)
	v_lshlrev_b16_e32 v9, 8, v7
	v_lshlrev_b32_e32 v7, 25, v7
	v_lshrrev_b32_e32 v12, 4, v7
	v_and_or_b32 v13, v9, s4, 0.5
	v_or_b32_e32 v12, 0x70000000, v12
	v_add_f32_e32 v13, -0.5, v13
	v_mul_f32_e32 v12, 0x7800000, v12
	v_cmp_gt_u32_e32 vcc, s5, v7
	v_bfe_i32 v9, v9, 0, 16
	v_cndmask_b32_e32 v7, v12, v13, vcc
	s_brev_b32 s4, 1
	v_and_or_b32 v7, v9, s4, v7
	v_cvt_f64_f32_e32 v[12:13], v7
.LBB8_1477:
	s_mov_b64 s[4:5], 0
	s_mov_b64 s[6:7], -1
.LBB8_1478:
	s_andn2_b64 vcc, exec, s[4:5]
	s_mov_b64 s[4:5], 0
	s_cbranch_vccnz .LBB8_1489
; %bb.1479:
	v_mov_b32_e32 v7, 14
	v_cmp_gt_i16_sdwa s[4:5], s22, v7 src0_sel:BYTE_0 src1_sel:DWORD
	s_and_b64 vcc, exec, s[4:5]
	s_cbranch_vccz .LBB8_1482
; %bb.1480:
	v_mov_b32_e32 v7, 15
	v_cmp_eq_u16_sdwa s[0:1], s22, v7 src0_sel:BYTE_0 src1_sel:DWORD
	s_and_b64 vcc, exec, s[0:1]
	s_cbranch_vccz .LBB8_1485
; %bb.1481:
	global_load_ushort v7, v[18:19], off
	s_mov_b64 s[0:1], 0
	s_mov_b64 s[6:7], -1
	s_waitcnt vmcnt(0)
	v_lshlrev_b32_e32 v7, 16, v7
	v_cvt_f64_f32_e32 v[12:13], v7
	s_branch .LBB8_1486
.LBB8_1482:
	s_mov_b64 s[16:17], -1
                                        ; implicit-def: $vgpr12_vgpr13
	s_branch .LBB8_1487
.LBB8_1483:
	s_or_saveexec_b64 s[16:17], s[16:17]
	v_pk_mov_b32 v[12:13], s[6:7], s[6:7] op_sel:[0,1]
	s_xor_b64 exec, exec, s[16:17]
	s_cbranch_execz .LBB8_1464
.LBB8_1484:
	v_cmp_ne_u16_e32 vcc, 0, v7
	s_andn2_b64 s[4:5], s[4:5], exec
	s_and_b64 s[6:7], vcc, exec
	v_pk_mov_b32 v[12:13], 0, 0
	s_or_b64 s[4:5], s[4:5], s[6:7]
	s_or_b64 exec, exec, s[16:17]
	s_and_saveexec_b64 s[6:7], s[4:5]
	s_cbranch_execnz .LBB8_1465
	s_branch .LBB8_1466
.LBB8_1485:
	s_mov_b64 s[0:1], -1
                                        ; implicit-def: $vgpr12_vgpr13
.LBB8_1486:
	s_mov_b64 s[16:17], 0
.LBB8_1487:
	s_mov_b64 s[4:5], 0
	s_and_b64 vcc, exec, s[16:17]
	s_cbranch_vccz .LBB8_1489
; %bb.1488:
	v_mov_b32_e32 v7, 11
	v_cmp_ne_u16_sdwa s[0:1], s22, v7 src0_sel:BYTE_0 src1_sel:DWORD
	s_mov_b64 s[4:5], -1
                                        ; implicit-def: $vgpr12_vgpr13
.LBB8_1489:
	s_and_b64 vcc, exec, s[0:1]
	s_cbranch_vccnz .LBB8_1554
; %bb.1490:
	s_andn2_b64 vcc, exec, s[4:5]
	s_cbranch_vccnz .LBB8_1492
.LBB8_1491:
	global_load_ubyte v7, v[18:19], off
	v_mov_b32_e32 v9, 0x3ff00000
	v_mov_b32_e32 v12, 0
	s_mov_b64 s[6:7], -1
	s_waitcnt vmcnt(0)
	v_cmp_ne_u16_e32 vcc, 0, v7
	v_cndmask_b32_e32 v13, 0, v9, vcc
.LBB8_1492:
	s_branch .LBB8_1420
.LBB8_1493:
	v_mov_b32_e32 v7, 5
	v_cmp_lt_i16_sdwa s[0:1], s22, v7 src0_sel:BYTE_0 src1_sel:DWORD
	s_and_b64 vcc, exec, s[0:1]
	s_cbranch_vccnz .LBB8_1498
; %bb.1494:
	v_mov_b32_e32 v7, 8
	v_cmp_lt_i16_sdwa s[0:1], s22, v7 src0_sel:BYTE_0 src1_sel:DWORD
	s_and_b64 vcc, exec, s[0:1]
	s_cbranch_vccnz .LBB8_1499
; %bb.1495:
	;; [unrolled: 5-line block ×3, first 2 shown]
	v_cmp_gt_i16_sdwa s[0:1], s22, v7 src0_sel:BYTE_0 src1_sel:DWORD
	s_and_b64 vcc, exec, s[0:1]
	s_cbranch_vccz .LBB8_1501
; %bb.1497:
	global_load_dwordx2 v[12:13], v[18:19], off
	s_mov_b64 s[0:1], 0
	s_branch .LBB8_1502
.LBB8_1498:
	s_mov_b64 s[0:1], -1
                                        ; implicit-def: $vgpr12_vgpr13
	s_branch .LBB8_1520
.LBB8_1499:
	s_mov_b64 s[0:1], -1
                                        ; implicit-def: $vgpr12_vgpr13
	s_branch .LBB8_1508
.LBB8_1500:
	s_mov_b64 s[0:1], -1
                                        ; implicit-def: $vgpr12_vgpr13
	s_branch .LBB8_1505
.LBB8_1501:
	s_mov_b64 s[0:1], -1
                                        ; implicit-def: $vgpr12_vgpr13
.LBB8_1502:
	s_andn2_b64 vcc, exec, s[0:1]
	s_cbranch_vccnz .LBB8_1504
; %bb.1503:
	global_load_dword v7, v[18:19], off
	s_waitcnt vmcnt(0)
	v_cvt_f64_f32_e32 v[12:13], v7
.LBB8_1504:
	s_mov_b64 s[0:1], 0
.LBB8_1505:
	s_andn2_b64 vcc, exec, s[0:1]
	s_cbranch_vccnz .LBB8_1507
; %bb.1506:
	global_load_dword v7, v[18:19], off
	s_waitcnt vmcnt(0)
	v_cvt_f32_f16_e32 v7, v7
	v_cvt_f64_f32_e32 v[12:13], v7
.LBB8_1507:
	s_mov_b64 s[0:1], 0
.LBB8_1508:
	s_andn2_b64 vcc, exec, s[0:1]
	s_cbranch_vccnz .LBB8_1519
; %bb.1509:
	v_mov_b32_e32 v7, 6
	v_cmp_lt_i16_sdwa s[0:1], s22, v7 src0_sel:BYTE_0 src1_sel:DWORD
	s_and_b64 vcc, exec, s[0:1]
	s_cbranch_vccnz .LBB8_1512
; %bb.1510:
	v_cmp_gt_i16_sdwa s[0:1], s22, v7 src0_sel:BYTE_0 src1_sel:DWORD
	s_and_b64 vcc, exec, s[0:1]
	s_cbranch_vccz .LBB8_1513
; %bb.1511:
	global_load_dwordx2 v[12:13], v[18:19], off
	s_mov_b64 s[0:1], 0
	s_branch .LBB8_1514
.LBB8_1512:
	s_mov_b64 s[0:1], -1
                                        ; implicit-def: $vgpr12_vgpr13
	s_branch .LBB8_1517
.LBB8_1513:
	s_mov_b64 s[0:1], -1
                                        ; implicit-def: $vgpr12_vgpr13
.LBB8_1514:
	s_andn2_b64 vcc, exec, s[0:1]
	s_cbranch_vccnz .LBB8_1516
; %bb.1515:
	global_load_dword v7, v[18:19], off
	s_waitcnt vmcnt(0)
	v_cvt_f64_f32_e32 v[12:13], v7
.LBB8_1516:
	s_mov_b64 s[0:1], 0
.LBB8_1517:
	s_andn2_b64 vcc, exec, s[0:1]
	s_cbranch_vccnz .LBB8_1519
; %bb.1518:
	global_load_ushort v7, v[18:19], off
	s_waitcnt vmcnt(0)
	v_cvt_f32_f16_e32 v7, v7
	v_cvt_f64_f32_e32 v[12:13], v7
.LBB8_1519:
	s_mov_b64 s[0:1], 0
.LBB8_1520:
	s_andn2_b64 vcc, exec, s[0:1]
	s_cbranch_vccnz .LBB8_1540
; %bb.1521:
	v_mov_b32_e32 v7, 2
	v_cmp_lt_i16_sdwa s[0:1], s22, v7 src0_sel:BYTE_0 src1_sel:DWORD
	s_and_b64 vcc, exec, s[0:1]
	s_cbranch_vccnz .LBB8_1525
; %bb.1522:
	v_mov_b32_e32 v7, 3
	v_cmp_lt_i16_sdwa s[0:1], s22, v7 src0_sel:BYTE_0 src1_sel:DWORD
	s_and_b64 vcc, exec, s[0:1]
	s_cbranch_vccnz .LBB8_1526
; %bb.1523:
	v_cmp_gt_i16_sdwa s[0:1], s22, v7 src0_sel:BYTE_0 src1_sel:DWORD
	s_and_b64 vcc, exec, s[0:1]
	s_cbranch_vccz .LBB8_1527
; %bb.1524:
	global_load_dwordx2 v[12:13], v[18:19], off
	s_mov_b64 s[0:1], 0
	s_waitcnt vmcnt(0)
	v_cvt_f64_i32_e32 v[20:21], v13
	v_cvt_f64_u32_e32 v[12:13], v12
	v_ldexp_f64 v[20:21], v[20:21], 32
	v_add_f64 v[12:13], v[20:21], v[12:13]
	s_branch .LBB8_1528
.LBB8_1525:
	s_mov_b64 s[0:1], -1
                                        ; implicit-def: $vgpr12_vgpr13
	s_branch .LBB8_1534
.LBB8_1526:
	s_mov_b64 s[0:1], -1
                                        ; implicit-def: $vgpr12_vgpr13
	s_branch .LBB8_1531
.LBB8_1527:
	s_mov_b64 s[0:1], -1
                                        ; implicit-def: $vgpr12_vgpr13
.LBB8_1528:
	s_andn2_b64 vcc, exec, s[0:1]
	s_cbranch_vccnz .LBB8_1530
; %bb.1529:
	global_load_dword v7, v[18:19], off
	s_waitcnt vmcnt(0)
	v_cvt_f64_i32_e32 v[12:13], v7
.LBB8_1530:
	s_mov_b64 s[0:1], 0
.LBB8_1531:
	s_andn2_b64 vcc, exec, s[0:1]
	s_cbranch_vccnz .LBB8_1533
; %bb.1532:
	global_load_sshort v7, v[18:19], off
	s_waitcnt vmcnt(0)
	v_cvt_f64_i32_e32 v[12:13], v7
.LBB8_1533:
	s_mov_b64 s[0:1], 0
.LBB8_1534:
	s_andn2_b64 vcc, exec, s[0:1]
	s_cbranch_vccnz .LBB8_1540
; %bb.1535:
	v_mov_b32_e32 v7, 0
	v_cmp_gt_i16_sdwa s[0:1], s22, v7 src0_sel:BYTE_0 src1_sel:DWORD
	s_and_b64 vcc, exec, s[0:1]
	s_cbranch_vccz .LBB8_1537
; %bb.1536:
	global_load_sbyte v7, v[18:19], off
	s_mov_b64 s[0:1], 0
	s_waitcnt vmcnt(0)
	v_cvt_f64_i32_e32 v[12:13], v7
	s_branch .LBB8_1538
.LBB8_1537:
	s_mov_b64 s[0:1], -1
                                        ; implicit-def: $vgpr12_vgpr13
.LBB8_1538:
	s_andn2_b64 vcc, exec, s[0:1]
	s_cbranch_vccnz .LBB8_1540
; %bb.1539:
	global_load_ubyte v7, v[18:19], off
	s_waitcnt vmcnt(0)
	v_cvt_f64_u32_e32 v[12:13], v7
.LBB8_1540:
.LBB8_1541:
	s_waitcnt vmcnt(0)
	v_cvt_f32_f64_e32 v7, v[12:13]
	s_mov_b32 s0, 0x7f800000
	v_cmp_nlg_f32_e64 s[4:5], |v7|, s0
	v_pk_mov_b32 v[18:19], v[16:17], v[16:17] op_sel:[0,1]
	v_mov_b32_e32 v7, v5
	s_and_saveexec_b64 s[0:1], s[4:5]
	s_cbranch_execz .LBB8_1543
; %bb.1542:
	v_mov_b32_e32 v7, 0
	v_mov_b32_e32 v9, 1.0
	global_store_dword v7, v9, s[12:13]
	global_load_dword v7, v7, s[14:15]
	s_waitcnt vmcnt(0)
	v_cvt_f64_f32_e32 v[18:19], v7
.LBB8_1543:
	s_or_b64 exec, exec, s[0:1]
	v_mov_b32_e32 v9, s11
	v_add_co_u32_e32 v20, vcc, s10, v14
	v_addc_co_u32_e32 v21, vcc, 0, v9, vcc
	v_mov_b32_e32 v9, 11
	v_cmp_lt_i16_sdwa s[0:1], s22, v9 src0_sel:BYTE_0 src1_sel:DWORD
	s_and_b64 vcc, exec, s[0:1]
	s_cbranch_vccnz .LBB8_1550
; %bb.1544:
	v_mov_b32_e32 v9, 25
	v_cmp_gt_i16_sdwa s[0:1], s22, v9 src0_sel:BYTE_0 src1_sel:DWORD
	s_mov_b64 s[4:5], 0
	s_and_b64 vcc, exec, s[0:1]
	s_cbranch_vccz .LBB8_1551
; %bb.1545:
	v_mov_b32_e32 v9, 28
	v_cmp_gt_i16_sdwa s[0:1], s22, v9 src0_sel:BYTE_0 src1_sel:DWORD
	s_and_b64 vcc, exec, s[0:1]
	s_cbranch_vccz .LBB8_1552
; %bb.1546:
	v_mov_b32_e32 v9, 43
	v_cmp_gt_i16_sdwa s[0:1], s22, v9 src0_sel:BYTE_0 src1_sel:DWORD
	;; [unrolled: 5-line block ×3, first 2 shown]
	s_and_b64 vcc, exec, s[0:1]
	s_cbranch_vccz .LBB8_1555
; %bb.1548:
	v_mov_b32_e32 v9, 46
	v_cmp_eq_u16_sdwa s[0:1], s22, v9 src0_sel:BYTE_0 src1_sel:DWORD
	s_mov_b64 s[10:11], 0
	s_and_b64 vcc, exec, s[0:1]
	s_cbranch_vccz .LBB8_1556
; %bb.1549:
	global_load_dword v9, v[20:21], off
	s_mov_b64 s[0:1], 0
	s_mov_b64 s[6:7], -1
	s_waitcnt vmcnt(0)
	v_lshlrev_b32_e32 v9, 16, v9
	v_cvt_f64_f32_e32 v[14:15], v9
	s_branch .LBB8_1557
.LBB8_1550:
	s_mov_b64 s[0:1], -1
	s_mov_b64 s[6:7], 0
                                        ; implicit-def: $vgpr14_vgpr15
	s_branch .LBB8_1623
.LBB8_1551:
	s_mov_b64 s[10:11], -1
	s_mov_b64 s[6:7], 0
	s_mov_b64 s[0:1], 0
                                        ; implicit-def: $vgpr14_vgpr15
	s_branch .LBB8_1586
.LBB8_1552:
	s_mov_b64 s[10:11], -1
	s_mov_b64 s[6:7], 0
	s_mov_b64 s[0:1], 0
                                        ; implicit-def: $vgpr14_vgpr15
	s_branch .LBB8_1567
.LBB8_1553:
	s_mov_b64 s[10:11], -1
	s_mov_b64 s[6:7], 0
	s_mov_b64 s[0:1], 0
                                        ; implicit-def: $vgpr14_vgpr15
	s_branch .LBB8_1562
.LBB8_1554:
	s_trap 2
	s_or_b64 s[2:3], s[2:3], exec
                                        ; implicit-def: $vgpr12_vgpr13
	s_cbranch_execz .LBB8_1491
	s_branch .LBB8_1492
.LBB8_1555:
	s_mov_b64 s[10:11], -1
	s_mov_b64 s[6:7], 0
	s_mov_b64 s[0:1], 0
                                        ; implicit-def: $vgpr14_vgpr15
	s_branch .LBB8_1557
.LBB8_1556:
	s_mov_b64 s[0:1], -1
                                        ; implicit-def: $vgpr14_vgpr15
	s_mov_b64 s[6:7], 0
.LBB8_1557:
	s_and_b64 vcc, exec, s[10:11]
	s_cbranch_vccz .LBB8_1561
; %bb.1558:
	v_mov_b32_e32 v9, 44
	v_cmp_eq_u16_sdwa s[0:1], s22, v9 src0_sel:BYTE_0 src1_sel:DWORD
	s_and_b64 vcc, exec, s[0:1]
	s_cbranch_vccz .LBB8_1560
; %bb.1559:
	global_load_ubyte v9, v[20:21], off
	s_movk_i32 s6, 0xff
	v_bfrev_b32_e32 v24, 4
	v_mov_b32_e32 v25, 0x7ff80000
	v_bfrev_b32_e32 v26, 28
	s_mov_b64 s[0:1], 0
	s_waitcnt vmcnt(0)
	v_lshlrev_b32_e32 v14, 23, v9
	v_cvt_f64_f32_e32 v[14:15], v14
	v_cmp_ne_u32_e32 vcc, s6, v9
	v_cndmask_b32_e32 v14, v24, v14, vcc
	v_cndmask_b32_e32 v15, v25, v15, vcc
	v_cmp_ne_u32_e32 vcc, 0, v9
	v_cndmask_b32_e32 v15, v26, v15, vcc
	v_cndmask_b32_e32 v14, 0, v14, vcc
	s_mov_b64 s[6:7], -1
	s_branch .LBB8_1561
.LBB8_1560:
	s_mov_b64 s[0:1], -1
                                        ; implicit-def: $vgpr14_vgpr15
.LBB8_1561:
	s_mov_b64 s[10:11], 0
.LBB8_1562:
	s_and_b64 vcc, exec, s[10:11]
	s_cbranch_vccz .LBB8_1566
; %bb.1563:
	v_mov_b32_e32 v9, 29
	v_cmp_eq_u16_sdwa s[0:1], s22, v9 src0_sel:BYTE_0 src1_sel:DWORD
	s_and_b64 vcc, exec, s[0:1]
	s_cbranch_vccz .LBB8_1565
; %bb.1564:
	global_load_dwordx2 v[14:15], v[20:21], off
	s_mov_b64 s[0:1], 0
	s_mov_b64 s[6:7], -1
	s_mov_b64 s[10:11], 0
	s_waitcnt vmcnt(0)
	v_cvt_f64_u32_e32 v[24:25], v15
	v_cvt_f64_u32_e32 v[14:15], v14
	v_ldexp_f64 v[24:25], v[24:25], 32
	v_add_f64 v[14:15], v[24:25], v[14:15]
	s_branch .LBB8_1567
.LBB8_1565:
	s_mov_b64 s[0:1], -1
                                        ; implicit-def: $vgpr14_vgpr15
.LBB8_1566:
	s_mov_b64 s[10:11], 0
.LBB8_1567:
	s_and_b64 vcc, exec, s[10:11]
	s_cbranch_vccz .LBB8_1585
; %bb.1568:
	v_mov_b32_e32 v9, 27
	v_cmp_lt_i16_sdwa s[6:7], s22, v9 src0_sel:BYTE_0 src1_sel:DWORD
	s_and_b64 vcc, exec, s[6:7]
	s_cbranch_vccnz .LBB8_1571
; %bb.1569:
	v_cmp_gt_i16_sdwa s[6:7], s22, v9 src0_sel:BYTE_0 src1_sel:DWORD
	s_and_b64 vcc, exec, s[6:7]
	s_cbranch_vccz .LBB8_1572
; %bb.1570:
	global_load_dword v9, v[20:21], off
	s_mov_b64 s[6:7], 0
	s_waitcnt vmcnt(0)
	v_cvt_f64_u32_e32 v[14:15], v9
	s_branch .LBB8_1573
.LBB8_1571:
	s_mov_b64 s[6:7], -1
                                        ; implicit-def: $vgpr14_vgpr15
	s_branch .LBB8_1576
.LBB8_1572:
	s_mov_b64 s[6:7], -1
                                        ; implicit-def: $vgpr14_vgpr15
.LBB8_1573:
	s_andn2_b64 vcc, exec, s[6:7]
	s_cbranch_vccnz .LBB8_1575
; %bb.1574:
	global_load_ushort v9, v[20:21], off
	s_waitcnt vmcnt(0)
	v_cvt_f64_u32_e32 v[14:15], v9
.LBB8_1575:
	s_mov_b64 s[6:7], 0
.LBB8_1576:
	s_andn2_b64 vcc, exec, s[6:7]
	s_cbranch_vccnz .LBB8_1584
; %bb.1577:
	global_load_ubyte v9, v[20:21], off
	s_movk_i32 s6, 0x7f
                                        ; implicit-def: $sgpr10_sgpr11
	s_waitcnt vmcnt(0)
	v_cmp_lt_i16_e32 vcc, s6, v9
	s_mov_b64 s[6:7], 0
	s_and_saveexec_b64 s[16:17], vcc
	s_xor_b64 s[16:17], exec, s[16:17]
	s_cbranch_execz .LBB8_1598
; %bb.1578:
	s_movk_i32 s6, 0x80
	v_cmp_eq_u16_e32 vcc, s6, v9
	s_mov_b64 s[18:19], -1
                                        ; implicit-def: $sgpr10_sgpr11
	s_and_saveexec_b64 s[6:7], vcc
; %bb.1579:
	s_mov_b32 s11, 0x7ff80000
	s_brev_b32 s10, 4
	s_xor_b64 s[18:19], exec, -1
; %bb.1580:
	s_or_b64 exec, exec, s[6:7]
	s_and_b64 s[6:7], s[18:19], exec
	s_or_saveexec_b64 s[16:17], s[16:17]
	v_pk_mov_b32 v[14:15], s[10:11], s[10:11] op_sel:[0,1]
	s_xor_b64 exec, exec, s[16:17]
	s_cbranch_execnz .LBB8_1599
.LBB8_1581:
	s_or_b64 exec, exec, s[16:17]
	s_and_saveexec_b64 s[10:11], s[6:7]
	s_cbranch_execz .LBB8_1583
.LBB8_1582:
	v_lshlrev_b32_e32 v14, 24, v9
	v_and_b32_e32 v9, 0xffff, v9
	v_and_b32_e32 v15, 7, v9
	v_ffbh_u32_e32 v25, v15
	v_min_u32_e32 v25, 32, v25
	v_subrev_u32_e32 v26, 28, v25
	v_bfe_u32 v24, v9, 3, 4
	v_lshlrev_b32_e32 v9, v26, v9
	v_sub_u32_e32 v25, 29, v25
	v_and_b32_e32 v9, 7, v9
	v_cmp_eq_u32_e32 vcc, 0, v24
	v_cndmask_b32_e32 v24, v24, v25, vcc
	v_cndmask_b32_e32 v9, v15, v9, vcc
	v_mov_b32_e32 v15, 0x3b800000
	v_lshlrev_b32_e32 v9, 20, v9
	v_and_b32_e32 v14, 0x80000000, v14
	v_lshl_add_u32 v15, v24, 23, v15
	v_or3_b32 v9, v14, v15, v9
	v_cvt_f64_f32_e32 v[14:15], v9
.LBB8_1583:
	s_or_b64 exec, exec, s[10:11]
.LBB8_1584:
	s_mov_b64 s[6:7], -1
.LBB8_1585:
	s_mov_b64 s[10:11], 0
.LBB8_1586:
	s_and_b64 vcc, exec, s[10:11]
	s_cbranch_vccz .LBB8_1619
; %bb.1587:
	v_mov_b32_e32 v9, 22
	v_cmp_gt_i16_sdwa s[4:5], s22, v9 src0_sel:BYTE_0 src1_sel:DWORD
	s_and_b64 vcc, exec, s[4:5]
	s_cbranch_vccz .LBB8_1597
; %bb.1588:
	v_mov_b32_e32 v9, 24
	v_cmp_lt_i16_sdwa s[4:5], s22, v9 src0_sel:BYTE_0 src1_sel:DWORD
	s_and_b64 vcc, exec, s[4:5]
	s_cbranch_vccnz .LBB8_1600
; %bb.1589:
	v_cmp_gt_i16_sdwa s[4:5], s22, v9 src0_sel:BYTE_0 src1_sel:DWORD
	s_and_b64 vcc, exec, s[4:5]
	s_cbranch_vccz .LBB8_1601
; %bb.1590:
	global_load_ubyte v9, v[20:21], off
	s_movk_i32 s4, 0x7f
                                        ; implicit-def: $sgpr6_sgpr7
	s_waitcnt vmcnt(0)
	v_cmp_lt_i16_e32 vcc, s4, v9
	s_mov_b64 s[4:5], 0
	s_and_saveexec_b64 s[10:11], vcc
	s_xor_b64 s[10:11], exec, s[10:11]
	s_cbranch_execz .LBB8_1613
; %bb.1591:
	s_movk_i32 s4, 0x80
	v_cmp_eq_u16_e32 vcc, s4, v9
	s_mov_b64 s[16:17], -1
                                        ; implicit-def: $sgpr6_sgpr7
	s_and_saveexec_b64 s[4:5], vcc
; %bb.1592:
	s_mov_b32 s7, 0x7ff80000
	s_brev_b32 s6, 4
	s_xor_b64 s[16:17], exec, -1
; %bb.1593:
	s_or_b64 exec, exec, s[4:5]
	s_and_b64 s[4:5], s[16:17], exec
	s_or_saveexec_b64 s[10:11], s[10:11]
	v_pk_mov_b32 v[14:15], s[6:7], s[6:7] op_sel:[0,1]
	s_xor_b64 exec, exec, s[10:11]
	s_cbranch_execnz .LBB8_1614
.LBB8_1594:
	s_or_b64 exec, exec, s[10:11]
	s_and_saveexec_b64 s[6:7], s[4:5]
	s_cbranch_execz .LBB8_1596
.LBB8_1595:
	v_lshlrev_b32_e32 v14, 24, v9
	v_and_b32_e32 v9, 0xffff, v9
	v_and_b32_e32 v15, 3, v9
	v_ffbh_u32_e32 v25, v15
	v_min_u32_e32 v25, 32, v25
	v_subrev_u32_e32 v26, 29, v25
	v_bfe_u32 v24, v9, 2, 5
	v_lshlrev_b32_e32 v9, v26, v9
	v_sub_u32_e32 v25, 30, v25
	v_and_b32_e32 v9, 3, v9
	v_cmp_eq_u32_e32 vcc, 0, v24
	v_cndmask_b32_e32 v24, v24, v25, vcc
	v_cndmask_b32_e32 v9, v15, v9, vcc
	v_mov_b32_e32 v15, 0x37800000
	v_lshlrev_b32_e32 v9, 21, v9
	v_and_b32_e32 v14, 0x80000000, v14
	v_lshl_add_u32 v15, v24, 23, v15
	v_or3_b32 v9, v14, v15, v9
	v_cvt_f64_f32_e32 v[14:15], v9
.LBB8_1596:
	s_or_b64 exec, exec, s[6:7]
	s_mov_b64 s[4:5], 0
	s_branch .LBB8_1602
.LBB8_1597:
	s_mov_b64 s[4:5], -1
                                        ; implicit-def: $vgpr14_vgpr15
	s_branch .LBB8_1608
.LBB8_1598:
	s_or_saveexec_b64 s[16:17], s[16:17]
	v_pk_mov_b32 v[14:15], s[10:11], s[10:11] op_sel:[0,1]
	s_xor_b64 exec, exec, s[16:17]
	s_cbranch_execz .LBB8_1581
.LBB8_1599:
	v_cmp_ne_u16_e32 vcc, 0, v9
	s_andn2_b64 s[6:7], s[6:7], exec
	s_and_b64 s[10:11], vcc, exec
	v_pk_mov_b32 v[14:15], 0, 0
	s_or_b64 s[6:7], s[6:7], s[10:11]
	s_or_b64 exec, exec, s[16:17]
	s_and_saveexec_b64 s[10:11], s[6:7]
	s_cbranch_execnz .LBB8_1582
	s_branch .LBB8_1583
.LBB8_1600:
	s_mov_b64 s[4:5], -1
                                        ; implicit-def: $vgpr14_vgpr15
	s_branch .LBB8_1605
.LBB8_1601:
	s_mov_b64 s[4:5], -1
                                        ; implicit-def: $vgpr14_vgpr15
.LBB8_1602:
	s_and_b64 vcc, exec, s[4:5]
	s_cbranch_vccz .LBB8_1604
; %bb.1603:
	global_load_ubyte v9, v[20:21], off
	s_mov_b32 s4, 0x7f800000
	s_waitcnt vmcnt(0)
	v_lshlrev_b32_e32 v9, 24, v9
	v_and_b32_e32 v14, 0x7f000000, v9
	v_ffbh_u32_e32 v15, v14
	v_min_u32_e32 v15, 32, v15
	v_sub_u32_e64 v15, v15, 4 clamp
	v_lshlrev_b32_e32 v25, v15, v14
	v_lshlrev_b32_e32 v15, 23, v15
	v_lshrrev_b32_e32 v25, 4, v25
	v_add_u32_e32 v24, 0x1000000, v14
	v_sub_u32_e32 v15, v25, v15
	v_ashrrev_i32_e32 v24, 8, v24
	v_add_u32_e32 v15, 0x3c000000, v15
	v_and_or_b32 v15, v24, s4, v15
	v_cmp_ne_u32_e32 vcc, 0, v14
	v_cndmask_b32_e32 v14, 0, v15, vcc
	s_brev_b32 s4, 1
	v_and_or_b32 v9, v9, s4, v14
	v_cvt_f64_f32_e32 v[14:15], v9
.LBB8_1604:
	s_mov_b64 s[4:5], 0
.LBB8_1605:
	s_andn2_b64 vcc, exec, s[4:5]
	s_cbranch_vccnz .LBB8_1607
; %bb.1606:
	global_load_ubyte v9, v[20:21], off
	s_movk_i32 s4, 0x7f00
	s_brev_b32 s5, 16
	s_waitcnt vmcnt(0)
	v_lshlrev_b16_e32 v14, 8, v9
	v_lshlrev_b32_e32 v9, 25, v9
	v_lshrrev_b32_e32 v15, 4, v9
	v_and_or_b32 v24, v14, s4, 0.5
	v_or_b32_e32 v15, 0x70000000, v15
	v_add_f32_e32 v24, -0.5, v24
	v_mul_f32_e32 v15, 0x7800000, v15
	v_cmp_gt_u32_e32 vcc, s5, v9
	v_bfe_i32 v14, v14, 0, 16
	v_cndmask_b32_e32 v9, v15, v24, vcc
	s_brev_b32 s4, 1
	v_and_or_b32 v9, v14, s4, v9
	v_cvt_f64_f32_e32 v[14:15], v9
.LBB8_1607:
	s_mov_b64 s[4:5], 0
	s_mov_b64 s[6:7], -1
.LBB8_1608:
	s_andn2_b64 vcc, exec, s[4:5]
	s_mov_b64 s[4:5], 0
	s_cbranch_vccnz .LBB8_1619
; %bb.1609:
	v_mov_b32_e32 v9, 14
	v_cmp_gt_i16_sdwa s[4:5], s22, v9 src0_sel:BYTE_0 src1_sel:DWORD
	s_and_b64 vcc, exec, s[4:5]
	s_cbranch_vccz .LBB8_1612
; %bb.1610:
	v_mov_b32_e32 v9, 15
	v_cmp_eq_u16_sdwa s[0:1], s22, v9 src0_sel:BYTE_0 src1_sel:DWORD
	s_and_b64 vcc, exec, s[0:1]
	s_cbranch_vccz .LBB8_1615
; %bb.1611:
	global_load_ushort v9, v[20:21], off
	s_mov_b64 s[0:1], 0
	s_mov_b64 s[6:7], -1
	s_waitcnt vmcnt(0)
	v_lshlrev_b32_e32 v9, 16, v9
	v_cvt_f64_f32_e32 v[14:15], v9
	s_branch .LBB8_1616
.LBB8_1612:
	s_mov_b64 s[10:11], -1
                                        ; implicit-def: $vgpr14_vgpr15
	s_branch .LBB8_1617
.LBB8_1613:
	s_or_saveexec_b64 s[10:11], s[10:11]
	v_pk_mov_b32 v[14:15], s[6:7], s[6:7] op_sel:[0,1]
	s_xor_b64 exec, exec, s[10:11]
	s_cbranch_execz .LBB8_1594
.LBB8_1614:
	v_cmp_ne_u16_e32 vcc, 0, v9
	s_andn2_b64 s[4:5], s[4:5], exec
	s_and_b64 s[6:7], vcc, exec
	v_pk_mov_b32 v[14:15], 0, 0
	s_or_b64 s[4:5], s[4:5], s[6:7]
	s_or_b64 exec, exec, s[10:11]
	s_and_saveexec_b64 s[6:7], s[4:5]
	s_cbranch_execnz .LBB8_1595
	s_branch .LBB8_1596
.LBB8_1615:
	s_mov_b64 s[0:1], -1
                                        ; implicit-def: $vgpr14_vgpr15
.LBB8_1616:
	s_mov_b64 s[10:11], 0
.LBB8_1617:
	s_mov_b64 s[4:5], 0
	s_and_b64 vcc, exec, s[10:11]
	s_cbranch_vccz .LBB8_1619
; %bb.1618:
	v_mov_b32_e32 v9, 11
	v_cmp_ne_u16_sdwa s[0:1], s22, v9 src0_sel:BYTE_0 src1_sel:DWORD
	s_mov_b64 s[4:5], -1
                                        ; implicit-def: $vgpr14_vgpr15
.LBB8_1619:
	s_and_b64 vcc, exec, s[0:1]
	s_cbranch_vccnz .LBB8_1685
; %bb.1620:
	s_andn2_b64 vcc, exec, s[4:5]
	s_cbranch_vccnz .LBB8_1622
.LBB8_1621:
	global_load_ubyte v9, v[20:21], off
	v_mov_b32_e32 v15, 0x3ff00000
	v_mov_b32_e32 v14, 0
	s_mov_b64 s[6:7], -1
	s_waitcnt vmcnt(0)
	v_cmp_ne_u16_e32 vcc, 0, v9
	v_cndmask_b32_e32 v15, 0, v15, vcc
.LBB8_1622:
	s_mov_b64 s[0:1], 0
.LBB8_1623:
	s_and_b64 vcc, exec, s[0:1]
	s_cbranch_vccz .LBB8_1672
; %bb.1624:
	v_mov_b32_e32 v9, 5
	v_cmp_lt_i16_sdwa s[0:1], s22, v9 src0_sel:BYTE_0 src1_sel:DWORD
	s_and_b64 vcc, exec, s[0:1]
	s_cbranch_vccnz .LBB8_1629
; %bb.1625:
	v_mov_b32_e32 v9, 8
	v_cmp_lt_i16_sdwa s[0:1], s22, v9 src0_sel:BYTE_0 src1_sel:DWORD
	s_and_b64 vcc, exec, s[0:1]
	s_cbranch_vccnz .LBB8_1630
	;; [unrolled: 5-line block ×3, first 2 shown]
; %bb.1627:
	v_cmp_gt_i16_sdwa s[0:1], s22, v9 src0_sel:BYTE_0 src1_sel:DWORD
	s_and_b64 vcc, exec, s[0:1]
	s_cbranch_vccz .LBB8_1632
; %bb.1628:
	global_load_dwordx2 v[14:15], v[20:21], off
	s_mov_b64 s[0:1], 0
	s_branch .LBB8_1633
.LBB8_1629:
	s_mov_b64 s[0:1], -1
                                        ; implicit-def: $vgpr14_vgpr15
	s_branch .LBB8_1651
.LBB8_1630:
	s_mov_b64 s[0:1], -1
                                        ; implicit-def: $vgpr14_vgpr15
	s_branch .LBB8_1639
.LBB8_1631:
	s_mov_b64 s[0:1], -1
                                        ; implicit-def: $vgpr14_vgpr15
	s_branch .LBB8_1636
.LBB8_1632:
	s_mov_b64 s[0:1], -1
                                        ; implicit-def: $vgpr14_vgpr15
.LBB8_1633:
	s_andn2_b64 vcc, exec, s[0:1]
	s_cbranch_vccnz .LBB8_1635
; %bb.1634:
	global_load_dword v9, v[20:21], off
	s_waitcnt vmcnt(0)
	v_cvt_f64_f32_e32 v[14:15], v9
.LBB8_1635:
	s_mov_b64 s[0:1], 0
.LBB8_1636:
	s_andn2_b64 vcc, exec, s[0:1]
	s_cbranch_vccnz .LBB8_1638
; %bb.1637:
	global_load_dword v9, v[20:21], off
	s_waitcnt vmcnt(0)
	v_cvt_f32_f16_e32 v9, v9
	v_cvt_f64_f32_e32 v[14:15], v9
.LBB8_1638:
	s_mov_b64 s[0:1], 0
.LBB8_1639:
	s_andn2_b64 vcc, exec, s[0:1]
	s_cbranch_vccnz .LBB8_1650
; %bb.1640:
	v_mov_b32_e32 v9, 6
	v_cmp_lt_i16_sdwa s[0:1], s22, v9 src0_sel:BYTE_0 src1_sel:DWORD
	s_and_b64 vcc, exec, s[0:1]
	s_cbranch_vccnz .LBB8_1643
; %bb.1641:
	v_cmp_gt_i16_sdwa s[0:1], s22, v9 src0_sel:BYTE_0 src1_sel:DWORD
	s_and_b64 vcc, exec, s[0:1]
	s_cbranch_vccz .LBB8_1644
; %bb.1642:
	global_load_dwordx2 v[14:15], v[20:21], off
	s_mov_b64 s[0:1], 0
	s_branch .LBB8_1645
.LBB8_1643:
	s_mov_b64 s[0:1], -1
                                        ; implicit-def: $vgpr14_vgpr15
	s_branch .LBB8_1648
.LBB8_1644:
	s_mov_b64 s[0:1], -1
                                        ; implicit-def: $vgpr14_vgpr15
.LBB8_1645:
	s_andn2_b64 vcc, exec, s[0:1]
	s_cbranch_vccnz .LBB8_1647
; %bb.1646:
	global_load_dword v9, v[20:21], off
	s_waitcnt vmcnt(0)
	v_cvt_f64_f32_e32 v[14:15], v9
.LBB8_1647:
	s_mov_b64 s[0:1], 0
.LBB8_1648:
	s_andn2_b64 vcc, exec, s[0:1]
	s_cbranch_vccnz .LBB8_1650
; %bb.1649:
	global_load_ushort v9, v[20:21], off
	s_waitcnt vmcnt(0)
	v_cvt_f32_f16_e32 v9, v9
	v_cvt_f64_f32_e32 v[14:15], v9
.LBB8_1650:
	s_mov_b64 s[0:1], 0
.LBB8_1651:
	s_andn2_b64 vcc, exec, s[0:1]
	s_cbranch_vccnz .LBB8_1671
; %bb.1652:
	v_mov_b32_e32 v9, 2
	v_cmp_lt_i16_sdwa s[0:1], s22, v9 src0_sel:BYTE_0 src1_sel:DWORD
	s_and_b64 vcc, exec, s[0:1]
	s_cbranch_vccnz .LBB8_1656
; %bb.1653:
	v_mov_b32_e32 v9, 3
	v_cmp_lt_i16_sdwa s[0:1], s22, v9 src0_sel:BYTE_0 src1_sel:DWORD
	s_and_b64 vcc, exec, s[0:1]
	s_cbranch_vccnz .LBB8_1657
; %bb.1654:
	v_cmp_gt_i16_sdwa s[0:1], s22, v9 src0_sel:BYTE_0 src1_sel:DWORD
	s_and_b64 vcc, exec, s[0:1]
	s_cbranch_vccz .LBB8_1658
; %bb.1655:
	global_load_dwordx2 v[14:15], v[20:21], off
	s_mov_b64 s[0:1], 0
	s_waitcnt vmcnt(0)
	v_cvt_f64_i32_e32 v[24:25], v15
	v_cvt_f64_u32_e32 v[14:15], v14
	v_ldexp_f64 v[24:25], v[24:25], 32
	v_add_f64 v[14:15], v[24:25], v[14:15]
	s_branch .LBB8_1659
.LBB8_1656:
	s_mov_b64 s[0:1], -1
                                        ; implicit-def: $vgpr14_vgpr15
	s_branch .LBB8_1665
.LBB8_1657:
	s_mov_b64 s[0:1], -1
                                        ; implicit-def: $vgpr14_vgpr15
	s_branch .LBB8_1662
.LBB8_1658:
	s_mov_b64 s[0:1], -1
                                        ; implicit-def: $vgpr14_vgpr15
.LBB8_1659:
	s_andn2_b64 vcc, exec, s[0:1]
	s_cbranch_vccnz .LBB8_1661
; %bb.1660:
	global_load_dword v9, v[20:21], off
	s_waitcnt vmcnt(0)
	v_cvt_f64_i32_e32 v[14:15], v9
.LBB8_1661:
	s_mov_b64 s[0:1], 0
.LBB8_1662:
	s_andn2_b64 vcc, exec, s[0:1]
	s_cbranch_vccnz .LBB8_1664
; %bb.1663:
	global_load_sshort v9, v[20:21], off
	s_waitcnt vmcnt(0)
	v_cvt_f64_i32_e32 v[14:15], v9
.LBB8_1664:
	s_mov_b64 s[0:1], 0
.LBB8_1665:
	s_andn2_b64 vcc, exec, s[0:1]
	s_cbranch_vccnz .LBB8_1671
; %bb.1666:
	v_mov_b32_e32 v9, 0
	v_cmp_gt_i16_sdwa s[0:1], s22, v9 src0_sel:BYTE_0 src1_sel:DWORD
	s_and_b64 vcc, exec, s[0:1]
	s_cbranch_vccz .LBB8_1668
; %bb.1667:
	global_load_sbyte v9, v[20:21], off
	s_mov_b64 s[0:1], 0
	s_waitcnt vmcnt(0)
	v_cvt_f64_i32_e32 v[14:15], v9
	s_branch .LBB8_1669
.LBB8_1668:
	s_mov_b64 s[0:1], -1
                                        ; implicit-def: $vgpr14_vgpr15
.LBB8_1669:
	s_andn2_b64 vcc, exec, s[0:1]
	s_cbranch_vccnz .LBB8_1671
; %bb.1670:
	global_load_ubyte v9, v[20:21], off
	s_waitcnt vmcnt(0)
	v_cvt_f64_u32_e32 v[14:15], v9
.LBB8_1671:
	s_mov_b64 s[6:7], -1
.LBB8_1672:
	s_andn2_b64 vcc, exec, s[6:7]
	s_cbranch_vccnz .LBB8_2060
; %bb.1673:
	s_waitcnt vmcnt(0)
	v_cvt_f32_f64_e32 v9, v[14:15]
	s_mov_b32 s0, 0x7f800000
	v_cmp_nlg_f32_e64 s[4:5], |v9|, s0
	v_pk_mov_b32 v[20:21], v[18:19], v[18:19] op_sel:[0,1]
	v_mov_b32_e32 v24, v7
	s_and_saveexec_b64 s[0:1], s[4:5]
	s_cbranch_execz .LBB8_1675
; %bb.1674:
	v_mov_b32_e32 v9, 0
	v_mov_b32_e32 v20, 1.0
	global_store_dword v9, v20, s[12:13]
	global_load_dword v24, v9, s[14:15]
	s_waitcnt vmcnt(0)
	v_cvt_f64_f32_e32 v[20:21], v24
.LBB8_1675:
	s_or_b64 exec, exec, s[0:1]
	s_load_dword s0, s[34:35], 0x168
	v_mul_f64 v[22:23], v[0:1], v[22:23]
	v_cmp_eq_f32_e32 vcc, 1.0, v3
	v_cndmask_b32_e32 v1, v23, v1, vcc
	v_cndmask_b32_e32 v0, v22, v0, vcc
	s_waitcnt lgkmcnt(0)
	s_and_b32 s16, s0, 0xff
	v_mov_b32_e32 v3, s9
	v_add_co_u32_e32 v22, vcc, s8, v2
	v_addc_co_u32_e32 v23, vcc, 0, v3, vcc
	v_cmp_lt_i16_e64 s[4:5], s16, 11
	s_and_b64 vcc, exec, s[4:5]
	s_cbranch_vccnz .LBB8_1682
; %bb.1676:
	v_cmp_gt_i16_e64 s[0:1], s16, 25
	s_mov_b64 s[12:13], -1
	s_mov_b64 s[6:7], 0
	s_and_b64 vcc, exec, s[0:1]
	s_mov_b64 s[10:11], 0
	s_mov_b64 s[0:1], 0
	s_cbranch_vccz .LBB8_1714
; %bb.1677:
	v_cmp_gt_i16_e64 s[0:1], s16, 28
	s_and_b64 vcc, exec, s[0:1]
	s_cbranch_vccz .LBB8_1683
; %bb.1678:
	v_cmp_gt_i16_e64 s[0:1], s16, 43
	s_and_b64 vcc, exec, s[0:1]
	;; [unrolled: 4-line block ×3, first 2 shown]
	s_cbranch_vccz .LBB8_1686
; %bb.1680:
	v_cmp_eq_u16_e64 s[10:11], s16, 46
	s_mov_b64 s[0:1], -1
	s_mov_b64 s[12:13], 0
	s_and_b64 vcc, exec, s[10:11]
	s_mov_b64 s[10:11], 0
	s_cbranch_vccz .LBB8_1687
; %bb.1681:
	v_cvt_f32_f64_e32 v2, v[0:1]
	v_bfe_u32 v3, v2, 16, 1
	s_movk_i32 s0, 0x7fff
	v_add3_u32 v3, v2, v3, s0
	v_lshrrev_b32_e32 v3, 16, v3
	v_mov_b32_e32 v9, 0x7fc0
	v_cmp_o_f32_e32 vcc, v2, v2
	v_cndmask_b32_e32 v2, v9, v3, vcc
	global_store_dword v[22:23], v2, off
	s_mov_b64 s[0:1], 0
	s_mov_b64 s[10:11], -1
	s_branch .LBB8_1687
.LBB8_1682:
	s_mov_b64 s[0:1], -1
	s_mov_b64 s[10:11], 0
	s_branch .LBB8_1758
.LBB8_1683:
	s_mov_b64 s[0:1], 0
	s_branch .LBB8_1697
.LBB8_1684:
	s_mov_b64 s[0:1], 0
	s_branch .LBB8_1693
.LBB8_1685:
	s_trap 2
	s_or_b64 s[2:3], s[2:3], exec
                                        ; implicit-def: $vgpr14_vgpr15
	s_cbranch_execz .LBB8_1621
	s_branch .LBB8_1622
.LBB8_1686:
	s_mov_b64 s[0:1], 0
.LBB8_1687:
	s_and_b64 vcc, exec, s[12:13]
	s_cbranch_vccz .LBB8_1692
; %bb.1688:
	v_cmp_eq_u16_e64 s[12:13], s16, 44
	s_mov_b64 s[0:1], -1
	s_and_b64 vcc, exec, s[12:13]
	s_cbranch_vccz .LBB8_1692
; %bb.1689:
	v_cvt_f32_f64_e32 v2, v[0:1]
	v_bfe_u32 v3, v2, 23, 8
	s_movk_i32 s0, 0xff
	v_cmp_ne_u32_e32 vcc, s0, v3
	v_mov_b32_e32 v9, 0xff
	s_and_saveexec_b64 s[10:11], vcc
; %bb.1690:
	s_mov_b32 s0, 0x3fffff
	v_lshrrev_b32_e32 v9, 23, v2
	v_and_b32_e32 v25, 0x400000, v2
	v_and_or_b32 v2, v2, s0, v3
	v_cmp_ne_u32_e32 vcc, 0, v25
	v_cmp_ne_u32_e64 s[0:1], 0, v2
	s_and_b64 s[0:1], vcc, s[0:1]
	v_cndmask_b32_e64 v2, 0, 1, s[0:1]
	v_add_u32_e32 v9, v9, v2
; %bb.1691:
	s_or_b64 exec, exec, s[10:11]
	s_mov_b64 s[0:1], 0
	s_mov_b64 s[10:11], -1
	global_store_byte v[22:23], v9, off
.LBB8_1692:
	s_mov_b64 s[12:13], 0
.LBB8_1693:
	s_and_b64 vcc, exec, s[12:13]
	s_cbranch_vccz .LBB8_1696
; %bb.1694:
	v_cmp_eq_u16_e64 s[12:13], s16, 29
	s_mov_b64 s[0:1], -1
	s_and_b64 vcc, exec, s[12:13]
	s_cbranch_vccz .LBB8_1696
; %bb.1695:
	v_trunc_f64_e32 v[2:3], v[0:1]
	s_movk_i32 s0, 0xffe0
	v_ldexp_f64 v[26:27], v[2:3], s0
	v_floor_f64_e32 v[26:27], v[26:27]
	v_fmac_f64_e32 v[2:3], 0xc1f00000, v[26:27]
	v_cvt_u32_f64_e32 v29, v[26:27]
	v_cvt_u32_f64_e32 v28, v[2:3]
	global_store_dwordx2 v[22:23], v[28:29], off
	s_mov_b64 s[0:1], 0
	s_mov_b64 s[10:11], -1
.LBB8_1696:
	s_mov_b64 s[12:13], 0
.LBB8_1697:
	s_and_b64 vcc, exec, s[12:13]
	s_cbranch_vccz .LBB8_1713
; %bb.1698:
	v_cmp_lt_i16_e64 s[12:13], s16, 27
	s_mov_b64 s[10:11], -1
	s_and_b64 vcc, exec, s[12:13]
	s_cbranch_vccnz .LBB8_1704
; %bb.1699:
	v_cmp_gt_i16_e64 s[12:13], s16, 27
	s_and_b64 vcc, exec, s[12:13]
	v_cvt_u32_f64_e32 v2, v[0:1]
	s_cbranch_vccz .LBB8_1701
; %bb.1700:
	s_mov_b64 s[10:11], 0
	global_store_dword v[22:23], v2, off
.LBB8_1701:
	s_andn2_b64 vcc, exec, s[10:11]
	s_cbranch_vccnz .LBB8_1703
; %bb.1702:
	global_store_short v[22:23], v2, off
.LBB8_1703:
	s_mov_b64 s[10:11], 0
.LBB8_1704:
	s_andn2_b64 vcc, exec, s[10:11]
	s_cbranch_vccnz .LBB8_1712
; %bb.1705:
	v_cvt_f32_f64_e32 v2, v[0:1]
	v_and_b32_e32 v3, 0x7fffffff, v2
	s_mov_b32 s10, 0x43800000
	v_cmp_gt_u32_e32 vcc, s10, v3
	v_mov_b32_e32 v9, 0x80
	s_and_saveexec_b64 s[10:11], vcc
	s_cbranch_execz .LBB8_1711
; %bb.1706:
	s_mov_b32 s12, 0x3bffffff
	v_cmp_lt_u32_e32 vcc, s12, v3
	s_mov_b64 s[12:13], 0
                                        ; implicit-def: $vgpr3
	s_and_saveexec_b64 s[14:15], vcc
	s_xor_b64 s[14:15], exec, s[14:15]
	s_cbranch_execz .LBB8_1807
; %bb.1707:
	v_bfe_u32 v3, v2, 20, 1
	s_mov_b32 s17, 0x487ffff
	v_add3_u32 v3, v2, v3, s17
	s_mov_b64 s[12:13], exec
	v_lshrrev_b32_e32 v3, 20, v3
	s_or_saveexec_b64 s[14:15], s[14:15]
                                        ; implicit-def: $sgpr17
	s_xor_b64 exec, exec, s[14:15]
	s_cbranch_execnz .LBB8_1808
.LBB8_1708:
	s_or_b64 exec, exec, s[14:15]
	v_mov_b32_e32 v9, s17
	s_and_saveexec_b64 s[14:15], s[12:13]
.LBB8_1709:
	v_lshrrev_b32_e32 v2, 24, v2
	s_movk_i32 s12, 0x80
	v_and_or_b32 v9, v2, s12, v3
.LBB8_1710:
	s_or_b64 exec, exec, s[14:15]
.LBB8_1711:
	s_or_b64 exec, exec, s[10:11]
	global_store_byte v[22:23], v9, off
.LBB8_1712:
	s_mov_b64 s[10:11], -1
.LBB8_1713:
	s_mov_b64 s[12:13], 0
.LBB8_1714:
	s_and_b64 vcc, exec, s[12:13]
	s_cbranch_vccz .LBB8_1754
; %bb.1715:
	v_cmp_gt_i16_e64 s[12:13], s16, 22
	s_mov_b64 s[6:7], -1
	s_and_b64 vcc, exec, s[12:13]
	s_cbranch_vccz .LBB8_1747
; %bb.1716:
	v_cmp_lt_i16_e64 s[10:11], s16, 24
	s_and_b64 vcc, exec, s[10:11]
	s_cbranch_vccnz .LBB8_1736
; %bb.1717:
	v_cmp_gt_i16_e64 s[10:11], s16, 24
	s_and_b64 vcc, exec, s[10:11]
	s_cbranch_vccz .LBB8_1725
; %bb.1718:
	v_cvt_f32_f64_e32 v2, v[0:1]
	v_and_b32_e32 v3, 0x7fffffff, v2
	s_mov_b32 s6, 0x47800000
	v_cmp_gt_u32_e32 vcc, s6, v3
	v_mov_b32_e32 v9, 0x80
	s_and_saveexec_b64 s[6:7], vcc
	s_cbranch_execz .LBB8_1724
; %bb.1719:
	s_mov_b32 s10, 0x37ffffff
	v_cmp_lt_u32_e32 vcc, s10, v3
	s_mov_b64 s[10:11], 0
                                        ; implicit-def: $vgpr3
	s_and_saveexec_b64 s[12:13], vcc
	s_xor_b64 s[12:13], exec, s[12:13]
	s_cbranch_execz .LBB8_1811
; %bb.1720:
	v_bfe_u32 v3, v2, 21, 1
	s_mov_b32 s14, 0x88fffff
	v_add3_u32 v3, v2, v3, s14
	s_mov_b64 s[10:11], exec
	v_lshrrev_b32_e32 v3, 21, v3
	s_or_saveexec_b64 s[12:13], s[12:13]
                                        ; implicit-def: $sgpr14
	s_xor_b64 exec, exec, s[12:13]
	s_cbranch_execnz .LBB8_1812
.LBB8_1721:
	s_or_b64 exec, exec, s[12:13]
	v_mov_b32_e32 v9, s14
	s_and_saveexec_b64 s[12:13], s[10:11]
.LBB8_1722:
	v_lshrrev_b32_e32 v2, 24, v2
	s_movk_i32 s10, 0x80
	v_and_or_b32 v9, v2, s10, v3
.LBB8_1723:
	s_or_b64 exec, exec, s[12:13]
.LBB8_1724:
	s_or_b64 exec, exec, s[6:7]
	s_mov_b64 s[6:7], 0
	global_store_byte v[22:23], v9, off
.LBB8_1725:
	s_and_b64 vcc, exec, s[6:7]
	s_cbranch_vccz .LBB8_1735
; %bb.1726:
	v_cvt_f32_f64_e32 v2, v[0:1]
	v_and_b32_e32 v9, 0x7fffffff, v2
	s_mov_b32 s6, 0x43f00000
	v_cmp_gt_u32_e32 vcc, s6, v9
                                        ; implicit-def: $vgpr3
	s_and_saveexec_b64 s[6:7], vcc
	s_xor_b64 s[6:7], exec, s[6:7]
	s_cbranch_execz .LBB8_1732
; %bb.1727:
	s_mov_b32 s10, 0x3c7fffff
	v_cmp_lt_u32_e32 vcc, s10, v9
                                        ; implicit-def: $vgpr3
	s_and_saveexec_b64 s[10:11], vcc
	s_xor_b64 s[10:11], exec, s[10:11]
; %bb.1728:
	v_bfe_u32 v3, v2, 20, 1
	s_mov_b32 s12, 0x407ffff
	v_add3_u32 v3, v2, v3, s12
	v_lshrrev_b32_e32 v9, 20, v3
	v_and_b32_e32 v3, 0xff00000, v3
	s_mov_b32 s12, 0x7f00000
	v_mov_b32_e32 v25, 0x7e
	v_cmp_ne_u32_e32 vcc, s12, v3
	v_cndmask_b32_e32 v3, v25, v9, vcc
; %bb.1729:
	s_andn2_saveexec_b64 s[10:11], s[10:11]
; %bb.1730:
	s_mov_b32 s12, 0x46800000
	v_add_f32_e64 v3, |v2|, s12
; %bb.1731:
	s_or_b64 exec, exec, s[10:11]
                                        ; implicit-def: $vgpr9
.LBB8_1732:
	s_andn2_saveexec_b64 s[6:7], s[6:7]
; %bb.1733:
	s_mov_b32 s10, 0x7f800000
	v_mov_b32_e32 v3, 0x7e
	v_mov_b32_e32 v25, 0x7f
	v_cmp_lt_u32_e32 vcc, s10, v9
	v_cndmask_b32_e32 v3, v3, v25, vcc
; %bb.1734:
	s_or_b64 exec, exec, s[6:7]
	v_lshrrev_b32_e32 v2, 24, v2
	s_movk_i32 s6, 0x80
	v_and_or_b32 v2, v2, s6, v3
	global_store_byte v[22:23], v2, off
.LBB8_1735:
	s_mov_b64 s[6:7], 0
.LBB8_1736:
	s_andn2_b64 vcc, exec, s[6:7]
	s_cbranch_vccnz .LBB8_1746
; %bb.1737:
	v_cvt_f32_f64_e32 v2, v[0:1]
	v_and_b32_e32 v9, 0x7fffffff, v2
	s_mov_b32 s6, 0x47800000
	v_cmp_gt_u32_e32 vcc, s6, v9
                                        ; implicit-def: $vgpr3
	s_and_saveexec_b64 s[6:7], vcc
	s_xor_b64 s[6:7], exec, s[6:7]
	s_cbranch_execz .LBB8_1743
; %bb.1738:
	s_mov_b32 s10, 0x387fffff
	v_cmp_lt_u32_e32 vcc, s10, v9
                                        ; implicit-def: $vgpr3
	s_and_saveexec_b64 s[10:11], vcc
	s_xor_b64 s[10:11], exec, s[10:11]
; %bb.1739:
	v_bfe_u32 v3, v2, 21, 1
	s_mov_b32 s12, 0x80fffff
	v_add3_u32 v3, v2, v3, s12
	v_lshrrev_b32_e32 v3, 21, v3
; %bb.1740:
	s_andn2_saveexec_b64 s[10:11], s[10:11]
; %bb.1741:
	s_mov_b32 s12, 0x43000000
	v_add_f32_e64 v3, |v2|, s12
; %bb.1742:
	s_or_b64 exec, exec, s[10:11]
                                        ; implicit-def: $vgpr9
.LBB8_1743:
	s_andn2_saveexec_b64 s[6:7], s[6:7]
; %bb.1744:
	s_mov_b32 s10, 0x7f800000
	v_mov_b32_e32 v3, 0x7c
	v_mov_b32_e32 v25, 0x7f
	v_cmp_lt_u32_e32 vcc, s10, v9
	v_cndmask_b32_e32 v3, v3, v25, vcc
; %bb.1745:
	s_or_b64 exec, exec, s[6:7]
	v_lshrrev_b32_e32 v2, 24, v2
	s_movk_i32 s6, 0x80
	v_and_or_b32 v2, v2, s6, v3
	global_store_byte v[22:23], v2, off
.LBB8_1746:
	s_mov_b64 s[6:7], 0
	s_mov_b64 s[10:11], -1
.LBB8_1747:
	s_andn2_b64 vcc, exec, s[6:7]
	s_mov_b64 s[6:7], 0
	s_cbranch_vccnz .LBB8_1754
; %bb.1748:
	v_cmp_gt_i16_e64 s[6:7], s16, 14
	s_mov_b64 s[12:13], -1
	s_and_b64 vcc, exec, s[6:7]
	s_cbranch_vccz .LBB8_1752
; %bb.1749:
	v_cmp_eq_u16_e64 s[6:7], s16, 15
	s_mov_b64 s[0:1], -1
	s_and_b64 vcc, exec, s[6:7]
	s_cbranch_vccz .LBB8_1751
; %bb.1750:
	v_cvt_f32_f64_e32 v2, v[0:1]
	v_bfe_u32 v3, v2, 16, 1
	s_movk_i32 s0, 0x7fff
	v_add3_u32 v3, v2, v3, s0
	v_lshrrev_b32_e32 v3, 16, v3
	v_mov_b32_e32 v9, 0x7fc0
	v_cmp_o_f32_e32 vcc, v2, v2
	v_cndmask_b32_e32 v2, v9, v3, vcc
	global_store_short v[22:23], v2, off
	s_mov_b64 s[0:1], 0
	s_mov_b64 s[10:11], -1
.LBB8_1751:
	s_mov_b64 s[12:13], 0
.LBB8_1752:
	s_mov_b64 s[6:7], 0
	s_and_b64 vcc, exec, s[12:13]
	s_cbranch_vccz .LBB8_1754
; %bb.1753:
	v_cmp_ne_u16_e64 s[0:1], s16, 11
	s_mov_b64 s[6:7], -1
.LBB8_1754:
	s_and_b64 vcc, exec, s[0:1]
	s_cbranch_vccnz .LBB8_1810
; %bb.1755:
	s_andn2_b64 vcc, exec, s[6:7]
	s_cbranch_vccnz .LBB8_1757
.LBB8_1756:
	v_cmp_neq_f64_e32 vcc, 0, v[0:1]
	v_cndmask_b32_e64 v2, 0, 1, vcc
	s_mov_b64 s[10:11], -1
	global_store_byte v[22:23], v2, off
.LBB8_1757:
	s_mov_b64 s[0:1], 0
.LBB8_1758:
	s_and_b64 vcc, exec, s[0:1]
	s_cbranch_vccz .LBB8_1797
; %bb.1759:
	v_cmp_lt_i16_e64 s[6:7], s16, 5
	s_mov_b64 s[0:1], -1
	s_and_b64 vcc, exec, s[6:7]
	s_cbranch_vccnz .LBB8_1780
; %bb.1760:
	v_cmp_lt_i16_e64 s[6:7], s16, 8
	s_and_b64 vcc, exec, s[6:7]
	s_cbranch_vccnz .LBB8_1770
; %bb.1761:
	v_cmp_lt_i16_e64 s[6:7], s16, 9
	s_and_b64 vcc, exec, s[6:7]
	s_cbranch_vccnz .LBB8_1767
; %bb.1762:
	v_cmp_gt_i16_e64 s[6:7], s16, 9
	s_and_b64 vcc, exec, s[6:7]
	s_cbranch_vccz .LBB8_1764
; %bb.1763:
	v_mov_b32_e32 v2, 0
	v_mov_b32_e32 v3, v2
	global_store_dwordx4 v[22:23], v[0:3], off
	s_mov_b64 s[0:1], 0
.LBB8_1764:
	s_andn2_b64 vcc, exec, s[0:1]
	s_cbranch_vccnz .LBB8_1766
; %bb.1765:
	v_cvt_f32_f64_e32 v2, v[0:1]
	v_mov_b32_e32 v3, 0
	global_store_dwordx2 v[22:23], v[2:3], off
.LBB8_1766:
	s_mov_b64 s[0:1], 0
.LBB8_1767:
	s_andn2_b64 vcc, exec, s[0:1]
	s_cbranch_vccnz .LBB8_1769
; %bb.1768:
	v_cvt_f32_f64_e32 v2, v[0:1]
	v_cvt_f16_f32_e32 v2, v2
	global_store_dword v[22:23], v2, off
.LBB8_1769:
	s_mov_b64 s[0:1], 0
.LBB8_1770:
	s_andn2_b64 vcc, exec, s[0:1]
	s_cbranch_vccnz .LBB8_1779
; %bb.1771:
	v_cmp_lt_i16_e64 s[6:7], s16, 6
	s_mov_b64 s[0:1], -1
	s_and_b64 vcc, exec, s[6:7]
	s_cbranch_vccnz .LBB8_1777
; %bb.1772:
	v_cmp_gt_i16_e64 s[6:7], s16, 6
	s_and_b64 vcc, exec, s[6:7]
	s_cbranch_vccz .LBB8_1774
; %bb.1773:
	global_store_dwordx2 v[22:23], v[0:1], off
	s_mov_b64 s[0:1], 0
.LBB8_1774:
	s_andn2_b64 vcc, exec, s[0:1]
	s_cbranch_vccnz .LBB8_1776
; %bb.1775:
	v_cvt_f32_f64_e32 v2, v[0:1]
	global_store_dword v[22:23], v2, off
.LBB8_1776:
	s_mov_b64 s[0:1], 0
.LBB8_1777:
	s_andn2_b64 vcc, exec, s[0:1]
	s_cbranch_vccnz .LBB8_1779
; %bb.1778:
	v_cvt_f32_f64_e32 v2, v[0:1]
	v_cvt_f16_f32_e32 v2, v2
	global_store_short v[22:23], v2, off
.LBB8_1779:
	s_mov_b64 s[0:1], 0
.LBB8_1780:
	s_andn2_b64 vcc, exec, s[0:1]
	s_cbranch_vccnz .LBB8_1796
; %bb.1781:
	v_cmp_lt_i16_e64 s[6:7], s16, 2
	s_mov_b64 s[0:1], -1
	s_and_b64 vcc, exec, s[6:7]
	s_cbranch_vccnz .LBB8_1791
; %bb.1782:
	v_cmp_lt_i16_e64 s[6:7], s16, 3
	s_and_b64 vcc, exec, s[6:7]
	s_cbranch_vccnz .LBB8_1788
; %bb.1783:
	v_cmp_gt_i16_e64 s[6:7], s16, 3
	s_and_b64 vcc, exec, s[6:7]
	s_cbranch_vccz .LBB8_1785
; %bb.1784:
	v_trunc_f64_e32 v[2:3], v[0:1]
	s_movk_i32 s0, 0xffe0
	v_ldexp_f64 v[26:27], v[2:3], s0
	v_floor_f64_e32 v[26:27], v[26:27]
	v_fmac_f64_e32 v[2:3], 0xc1f00000, v[26:27]
	v_cvt_i32_f64_e32 v29, v[26:27]
	v_cvt_u32_f64_e32 v28, v[2:3]
	global_store_dwordx2 v[22:23], v[28:29], off
	s_mov_b64 s[0:1], 0
.LBB8_1785:
	s_andn2_b64 vcc, exec, s[0:1]
	s_cbranch_vccnz .LBB8_1787
; %bb.1786:
	v_cvt_i32_f64_e32 v2, v[0:1]
	global_store_dword v[22:23], v2, off
.LBB8_1787:
	s_mov_b64 s[0:1], 0
.LBB8_1788:
	s_andn2_b64 vcc, exec, s[0:1]
	s_cbranch_vccnz .LBB8_1790
; %bb.1789:
	v_cvt_i32_f64_e32 v2, v[0:1]
	global_store_short v[22:23], v2, off
.LBB8_1790:
	s_mov_b64 s[0:1], 0
.LBB8_1791:
	s_andn2_b64 vcc, exec, s[0:1]
	s_cbranch_vccnz .LBB8_1796
; %bb.1792:
	v_cmp_gt_i16_e64 s[6:7], s16, 0
	s_mov_b64 s[0:1], -1
	s_and_b64 vcc, exec, s[6:7]
	s_cbranch_vccz .LBB8_1794
; %bb.1793:
	v_cvt_i32_f64_e32 v2, v[0:1]
	global_store_byte v[22:23], v2, off
	s_mov_b64 s[0:1], 0
.LBB8_1794:
	s_andn2_b64 vcc, exec, s[0:1]
	s_cbranch_vccnz .LBB8_1796
; %bb.1795:
	v_trunc_f64_e32 v[0:1], v[0:1]
	s_movk_i32 s0, 0xffe0
	v_ldexp_f64 v[2:3], v[0:1], s0
	v_floor_f64_e32 v[2:3], v[2:3]
	v_fmac_f64_e32 v[0:1], 0xc1f00000, v[2:3]
	v_cvt_u32_f64_e32 v0, v[0:1]
	global_store_byte v[22:23], v0, off
.LBB8_1796:
	s_mov_b64 s[10:11], -1
.LBB8_1797:
	s_andn2_b64 vcc, exec, s[10:11]
	s_cbranch_vccnz .LBB8_2060
; %bb.1798:
	v_mul_f64 v[0:1], v[10:11], v[16:17]
	v_cmp_eq_f32_e32 vcc, 1.0, v5
	v_cndmask_b32_e32 v1, v1, v11, vcc
	v_cndmask_b32_e32 v0, v0, v10, vcc
	v_mov_b32_e32 v2, s9
	v_add_co_u32_e32 v8, vcc, s8, v8
	v_addc_co_u32_e32 v9, vcc, 0, v2, vcc
	s_and_b64 vcc, exec, s[4:5]
	s_cbranch_vccnz .LBB8_1805
; %bb.1799:
	v_cmp_gt_i16_e64 s[0:1], s16, 25
	s_mov_b64 s[12:13], -1
	s_mov_b64 s[6:7], 0
	s_and_b64 vcc, exec, s[0:1]
	s_mov_b64 s[10:11], 0
	s_mov_b64 s[0:1], 0
	s_cbranch_vccz .LBB8_1841
; %bb.1800:
	v_cmp_gt_i16_e64 s[0:1], s16, 28
	s_and_b64 vcc, exec, s[0:1]
	s_cbranch_vccz .LBB8_1806
; %bb.1801:
	v_cmp_gt_i16_e64 s[0:1], s16, 43
	s_and_b64 vcc, exec, s[0:1]
	;; [unrolled: 4-line block ×3, first 2 shown]
	s_cbranch_vccz .LBB8_1813
; %bb.1803:
	v_cmp_eq_u16_e64 s[10:11], s16, 46
	s_mov_b64 s[0:1], -1
	s_mov_b64 s[12:13], 0
	s_and_b64 vcc, exec, s[10:11]
	s_mov_b64 s[10:11], 0
	s_cbranch_vccz .LBB8_1814
; %bb.1804:
	v_cvt_f32_f64_e32 v2, v[0:1]
	v_bfe_u32 v3, v2, 16, 1
	s_movk_i32 s0, 0x7fff
	v_add3_u32 v3, v2, v3, s0
	v_lshrrev_b32_e32 v3, 16, v3
	v_mov_b32_e32 v5, 0x7fc0
	v_cmp_o_f32_e32 vcc, v2, v2
	v_cndmask_b32_e32 v2, v5, v3, vcc
	global_store_dword v[8:9], v2, off
	s_mov_b64 s[0:1], 0
	s_mov_b64 s[10:11], -1
	s_branch .LBB8_1814
.LBB8_1805:
	s_mov_b64 s[0:1], -1
	s_mov_b64 s[10:11], 0
	s_branch .LBB8_1885
.LBB8_1806:
	s_mov_b64 s[0:1], 0
	s_branch .LBB8_1824
.LBB8_1807:
	s_or_saveexec_b64 s[14:15], s[14:15]
                                        ; implicit-def: $sgpr17
	s_xor_b64 exec, exec, s[14:15]
	s_cbranch_execz .LBB8_1708
.LBB8_1808:
	s_mov_b32 s17, 0x46000000
	v_add_f32_e64 v3, |v2|, s17
	v_and_b32_e32 v3, 0xff, v3
	v_cmp_ne_u32_e32 vcc, 0, v3
	s_andn2_b64 s[12:13], s[12:13], exec
	s_and_b64 s[18:19], vcc, exec
	s_mov_b32 s17, 0
	s_or_b64 s[12:13], s[12:13], s[18:19]
	s_or_b64 exec, exec, s[14:15]
	v_mov_b32_e32 v9, s17
	s_and_saveexec_b64 s[14:15], s[12:13]
	s_cbranch_execnz .LBB8_1709
	s_branch .LBB8_1710
.LBB8_1809:
	s_mov_b64 s[0:1], 0
	s_branch .LBB8_1820
.LBB8_1810:
	s_trap 2
	s_or_b64 s[2:3], s[2:3], exec
	s_cbranch_execz .LBB8_1756
	s_branch .LBB8_1757
.LBB8_1811:
	s_or_saveexec_b64 s[12:13], s[12:13]
                                        ; implicit-def: $sgpr14
	s_xor_b64 exec, exec, s[12:13]
	s_cbranch_execz .LBB8_1721
.LBB8_1812:
	s_mov_b32 s14, 0x42800000
	v_add_f32_e64 v3, |v2|, s14
	v_and_b32_e32 v3, 0xff, v3
	v_cmp_ne_u32_e32 vcc, 0, v3
	s_andn2_b64 s[10:11], s[10:11], exec
	s_and_b64 s[18:19], vcc, exec
	s_mov_b32 s14, 0
	s_or_b64 s[10:11], s[10:11], s[18:19]
	s_or_b64 exec, exec, s[12:13]
	v_mov_b32_e32 v9, s14
	s_and_saveexec_b64 s[12:13], s[10:11]
	s_cbranch_execnz .LBB8_1722
	s_branch .LBB8_1723
.LBB8_1813:
	s_mov_b64 s[0:1], 0
.LBB8_1814:
	s_and_b64 vcc, exec, s[12:13]
	s_cbranch_vccz .LBB8_1819
; %bb.1815:
	v_cmp_eq_u16_e64 s[12:13], s16, 44
	s_mov_b64 s[0:1], -1
	s_and_b64 vcc, exec, s[12:13]
	s_cbranch_vccz .LBB8_1819
; %bb.1816:
	v_cvt_f32_f64_e32 v2, v[0:1]
	v_bfe_u32 v3, v2, 23, 8
	s_movk_i32 s0, 0xff
	v_cmp_ne_u32_e32 vcc, s0, v3
	v_mov_b32_e32 v5, 0xff
	s_and_saveexec_b64 s[10:11], vcc
; %bb.1817:
	s_mov_b32 s0, 0x3fffff
	v_lshrrev_b32_e32 v5, 23, v2
	v_and_b32_e32 v10, 0x400000, v2
	v_and_or_b32 v2, v2, s0, v3
	v_cmp_ne_u32_e32 vcc, 0, v10
	v_cmp_ne_u32_e64 s[0:1], 0, v2
	s_and_b64 s[0:1], vcc, s[0:1]
	v_cndmask_b32_e64 v2, 0, 1, s[0:1]
	v_add_u32_e32 v5, v5, v2
; %bb.1818:
	s_or_b64 exec, exec, s[10:11]
	s_mov_b64 s[0:1], 0
	s_mov_b64 s[10:11], -1
	global_store_byte v[8:9], v5, off
.LBB8_1819:
	s_mov_b64 s[12:13], 0
.LBB8_1820:
	s_and_b64 vcc, exec, s[12:13]
	s_cbranch_vccz .LBB8_1823
; %bb.1821:
	v_cmp_eq_u16_e64 s[12:13], s16, 29
	s_mov_b64 s[0:1], -1
	s_and_b64 vcc, exec, s[12:13]
	s_cbranch_vccz .LBB8_1823
; %bb.1822:
	v_trunc_f64_e32 v[2:3], v[0:1]
	s_movk_i32 s0, 0xffe0
	v_ldexp_f64 v[10:11], v[2:3], s0
	v_floor_f64_e32 v[10:11], v[10:11]
	v_fmac_f64_e32 v[2:3], 0xc1f00000, v[10:11]
	v_cvt_u32_f64_e32 v17, v[10:11]
	v_cvt_u32_f64_e32 v16, v[2:3]
	global_store_dwordx2 v[8:9], v[16:17], off
	s_mov_b64 s[0:1], 0
	s_mov_b64 s[10:11], -1
.LBB8_1823:
	s_mov_b64 s[12:13], 0
.LBB8_1824:
	s_and_b64 vcc, exec, s[12:13]
	s_cbranch_vccz .LBB8_1840
; %bb.1825:
	v_cmp_lt_i16_e64 s[12:13], s16, 27
	s_mov_b64 s[10:11], -1
	s_and_b64 vcc, exec, s[12:13]
	s_cbranch_vccnz .LBB8_1831
; %bb.1826:
	v_cmp_gt_i16_e64 s[12:13], s16, 27
	s_and_b64 vcc, exec, s[12:13]
	s_cbranch_vccz .LBB8_1828
; %bb.1827:
	v_cvt_u32_f64_e32 v2, v[0:1]
	s_mov_b64 s[10:11], 0
	global_store_dword v[8:9], v2, off
.LBB8_1828:
	s_andn2_b64 vcc, exec, s[10:11]
	s_cbranch_vccnz .LBB8_1830
; %bb.1829:
	v_cvt_u32_f64_e32 v2, v[0:1]
	global_store_short v[8:9], v2, off
.LBB8_1830:
	s_mov_b64 s[10:11], 0
.LBB8_1831:
	s_andn2_b64 vcc, exec, s[10:11]
	s_cbranch_vccnz .LBB8_1839
; %bb.1832:
	v_cvt_f32_f64_e32 v2, v[0:1]
	v_and_b32_e32 v3, 0x7fffffff, v2
	s_mov_b32 s10, 0x43800000
	v_cmp_gt_u32_e32 vcc, s10, v3
	v_mov_b32_e32 v5, 0x80
	s_and_saveexec_b64 s[10:11], vcc
	s_cbranch_execz .LBB8_1838
; %bb.1833:
	s_mov_b32 s12, 0x3bffffff
	v_cmp_lt_u32_e32 vcc, s12, v3
	s_mov_b64 s[12:13], 0
                                        ; implicit-def: $vgpr3
	s_and_saveexec_b64 s[14:15], vcc
	s_xor_b64 s[14:15], exec, s[14:15]
	s_cbranch_execz .LBB8_1934
; %bb.1834:
	v_bfe_u32 v3, v2, 20, 1
	s_mov_b32 s17, 0x487ffff
	v_add3_u32 v3, v2, v3, s17
	s_mov_b64 s[12:13], exec
	v_lshrrev_b32_e32 v3, 20, v3
	s_or_saveexec_b64 s[14:15], s[14:15]
                                        ; implicit-def: $sgpr17
	s_xor_b64 exec, exec, s[14:15]
	s_cbranch_execnz .LBB8_1935
.LBB8_1835:
	s_or_b64 exec, exec, s[14:15]
	v_mov_b32_e32 v5, s17
	s_and_saveexec_b64 s[14:15], s[12:13]
.LBB8_1836:
	v_lshrrev_b32_e32 v2, 24, v2
	s_movk_i32 s12, 0x80
	v_and_or_b32 v5, v2, s12, v3
.LBB8_1837:
	s_or_b64 exec, exec, s[14:15]
.LBB8_1838:
	s_or_b64 exec, exec, s[10:11]
	global_store_byte v[8:9], v5, off
.LBB8_1839:
	s_mov_b64 s[10:11], -1
.LBB8_1840:
	s_mov_b64 s[12:13], 0
.LBB8_1841:
	s_and_b64 vcc, exec, s[12:13]
	s_cbranch_vccz .LBB8_1881
; %bb.1842:
	v_cmp_gt_i16_e64 s[12:13], s16, 22
	s_mov_b64 s[6:7], -1
	s_and_b64 vcc, exec, s[12:13]
	s_cbranch_vccz .LBB8_1874
; %bb.1843:
	v_cmp_lt_i16_e64 s[10:11], s16, 24
	s_and_b64 vcc, exec, s[10:11]
	s_cbranch_vccnz .LBB8_1863
; %bb.1844:
	v_cmp_gt_i16_e64 s[10:11], s16, 24
	s_and_b64 vcc, exec, s[10:11]
	s_cbranch_vccz .LBB8_1852
; %bb.1845:
	v_cvt_f32_f64_e32 v2, v[0:1]
	v_and_b32_e32 v3, 0x7fffffff, v2
	s_mov_b32 s6, 0x47800000
	v_cmp_gt_u32_e32 vcc, s6, v3
	v_mov_b32_e32 v5, 0x80
	s_and_saveexec_b64 s[6:7], vcc
	s_cbranch_execz .LBB8_1851
; %bb.1846:
	s_mov_b32 s10, 0x37ffffff
	v_cmp_lt_u32_e32 vcc, s10, v3
	s_mov_b64 s[10:11], 0
                                        ; implicit-def: $vgpr3
	s_and_saveexec_b64 s[12:13], vcc
	s_xor_b64 s[12:13], exec, s[12:13]
	s_cbranch_execz .LBB8_1938
; %bb.1847:
	v_bfe_u32 v3, v2, 21, 1
	s_mov_b32 s14, 0x88fffff
	v_add3_u32 v3, v2, v3, s14
	s_mov_b64 s[10:11], exec
	v_lshrrev_b32_e32 v3, 21, v3
	s_or_saveexec_b64 s[12:13], s[12:13]
                                        ; implicit-def: $sgpr14
	s_xor_b64 exec, exec, s[12:13]
	s_cbranch_execnz .LBB8_1939
.LBB8_1848:
	s_or_b64 exec, exec, s[12:13]
	v_mov_b32_e32 v5, s14
	s_and_saveexec_b64 s[12:13], s[10:11]
.LBB8_1849:
	v_lshrrev_b32_e32 v2, 24, v2
	s_movk_i32 s10, 0x80
	v_and_or_b32 v5, v2, s10, v3
.LBB8_1850:
	s_or_b64 exec, exec, s[12:13]
.LBB8_1851:
	s_or_b64 exec, exec, s[6:7]
	s_mov_b64 s[6:7], 0
	global_store_byte v[8:9], v5, off
.LBB8_1852:
	s_and_b64 vcc, exec, s[6:7]
	s_cbranch_vccz .LBB8_1862
; %bb.1853:
	v_cvt_f32_f64_e32 v2, v[0:1]
	v_and_b32_e32 v5, 0x7fffffff, v2
	s_mov_b32 s6, 0x43f00000
	v_cmp_gt_u32_e32 vcc, s6, v5
                                        ; implicit-def: $vgpr3
	s_and_saveexec_b64 s[6:7], vcc
	s_xor_b64 s[6:7], exec, s[6:7]
	s_cbranch_execz .LBB8_1859
; %bb.1854:
	s_mov_b32 s10, 0x3c7fffff
	v_cmp_lt_u32_e32 vcc, s10, v5
                                        ; implicit-def: $vgpr3
	s_and_saveexec_b64 s[10:11], vcc
	s_xor_b64 s[10:11], exec, s[10:11]
; %bb.1855:
	v_bfe_u32 v3, v2, 20, 1
	s_mov_b32 s12, 0x407ffff
	v_add3_u32 v3, v2, v3, s12
	v_lshrrev_b32_e32 v5, 20, v3
	v_and_b32_e32 v3, 0xff00000, v3
	s_mov_b32 s12, 0x7f00000
	v_mov_b32_e32 v10, 0x7e
	v_cmp_ne_u32_e32 vcc, s12, v3
	v_cndmask_b32_e32 v3, v10, v5, vcc
; %bb.1856:
	s_andn2_saveexec_b64 s[10:11], s[10:11]
; %bb.1857:
	s_mov_b32 s12, 0x46800000
	v_add_f32_e64 v3, |v2|, s12
; %bb.1858:
	s_or_b64 exec, exec, s[10:11]
                                        ; implicit-def: $vgpr5
.LBB8_1859:
	s_andn2_saveexec_b64 s[6:7], s[6:7]
; %bb.1860:
	s_mov_b32 s10, 0x7f800000
	v_mov_b32_e32 v3, 0x7e
	v_mov_b32_e32 v10, 0x7f
	v_cmp_lt_u32_e32 vcc, s10, v5
	v_cndmask_b32_e32 v3, v3, v10, vcc
; %bb.1861:
	s_or_b64 exec, exec, s[6:7]
	v_lshrrev_b32_e32 v2, 24, v2
	s_movk_i32 s6, 0x80
	v_and_or_b32 v2, v2, s6, v3
	global_store_byte v[8:9], v2, off
.LBB8_1862:
	s_mov_b64 s[6:7], 0
.LBB8_1863:
	s_andn2_b64 vcc, exec, s[6:7]
	s_cbranch_vccnz .LBB8_1873
; %bb.1864:
	v_cvt_f32_f64_e32 v2, v[0:1]
	v_and_b32_e32 v5, 0x7fffffff, v2
	s_mov_b32 s6, 0x47800000
	v_cmp_gt_u32_e32 vcc, s6, v5
                                        ; implicit-def: $vgpr3
	s_and_saveexec_b64 s[6:7], vcc
	s_xor_b64 s[6:7], exec, s[6:7]
	s_cbranch_execz .LBB8_1870
; %bb.1865:
	s_mov_b32 s10, 0x387fffff
	v_cmp_lt_u32_e32 vcc, s10, v5
                                        ; implicit-def: $vgpr3
	s_and_saveexec_b64 s[10:11], vcc
	s_xor_b64 s[10:11], exec, s[10:11]
; %bb.1866:
	v_bfe_u32 v3, v2, 21, 1
	s_mov_b32 s12, 0x80fffff
	v_add3_u32 v3, v2, v3, s12
	v_lshrrev_b32_e32 v3, 21, v3
; %bb.1867:
	s_andn2_saveexec_b64 s[10:11], s[10:11]
; %bb.1868:
	s_mov_b32 s12, 0x43000000
	v_add_f32_e64 v3, |v2|, s12
; %bb.1869:
	s_or_b64 exec, exec, s[10:11]
                                        ; implicit-def: $vgpr5
.LBB8_1870:
	s_andn2_saveexec_b64 s[6:7], s[6:7]
; %bb.1871:
	s_mov_b32 s10, 0x7f800000
	v_mov_b32_e32 v3, 0x7c
	v_mov_b32_e32 v10, 0x7f
	v_cmp_lt_u32_e32 vcc, s10, v5
	v_cndmask_b32_e32 v3, v3, v10, vcc
; %bb.1872:
	s_or_b64 exec, exec, s[6:7]
	v_lshrrev_b32_e32 v2, 24, v2
	s_movk_i32 s6, 0x80
	v_and_or_b32 v2, v2, s6, v3
	global_store_byte v[8:9], v2, off
.LBB8_1873:
	s_mov_b64 s[6:7], 0
	s_mov_b64 s[10:11], -1
.LBB8_1874:
	s_andn2_b64 vcc, exec, s[6:7]
	s_mov_b64 s[6:7], 0
	s_cbranch_vccnz .LBB8_1881
; %bb.1875:
	v_cmp_gt_i16_e64 s[6:7], s16, 14
	s_mov_b64 s[12:13], -1
	s_and_b64 vcc, exec, s[6:7]
	s_cbranch_vccz .LBB8_1879
; %bb.1876:
	v_cmp_eq_u16_e64 s[6:7], s16, 15
	s_mov_b64 s[0:1], -1
	s_and_b64 vcc, exec, s[6:7]
	s_cbranch_vccz .LBB8_1878
; %bb.1877:
	v_cvt_f32_f64_e32 v2, v[0:1]
	v_bfe_u32 v3, v2, 16, 1
	s_movk_i32 s0, 0x7fff
	v_add3_u32 v3, v2, v3, s0
	v_lshrrev_b32_e32 v3, 16, v3
	v_mov_b32_e32 v5, 0x7fc0
	v_cmp_o_f32_e32 vcc, v2, v2
	v_cndmask_b32_e32 v2, v5, v3, vcc
	global_store_short v[8:9], v2, off
	s_mov_b64 s[0:1], 0
	s_mov_b64 s[10:11], -1
.LBB8_1878:
	s_mov_b64 s[12:13], 0
.LBB8_1879:
	s_mov_b64 s[6:7], 0
	s_and_b64 vcc, exec, s[12:13]
	s_cbranch_vccz .LBB8_1881
; %bb.1880:
	v_cmp_ne_u16_e64 s[0:1], s16, 11
	s_mov_b64 s[6:7], -1
.LBB8_1881:
	s_and_b64 vcc, exec, s[0:1]
	s_cbranch_vccnz .LBB8_1937
; %bb.1882:
	s_andn2_b64 vcc, exec, s[6:7]
	s_cbranch_vccnz .LBB8_1884
.LBB8_1883:
	v_cmp_neq_f64_e32 vcc, 0, v[0:1]
	v_cndmask_b32_e64 v2, 0, 1, vcc
	s_mov_b64 s[10:11], -1
	global_store_byte v[8:9], v2, off
.LBB8_1884:
	s_mov_b64 s[0:1], 0
.LBB8_1885:
	s_and_b64 vcc, exec, s[0:1]
	s_cbranch_vccz .LBB8_1924
; %bb.1886:
	v_cmp_lt_i16_e64 s[6:7], s16, 5
	s_mov_b64 s[0:1], -1
	s_and_b64 vcc, exec, s[6:7]
	s_cbranch_vccnz .LBB8_1907
; %bb.1887:
	v_cmp_lt_i16_e64 s[6:7], s16, 8
	s_and_b64 vcc, exec, s[6:7]
	s_cbranch_vccnz .LBB8_1897
; %bb.1888:
	v_cmp_lt_i16_e64 s[6:7], s16, 9
	s_and_b64 vcc, exec, s[6:7]
	s_cbranch_vccnz .LBB8_1894
; %bb.1889:
	v_cmp_gt_i16_e64 s[6:7], s16, 9
	s_and_b64 vcc, exec, s[6:7]
	s_cbranch_vccz .LBB8_1891
; %bb.1890:
	v_mov_b32_e32 v2, 0
	v_mov_b32_e32 v3, v2
	global_store_dwordx4 v[8:9], v[0:3], off
	s_mov_b64 s[0:1], 0
.LBB8_1891:
	s_andn2_b64 vcc, exec, s[0:1]
	s_cbranch_vccnz .LBB8_1893
; %bb.1892:
	v_cvt_f32_f64_e32 v2, v[0:1]
	v_mov_b32_e32 v3, 0
	global_store_dwordx2 v[8:9], v[2:3], off
.LBB8_1893:
	s_mov_b64 s[0:1], 0
.LBB8_1894:
	s_andn2_b64 vcc, exec, s[0:1]
	s_cbranch_vccnz .LBB8_1896
; %bb.1895:
	v_cvt_f32_f64_e32 v2, v[0:1]
	v_cvt_f16_f32_e32 v2, v2
	global_store_dword v[8:9], v2, off
.LBB8_1896:
	s_mov_b64 s[0:1], 0
.LBB8_1897:
	s_andn2_b64 vcc, exec, s[0:1]
	s_cbranch_vccnz .LBB8_1906
; %bb.1898:
	v_cmp_lt_i16_e64 s[6:7], s16, 6
	s_mov_b64 s[0:1], -1
	s_and_b64 vcc, exec, s[6:7]
	s_cbranch_vccnz .LBB8_1904
; %bb.1899:
	v_cmp_gt_i16_e64 s[6:7], s16, 6
	s_and_b64 vcc, exec, s[6:7]
	s_cbranch_vccz .LBB8_1901
; %bb.1900:
	global_store_dwordx2 v[8:9], v[0:1], off
	s_mov_b64 s[0:1], 0
.LBB8_1901:
	s_andn2_b64 vcc, exec, s[0:1]
	s_cbranch_vccnz .LBB8_1903
; %bb.1902:
	v_cvt_f32_f64_e32 v2, v[0:1]
	global_store_dword v[8:9], v2, off
.LBB8_1903:
	s_mov_b64 s[0:1], 0
.LBB8_1904:
	s_andn2_b64 vcc, exec, s[0:1]
	s_cbranch_vccnz .LBB8_1906
; %bb.1905:
	v_cvt_f32_f64_e32 v2, v[0:1]
	v_cvt_f16_f32_e32 v2, v2
	global_store_short v[8:9], v2, off
.LBB8_1906:
	s_mov_b64 s[0:1], 0
.LBB8_1907:
	s_andn2_b64 vcc, exec, s[0:1]
	s_cbranch_vccnz .LBB8_1923
; %bb.1908:
	v_cmp_lt_i16_e64 s[6:7], s16, 2
	s_mov_b64 s[0:1], -1
	s_and_b64 vcc, exec, s[6:7]
	s_cbranch_vccnz .LBB8_1918
; %bb.1909:
	v_cmp_lt_i16_e64 s[6:7], s16, 3
	s_and_b64 vcc, exec, s[6:7]
	s_cbranch_vccnz .LBB8_1915
; %bb.1910:
	v_cmp_gt_i16_e64 s[6:7], s16, 3
	s_and_b64 vcc, exec, s[6:7]
	s_cbranch_vccz .LBB8_1912
; %bb.1911:
	v_trunc_f64_e32 v[2:3], v[0:1]
	s_movk_i32 s0, 0xffe0
	v_ldexp_f64 v[10:11], v[2:3], s0
	v_floor_f64_e32 v[10:11], v[10:11]
	v_fmac_f64_e32 v[2:3], 0xc1f00000, v[10:11]
	v_cvt_i32_f64_e32 v17, v[10:11]
	v_cvt_u32_f64_e32 v16, v[2:3]
	global_store_dwordx2 v[8:9], v[16:17], off
	s_mov_b64 s[0:1], 0
.LBB8_1912:
	s_andn2_b64 vcc, exec, s[0:1]
	s_cbranch_vccnz .LBB8_1914
; %bb.1913:
	v_cvt_i32_f64_e32 v2, v[0:1]
	global_store_dword v[8:9], v2, off
.LBB8_1914:
	s_mov_b64 s[0:1], 0
.LBB8_1915:
	s_andn2_b64 vcc, exec, s[0:1]
	s_cbranch_vccnz .LBB8_1917
; %bb.1916:
	v_cvt_i32_f64_e32 v2, v[0:1]
	global_store_short v[8:9], v2, off
.LBB8_1917:
	s_mov_b64 s[0:1], 0
.LBB8_1918:
	s_andn2_b64 vcc, exec, s[0:1]
	s_cbranch_vccnz .LBB8_1923
; %bb.1919:
	v_cmp_gt_i16_e64 s[6:7], s16, 0
	s_mov_b64 s[0:1], -1
	s_and_b64 vcc, exec, s[6:7]
	s_cbranch_vccz .LBB8_1921
; %bb.1920:
	v_cvt_i32_f64_e32 v2, v[0:1]
	global_store_byte v[8:9], v2, off
	s_mov_b64 s[0:1], 0
.LBB8_1921:
	s_andn2_b64 vcc, exec, s[0:1]
	s_cbranch_vccnz .LBB8_1923
; %bb.1922:
	v_trunc_f64_e32 v[0:1], v[0:1]
	s_movk_i32 s0, 0xffe0
	v_ldexp_f64 v[2:3], v[0:1], s0
	v_floor_f64_e32 v[2:3], v[2:3]
	v_fmac_f64_e32 v[0:1], 0xc1f00000, v[2:3]
	v_cvt_u32_f64_e32 v0, v[0:1]
	global_store_byte v[8:9], v0, off
.LBB8_1923:
	s_mov_b64 s[10:11], -1
.LBB8_1924:
	s_andn2_b64 vcc, exec, s[10:11]
	s_cbranch_vccnz .LBB8_2060
; %bb.1925:
	v_mul_f64 v[0:1], v[12:13], v[18:19]
	v_cmp_eq_f32_e32 vcc, 1.0, v7
	v_cndmask_b32_e32 v1, v1, v13, vcc
	v_cndmask_b32_e32 v0, v0, v12, vcc
	v_mov_b32_e32 v2, s9
	v_add_co_u32_e32 v6, vcc, s8, v6
	v_addc_co_u32_e32 v7, vcc, 0, v2, vcc
	s_and_b64 vcc, exec, s[4:5]
	s_cbranch_vccnz .LBB8_1932
; %bb.1926:
	v_cmp_gt_i16_e64 s[0:1], s16, 25
	s_mov_b64 s[12:13], -1
	s_mov_b64 s[6:7], 0
	s_and_b64 vcc, exec, s[0:1]
	s_mov_b64 s[10:11], 0
	s_mov_b64 s[0:1], 0
	s_cbranch_vccz .LBB8_1968
; %bb.1927:
	v_cmp_gt_i16_e64 s[0:1], s16, 28
	s_and_b64 vcc, exec, s[0:1]
	s_cbranch_vccz .LBB8_1933
; %bb.1928:
	v_cmp_gt_i16_e64 s[0:1], s16, 43
	s_and_b64 vcc, exec, s[0:1]
	;; [unrolled: 4-line block ×3, first 2 shown]
	s_cbranch_vccz .LBB8_1940
; %bb.1930:
	v_cmp_eq_u16_e64 s[10:11], s16, 46
	s_mov_b64 s[0:1], -1
	s_mov_b64 s[12:13], 0
	s_and_b64 vcc, exec, s[10:11]
	s_mov_b64 s[10:11], 0
	s_cbranch_vccz .LBB8_1941
; %bb.1931:
	v_cvt_f32_f64_e32 v2, v[0:1]
	v_bfe_u32 v3, v2, 16, 1
	s_movk_i32 s0, 0x7fff
	v_add3_u32 v3, v2, v3, s0
	v_lshrrev_b32_e32 v3, 16, v3
	v_mov_b32_e32 v5, 0x7fc0
	v_cmp_o_f32_e32 vcc, v2, v2
	v_cndmask_b32_e32 v2, v5, v3, vcc
	global_store_dword v[6:7], v2, off
	s_mov_b64 s[0:1], 0
	s_mov_b64 s[10:11], -1
	s_branch .LBB8_1941
.LBB8_1932:
	s_mov_b64 s[0:1], -1
	s_mov_b64 s[10:11], 0
	s_branch .LBB8_2012
.LBB8_1933:
	s_mov_b64 s[0:1], 0
	s_branch .LBB8_1951
.LBB8_1934:
	s_or_saveexec_b64 s[14:15], s[14:15]
                                        ; implicit-def: $sgpr17
	s_xor_b64 exec, exec, s[14:15]
	s_cbranch_execz .LBB8_1835
.LBB8_1935:
	s_mov_b32 s17, 0x46000000
	v_add_f32_e64 v3, |v2|, s17
	v_and_b32_e32 v3, 0xff, v3
	v_cmp_ne_u32_e32 vcc, 0, v3
	s_andn2_b64 s[12:13], s[12:13], exec
	s_and_b64 s[18:19], vcc, exec
	s_mov_b32 s17, 0
	s_or_b64 s[12:13], s[12:13], s[18:19]
	s_or_b64 exec, exec, s[14:15]
	v_mov_b32_e32 v5, s17
	s_and_saveexec_b64 s[14:15], s[12:13]
	s_cbranch_execnz .LBB8_1836
	s_branch .LBB8_1837
.LBB8_1936:
	s_mov_b64 s[0:1], 0
	s_branch .LBB8_1947
.LBB8_1937:
	s_trap 2
	s_or_b64 s[2:3], s[2:3], exec
	s_cbranch_execz .LBB8_1883
	s_branch .LBB8_1884
.LBB8_1938:
	s_or_saveexec_b64 s[12:13], s[12:13]
                                        ; implicit-def: $sgpr14
	s_xor_b64 exec, exec, s[12:13]
	s_cbranch_execz .LBB8_1848
.LBB8_1939:
	s_mov_b32 s14, 0x42800000
	v_add_f32_e64 v3, |v2|, s14
	v_and_b32_e32 v3, 0xff, v3
	v_cmp_ne_u32_e32 vcc, 0, v3
	s_andn2_b64 s[10:11], s[10:11], exec
	s_and_b64 s[18:19], vcc, exec
	s_mov_b32 s14, 0
	s_or_b64 s[10:11], s[10:11], s[18:19]
	s_or_b64 exec, exec, s[12:13]
	v_mov_b32_e32 v5, s14
	s_and_saveexec_b64 s[12:13], s[10:11]
	s_cbranch_execnz .LBB8_1849
	s_branch .LBB8_1850
.LBB8_1940:
	s_mov_b64 s[0:1], 0
.LBB8_1941:
	s_and_b64 vcc, exec, s[12:13]
	s_cbranch_vccz .LBB8_1946
; %bb.1942:
	v_cmp_eq_u16_e64 s[12:13], s16, 44
	s_mov_b64 s[0:1], -1
	s_and_b64 vcc, exec, s[12:13]
	s_cbranch_vccz .LBB8_1946
; %bb.1943:
	v_cvt_f32_f64_e32 v2, v[0:1]
	v_bfe_u32 v3, v2, 23, 8
	s_movk_i32 s0, 0xff
	v_cmp_ne_u32_e32 vcc, s0, v3
	v_mov_b32_e32 v5, 0xff
	s_and_saveexec_b64 s[10:11], vcc
; %bb.1944:
	s_mov_b32 s0, 0x3fffff
	v_lshrrev_b32_e32 v5, 23, v2
	v_and_b32_e32 v8, 0x400000, v2
	v_and_or_b32 v2, v2, s0, v3
	v_cmp_ne_u32_e32 vcc, 0, v8
	v_cmp_ne_u32_e64 s[0:1], 0, v2
	s_and_b64 s[0:1], vcc, s[0:1]
	v_cndmask_b32_e64 v2, 0, 1, s[0:1]
	v_add_u32_e32 v5, v5, v2
; %bb.1945:
	s_or_b64 exec, exec, s[10:11]
	s_mov_b64 s[0:1], 0
	s_mov_b64 s[10:11], -1
	global_store_byte v[6:7], v5, off
.LBB8_1946:
	s_mov_b64 s[12:13], 0
.LBB8_1947:
	s_and_b64 vcc, exec, s[12:13]
	s_cbranch_vccz .LBB8_1950
; %bb.1948:
	v_cmp_eq_u16_e64 s[12:13], s16, 29
	s_mov_b64 s[0:1], -1
	s_and_b64 vcc, exec, s[12:13]
	s_cbranch_vccz .LBB8_1950
; %bb.1949:
	v_trunc_f64_e32 v[2:3], v[0:1]
	s_movk_i32 s0, 0xffe0
	v_ldexp_f64 v[8:9], v[2:3], s0
	v_floor_f64_e32 v[8:9], v[8:9]
	v_fmac_f64_e32 v[2:3], 0xc1f00000, v[8:9]
	v_cvt_u32_f64_e32 v11, v[8:9]
	v_cvt_u32_f64_e32 v10, v[2:3]
	global_store_dwordx2 v[6:7], v[10:11], off
	s_mov_b64 s[0:1], 0
	s_mov_b64 s[10:11], -1
.LBB8_1950:
	s_mov_b64 s[12:13], 0
.LBB8_1951:
	s_and_b64 vcc, exec, s[12:13]
	s_cbranch_vccz .LBB8_1967
; %bb.1952:
	v_cmp_lt_i16_e64 s[12:13], s16, 27
	s_mov_b64 s[10:11], -1
	s_and_b64 vcc, exec, s[12:13]
	s_cbranch_vccnz .LBB8_1958
; %bb.1953:
	v_cmp_gt_i16_e64 s[12:13], s16, 27
	s_and_b64 vcc, exec, s[12:13]
	v_cvt_u32_f64_e32 v2, v[0:1]
	s_cbranch_vccz .LBB8_1955
; %bb.1954:
	s_mov_b64 s[10:11], 0
	global_store_dword v[6:7], v2, off
.LBB8_1955:
	s_andn2_b64 vcc, exec, s[10:11]
	s_cbranch_vccnz .LBB8_1957
; %bb.1956:
	global_store_short v[6:7], v2, off
.LBB8_1957:
	s_mov_b64 s[10:11], 0
.LBB8_1958:
	s_andn2_b64 vcc, exec, s[10:11]
	s_cbranch_vccnz .LBB8_1966
; %bb.1959:
	v_cvt_f32_f64_e32 v2, v[0:1]
	v_and_b32_e32 v3, 0x7fffffff, v2
	s_mov_b32 s10, 0x43800000
	v_cmp_gt_u32_e32 vcc, s10, v3
	v_mov_b32_e32 v5, 0x80
	s_and_saveexec_b64 s[10:11], vcc
	s_cbranch_execz .LBB8_1965
; %bb.1960:
	s_mov_b32 s12, 0x3bffffff
	v_cmp_lt_u32_e32 vcc, s12, v3
	s_mov_b64 s[12:13], 0
                                        ; implicit-def: $vgpr3
	s_and_saveexec_b64 s[14:15], vcc
	s_xor_b64 s[14:15], exec, s[14:15]
	s_cbranch_execz .LBB8_2107
; %bb.1961:
	v_bfe_u32 v3, v2, 20, 1
	s_mov_b32 s17, 0x487ffff
	v_add3_u32 v3, v2, v3, s17
	s_mov_b64 s[12:13], exec
	v_lshrrev_b32_e32 v3, 20, v3
	s_or_saveexec_b64 s[14:15], s[14:15]
                                        ; implicit-def: $sgpr17
	s_xor_b64 exec, exec, s[14:15]
	s_cbranch_execnz .LBB8_2108
.LBB8_1962:
	s_or_b64 exec, exec, s[14:15]
	v_mov_b32_e32 v5, s17
	s_and_saveexec_b64 s[14:15], s[12:13]
.LBB8_1963:
	v_lshrrev_b32_e32 v2, 24, v2
	s_movk_i32 s12, 0x80
	v_and_or_b32 v5, v2, s12, v3
.LBB8_1964:
	s_or_b64 exec, exec, s[14:15]
.LBB8_1965:
	s_or_b64 exec, exec, s[10:11]
	global_store_byte v[6:7], v5, off
.LBB8_1966:
	s_mov_b64 s[10:11], -1
.LBB8_1967:
	s_mov_b64 s[12:13], 0
.LBB8_1968:
	s_and_b64 vcc, exec, s[12:13]
	s_cbranch_vccz .LBB8_2008
; %bb.1969:
	v_cmp_gt_i16_e64 s[12:13], s16, 22
	s_mov_b64 s[6:7], -1
	s_and_b64 vcc, exec, s[12:13]
	s_cbranch_vccz .LBB8_2001
; %bb.1970:
	v_cmp_lt_i16_e64 s[10:11], s16, 24
	s_and_b64 vcc, exec, s[10:11]
	s_cbranch_vccnz .LBB8_1990
; %bb.1971:
	v_cmp_gt_i16_e64 s[10:11], s16, 24
	s_and_b64 vcc, exec, s[10:11]
	s_cbranch_vccz .LBB8_1979
; %bb.1972:
	v_cvt_f32_f64_e32 v2, v[0:1]
	v_and_b32_e32 v3, 0x7fffffff, v2
	s_mov_b32 s6, 0x47800000
	v_cmp_gt_u32_e32 vcc, s6, v3
	v_mov_b32_e32 v5, 0x80
	s_and_saveexec_b64 s[6:7], vcc
	s_cbranch_execz .LBB8_1978
; %bb.1973:
	s_mov_b32 s10, 0x37ffffff
	v_cmp_lt_u32_e32 vcc, s10, v3
	s_mov_b64 s[10:11], 0
                                        ; implicit-def: $vgpr3
	s_and_saveexec_b64 s[12:13], vcc
	s_xor_b64 s[12:13], exec, s[12:13]
	s_cbranch_execz .LBB8_2111
; %bb.1974:
	v_bfe_u32 v3, v2, 21, 1
	s_mov_b32 s14, 0x88fffff
	v_add3_u32 v3, v2, v3, s14
	s_mov_b64 s[10:11], exec
	v_lshrrev_b32_e32 v3, 21, v3
	s_or_saveexec_b64 s[12:13], s[12:13]
                                        ; implicit-def: $sgpr14
	s_xor_b64 exec, exec, s[12:13]
	s_cbranch_execnz .LBB8_2112
.LBB8_1975:
	s_or_b64 exec, exec, s[12:13]
	v_mov_b32_e32 v5, s14
	s_and_saveexec_b64 s[12:13], s[10:11]
.LBB8_1976:
	v_lshrrev_b32_e32 v2, 24, v2
	s_movk_i32 s10, 0x80
	v_and_or_b32 v5, v2, s10, v3
.LBB8_1977:
	s_or_b64 exec, exec, s[12:13]
.LBB8_1978:
	s_or_b64 exec, exec, s[6:7]
	s_mov_b64 s[6:7], 0
	global_store_byte v[6:7], v5, off
.LBB8_1979:
	s_and_b64 vcc, exec, s[6:7]
	s_cbranch_vccz .LBB8_1989
; %bb.1980:
	v_cvt_f32_f64_e32 v2, v[0:1]
	v_and_b32_e32 v5, 0x7fffffff, v2
	s_mov_b32 s6, 0x43f00000
	v_cmp_gt_u32_e32 vcc, s6, v5
                                        ; implicit-def: $vgpr3
	s_and_saveexec_b64 s[6:7], vcc
	s_xor_b64 s[6:7], exec, s[6:7]
	s_cbranch_execz .LBB8_1986
; %bb.1981:
	s_mov_b32 s10, 0x3c7fffff
	v_cmp_lt_u32_e32 vcc, s10, v5
                                        ; implicit-def: $vgpr3
	s_and_saveexec_b64 s[10:11], vcc
	s_xor_b64 s[10:11], exec, s[10:11]
; %bb.1982:
	v_bfe_u32 v3, v2, 20, 1
	s_mov_b32 s12, 0x407ffff
	v_add3_u32 v3, v2, v3, s12
	v_lshrrev_b32_e32 v5, 20, v3
	v_and_b32_e32 v3, 0xff00000, v3
	s_mov_b32 s12, 0x7f00000
	v_mov_b32_e32 v8, 0x7e
	v_cmp_ne_u32_e32 vcc, s12, v3
	v_cndmask_b32_e32 v3, v8, v5, vcc
; %bb.1983:
	s_andn2_saveexec_b64 s[10:11], s[10:11]
; %bb.1984:
	s_mov_b32 s12, 0x46800000
	v_add_f32_e64 v3, |v2|, s12
; %bb.1985:
	s_or_b64 exec, exec, s[10:11]
                                        ; implicit-def: $vgpr5
.LBB8_1986:
	s_andn2_saveexec_b64 s[6:7], s[6:7]
; %bb.1987:
	s_mov_b32 s10, 0x7f800000
	v_mov_b32_e32 v3, 0x7e
	v_mov_b32_e32 v8, 0x7f
	v_cmp_lt_u32_e32 vcc, s10, v5
	v_cndmask_b32_e32 v3, v3, v8, vcc
; %bb.1988:
	s_or_b64 exec, exec, s[6:7]
	v_lshrrev_b32_e32 v2, 24, v2
	s_movk_i32 s6, 0x80
	v_and_or_b32 v2, v2, s6, v3
	global_store_byte v[6:7], v2, off
.LBB8_1989:
	s_mov_b64 s[6:7], 0
.LBB8_1990:
	s_andn2_b64 vcc, exec, s[6:7]
	s_cbranch_vccnz .LBB8_2000
; %bb.1991:
	v_cvt_f32_f64_e32 v2, v[0:1]
	v_and_b32_e32 v5, 0x7fffffff, v2
	s_mov_b32 s6, 0x47800000
	v_cmp_gt_u32_e32 vcc, s6, v5
                                        ; implicit-def: $vgpr3
	s_and_saveexec_b64 s[6:7], vcc
	s_xor_b64 s[6:7], exec, s[6:7]
	s_cbranch_execz .LBB8_1997
; %bb.1992:
	s_mov_b32 s10, 0x387fffff
	v_cmp_lt_u32_e32 vcc, s10, v5
                                        ; implicit-def: $vgpr3
	s_and_saveexec_b64 s[10:11], vcc
	s_xor_b64 s[10:11], exec, s[10:11]
; %bb.1993:
	v_bfe_u32 v3, v2, 21, 1
	s_mov_b32 s12, 0x80fffff
	v_add3_u32 v3, v2, v3, s12
	v_lshrrev_b32_e32 v3, 21, v3
; %bb.1994:
	s_andn2_saveexec_b64 s[10:11], s[10:11]
; %bb.1995:
	s_mov_b32 s12, 0x43000000
	v_add_f32_e64 v3, |v2|, s12
; %bb.1996:
	s_or_b64 exec, exec, s[10:11]
                                        ; implicit-def: $vgpr5
.LBB8_1997:
	s_andn2_saveexec_b64 s[6:7], s[6:7]
; %bb.1998:
	s_mov_b32 s10, 0x7f800000
	v_mov_b32_e32 v3, 0x7c
	v_mov_b32_e32 v8, 0x7f
	v_cmp_lt_u32_e32 vcc, s10, v5
	v_cndmask_b32_e32 v3, v3, v8, vcc
; %bb.1999:
	s_or_b64 exec, exec, s[6:7]
	v_lshrrev_b32_e32 v2, 24, v2
	s_movk_i32 s6, 0x80
	v_and_or_b32 v2, v2, s6, v3
	global_store_byte v[6:7], v2, off
.LBB8_2000:
	s_mov_b64 s[6:7], 0
	s_mov_b64 s[10:11], -1
.LBB8_2001:
	s_andn2_b64 vcc, exec, s[6:7]
	s_mov_b64 s[6:7], 0
	s_cbranch_vccnz .LBB8_2008
; %bb.2002:
	v_cmp_gt_i16_e64 s[6:7], s16, 14
	s_mov_b64 s[12:13], -1
	s_and_b64 vcc, exec, s[6:7]
	s_cbranch_vccz .LBB8_2006
; %bb.2003:
	v_cmp_eq_u16_e64 s[6:7], s16, 15
	s_mov_b64 s[0:1], -1
	s_and_b64 vcc, exec, s[6:7]
	s_cbranch_vccz .LBB8_2005
; %bb.2004:
	v_cvt_f32_f64_e32 v2, v[0:1]
	v_bfe_u32 v3, v2, 16, 1
	s_movk_i32 s0, 0x7fff
	v_add3_u32 v3, v2, v3, s0
	v_lshrrev_b32_e32 v3, 16, v3
	v_mov_b32_e32 v5, 0x7fc0
	v_cmp_o_f32_e32 vcc, v2, v2
	v_cndmask_b32_e32 v2, v5, v3, vcc
	global_store_short v[6:7], v2, off
	s_mov_b64 s[0:1], 0
	s_mov_b64 s[10:11], -1
.LBB8_2005:
	s_mov_b64 s[12:13], 0
.LBB8_2006:
	s_mov_b64 s[6:7], 0
	s_and_b64 vcc, exec, s[12:13]
	s_cbranch_vccz .LBB8_2008
; %bb.2007:
	v_cmp_ne_u16_e64 s[0:1], s16, 11
	s_mov_b64 s[6:7], -1
.LBB8_2008:
	s_and_b64 vcc, exec, s[0:1]
	s_cbranch_vccnz .LBB8_2110
; %bb.2009:
	s_andn2_b64 vcc, exec, s[6:7]
	s_cbranch_vccnz .LBB8_2011
.LBB8_2010:
	v_cmp_neq_f64_e32 vcc, 0, v[0:1]
	v_cndmask_b32_e64 v2, 0, 1, vcc
	s_mov_b64 s[10:11], -1
	global_store_byte v[6:7], v2, off
.LBB8_2011:
	s_mov_b64 s[0:1], 0
.LBB8_2012:
	s_and_b64 vcc, exec, s[0:1]
	s_cbranch_vccz .LBB8_2051
; %bb.2013:
	v_cmp_lt_i16_e64 s[6:7], s16, 5
	s_mov_b64 s[0:1], -1
	s_and_b64 vcc, exec, s[6:7]
	s_cbranch_vccnz .LBB8_2034
; %bb.2014:
	v_cmp_lt_i16_e64 s[6:7], s16, 8
	s_and_b64 vcc, exec, s[6:7]
	s_cbranch_vccnz .LBB8_2024
; %bb.2015:
	v_cmp_lt_i16_e64 s[6:7], s16, 9
	s_and_b64 vcc, exec, s[6:7]
	s_cbranch_vccnz .LBB8_2021
; %bb.2016:
	v_cmp_gt_i16_e64 s[6:7], s16, 9
	s_and_b64 vcc, exec, s[6:7]
	s_cbranch_vccz .LBB8_2018
; %bb.2017:
	v_mov_b32_e32 v2, 0
	v_mov_b32_e32 v3, v2
	global_store_dwordx4 v[6:7], v[0:3], off
	s_mov_b64 s[0:1], 0
.LBB8_2018:
	s_andn2_b64 vcc, exec, s[0:1]
	s_cbranch_vccnz .LBB8_2020
; %bb.2019:
	v_cvt_f32_f64_e32 v2, v[0:1]
	v_mov_b32_e32 v3, 0
	global_store_dwordx2 v[6:7], v[2:3], off
.LBB8_2020:
	s_mov_b64 s[0:1], 0
.LBB8_2021:
	s_andn2_b64 vcc, exec, s[0:1]
	s_cbranch_vccnz .LBB8_2023
; %bb.2022:
	v_cvt_f32_f64_e32 v2, v[0:1]
	v_cvt_f16_f32_e32 v2, v2
	global_store_dword v[6:7], v2, off
.LBB8_2023:
	s_mov_b64 s[0:1], 0
.LBB8_2024:
	s_andn2_b64 vcc, exec, s[0:1]
	s_cbranch_vccnz .LBB8_2033
; %bb.2025:
	v_cmp_lt_i16_e64 s[6:7], s16, 6
	s_mov_b64 s[0:1], -1
	s_and_b64 vcc, exec, s[6:7]
	s_cbranch_vccnz .LBB8_2031
; %bb.2026:
	v_cmp_gt_i16_e64 s[6:7], s16, 6
	s_and_b64 vcc, exec, s[6:7]
	s_cbranch_vccz .LBB8_2028
; %bb.2027:
	global_store_dwordx2 v[6:7], v[0:1], off
	s_mov_b64 s[0:1], 0
.LBB8_2028:
	s_andn2_b64 vcc, exec, s[0:1]
	s_cbranch_vccnz .LBB8_2030
; %bb.2029:
	v_cvt_f32_f64_e32 v2, v[0:1]
	global_store_dword v[6:7], v2, off
.LBB8_2030:
	s_mov_b64 s[0:1], 0
.LBB8_2031:
	s_andn2_b64 vcc, exec, s[0:1]
	s_cbranch_vccnz .LBB8_2033
; %bb.2032:
	v_cvt_f32_f64_e32 v2, v[0:1]
	v_cvt_f16_f32_e32 v2, v2
	global_store_short v[6:7], v2, off
.LBB8_2033:
	s_mov_b64 s[0:1], 0
.LBB8_2034:
	s_andn2_b64 vcc, exec, s[0:1]
	s_cbranch_vccnz .LBB8_2050
; %bb.2035:
	v_cmp_lt_i16_e64 s[6:7], s16, 2
	s_mov_b64 s[0:1], -1
	s_and_b64 vcc, exec, s[6:7]
	s_cbranch_vccnz .LBB8_2045
; %bb.2036:
	v_cmp_lt_i16_e64 s[6:7], s16, 3
	s_and_b64 vcc, exec, s[6:7]
	s_cbranch_vccnz .LBB8_2042
; %bb.2037:
	v_cmp_gt_i16_e64 s[6:7], s16, 3
	s_and_b64 vcc, exec, s[6:7]
	s_cbranch_vccz .LBB8_2039
; %bb.2038:
	v_trunc_f64_e32 v[2:3], v[0:1]
	s_movk_i32 s0, 0xffe0
	v_ldexp_f64 v[8:9], v[2:3], s0
	v_floor_f64_e32 v[8:9], v[8:9]
	v_fmac_f64_e32 v[2:3], 0xc1f00000, v[8:9]
	v_cvt_i32_f64_e32 v11, v[8:9]
	v_cvt_u32_f64_e32 v10, v[2:3]
	global_store_dwordx2 v[6:7], v[10:11], off
	s_mov_b64 s[0:1], 0
.LBB8_2039:
	s_andn2_b64 vcc, exec, s[0:1]
	s_cbranch_vccnz .LBB8_2041
; %bb.2040:
	v_cvt_i32_f64_e32 v2, v[0:1]
	global_store_dword v[6:7], v2, off
.LBB8_2041:
	s_mov_b64 s[0:1], 0
.LBB8_2042:
	s_andn2_b64 vcc, exec, s[0:1]
	s_cbranch_vccnz .LBB8_2044
; %bb.2043:
	v_cvt_i32_f64_e32 v2, v[0:1]
	global_store_short v[6:7], v2, off
.LBB8_2044:
	s_mov_b64 s[0:1], 0
.LBB8_2045:
	s_andn2_b64 vcc, exec, s[0:1]
	s_cbranch_vccnz .LBB8_2050
; %bb.2046:
	v_cmp_gt_i16_e64 s[6:7], s16, 0
	s_mov_b64 s[0:1], -1
	s_and_b64 vcc, exec, s[6:7]
	s_cbranch_vccz .LBB8_2048
; %bb.2047:
	v_cvt_i32_f64_e32 v2, v[0:1]
	global_store_byte v[6:7], v2, off
	s_mov_b64 s[0:1], 0
.LBB8_2048:
	s_andn2_b64 vcc, exec, s[0:1]
	s_cbranch_vccnz .LBB8_2050
; %bb.2049:
	v_trunc_f64_e32 v[0:1], v[0:1]
	s_movk_i32 s0, 0xffe0
	v_ldexp_f64 v[2:3], v[0:1], s0
	v_floor_f64_e32 v[2:3], v[2:3]
	v_fmac_f64_e32 v[0:1], 0xc1f00000, v[2:3]
	v_cvt_u32_f64_e32 v0, v[0:1]
	global_store_byte v[6:7], v0, off
.LBB8_2050:
	s_mov_b64 s[10:11], -1
.LBB8_2051:
	s_andn2_b64 vcc, exec, s[10:11]
	s_cbranch_vccnz .LBB8_2060
; %bb.2052:
	v_mul_f64 v[0:1], v[14:15], v[20:21]
	v_cmp_eq_f32_e32 vcc, 1.0, v24
	v_cndmask_b32_e32 v1, v1, v15, vcc
	v_cndmask_b32_e32 v0, v0, v14, vcc
	v_mov_b32_e32 v2, s9
	v_add_co_u32_e32 v4, vcc, s8, v4
	v_addc_co_u32_e32 v5, vcc, 0, v2, vcc
	s_and_b64 vcc, exec, s[4:5]
	s_cbranch_vccnz .LBB8_2105
; %bb.2053:
	v_cmp_gt_i16_e64 s[0:1], s16, 25
	s_mov_b64 s[6:7], -1
	s_mov_b64 s[4:5], 0
	s_and_b64 vcc, exec, s[0:1]
	s_mov_b64 s[0:1], 0
	s_cbranch_vccz .LBB8_2140
; %bb.2054:
	v_cmp_gt_i16_e64 s[0:1], s16, 28
	s_and_b64 vcc, exec, s[0:1]
	s_cbranch_vccz .LBB8_2106
; %bb.2055:
	v_cmp_gt_i16_e64 s[0:1], s16, 43
	s_and_b64 vcc, exec, s[0:1]
	;; [unrolled: 4-line block ×3, first 2 shown]
	s_cbranch_vccz .LBB8_2113
; %bb.2057:
	v_cmp_eq_u16_e64 s[6:7], s16, 46
	s_mov_b64 s[0:1], -1
	s_and_b64 vcc, exec, s[6:7]
	s_cbranch_vccz .LBB8_2059
; %bb.2058:
	v_cvt_f32_f64_e32 v2, v[0:1]
	v_bfe_u32 v3, v2, 16, 1
	s_movk_i32 s0, 0x7fff
	v_add3_u32 v3, v2, v3, s0
	v_lshrrev_b32_e32 v3, 16, v3
	v_mov_b32_e32 v6, 0x7fc0
	v_cmp_o_f32_e32 vcc, v2, v2
	v_cndmask_b32_e32 v2, v6, v3, vcc
	global_store_dword v[4:5], v2, off
	s_mov_b64 s[0:1], 0
.LBB8_2059:
	s_mov_b64 s[6:7], 0
	s_branch .LBB8_2114
.LBB8_2060:
	s_mov_b64 s[0:1], 0
	s_mov_b64 s[4:5], 0
                                        ; implicit-def: $vgpr4_vgpr5
                                        ; implicit-def: $sgpr16
                                        ; implicit-def: $vgpr0_vgpr1
.LBB8_2061:
	s_and_b64 s[6:7], s[4:5], exec
	s_andn2_b64 s[4:5], s[28:29], exec
	s_and_b64 s[2:3], s[2:3], exec
	s_and_b64 s[0:1], s[0:1], exec
	s_or_b64 s[28:29], s[4:5], s[2:3]
.LBB8_2062:
	s_or_b64 exec, exec, s[30:31]
	s_and_saveexec_b64 s[2:3], s[28:29]
	s_cbranch_execz .LBB8_2065
; %bb.2063:
	; divergent unreachable
	s_or_b64 exec, exec, s[2:3]
	s_and_saveexec_b64 s[2:3], s[6:7]
	s_xor_b64 s[2:3], exec, s[2:3]
	s_cbranch_execnz .LBB8_2066
.LBB8_2064:
	s_or_b64 exec, exec, s[2:3]
	s_and_saveexec_b64 s[2:3], s[0:1]
	s_cbranch_execnz .LBB8_2067
	s_branch .LBB8_2104
.LBB8_2065:
	s_or_b64 exec, exec, s[2:3]
	s_and_saveexec_b64 s[2:3], s[6:7]
	s_xor_b64 s[2:3], exec, s[2:3]
	s_cbranch_execz .LBB8_2064
.LBB8_2066:
	s_waitcnt vmcnt(0)
	v_cmp_neq_f64_e32 vcc, 0, v[0:1]
	v_cndmask_b32_e64 v2, 0, 1, vcc
	global_store_byte v[4:5], v2, off
	s_or_b64 exec, exec, s[2:3]
	s_and_saveexec_b64 s[2:3], s[0:1]
	s_cbranch_execz .LBB8_2104
.LBB8_2067:
	v_cmp_lt_i16_e64 s[2:3], s16, 5
	s_mov_b64 s[0:1], -1
	s_and_b64 vcc, exec, s[2:3]
	s_cbranch_vccnz .LBB8_2088
; %bb.2068:
	v_cmp_lt_i16_e64 s[2:3], s16, 8
	s_and_b64 vcc, exec, s[2:3]
	s_cbranch_vccnz .LBB8_2078
; %bb.2069:
	v_cmp_lt_i16_e64 s[2:3], s16, 9
	s_and_b64 vcc, exec, s[2:3]
	s_cbranch_vccnz .LBB8_2075
; %bb.2070:
	v_cmp_gt_i16_e64 s[2:3], s16, 9
	s_and_b64 vcc, exec, s[2:3]
	s_cbranch_vccz .LBB8_2072
; %bb.2071:
	v_mov_b32_e32 v2, 0
	s_waitcnt vmcnt(0)
	v_mov_b32_e32 v3, v2
	global_store_dwordx4 v[4:5], v[0:3], off
	s_mov_b64 s[0:1], 0
.LBB8_2072:
	s_andn2_b64 vcc, exec, s[0:1]
	s_cbranch_vccnz .LBB8_2074
; %bb.2073:
	s_waitcnt vmcnt(0)
	v_cvt_f32_f64_e32 v2, v[0:1]
	v_mov_b32_e32 v3, 0
	global_store_dwordx2 v[4:5], v[2:3], off
.LBB8_2074:
	s_mov_b64 s[0:1], 0
.LBB8_2075:
	s_andn2_b64 vcc, exec, s[0:1]
	s_cbranch_vccnz .LBB8_2077
; %bb.2076:
	s_waitcnt vmcnt(0)
	v_cvt_f32_f64_e32 v2, v[0:1]
	v_cvt_f16_f32_e32 v2, v2
	global_store_dword v[4:5], v2, off
.LBB8_2077:
	s_mov_b64 s[0:1], 0
.LBB8_2078:
	s_andn2_b64 vcc, exec, s[0:1]
	s_cbranch_vccnz .LBB8_2087
; %bb.2079:
	v_cmp_lt_i16_e64 s[2:3], s16, 6
	s_mov_b64 s[0:1], -1
	s_and_b64 vcc, exec, s[2:3]
	s_cbranch_vccnz .LBB8_2085
; %bb.2080:
	v_cmp_gt_i16_e64 s[2:3], s16, 6
	s_and_b64 vcc, exec, s[2:3]
	s_cbranch_vccz .LBB8_2082
; %bb.2081:
	s_waitcnt vmcnt(0)
	global_store_dwordx2 v[4:5], v[0:1], off
	s_mov_b64 s[0:1], 0
.LBB8_2082:
	s_andn2_b64 vcc, exec, s[0:1]
	s_cbranch_vccnz .LBB8_2084
; %bb.2083:
	s_waitcnt vmcnt(0)
	v_cvt_f32_f64_e32 v2, v[0:1]
	global_store_dword v[4:5], v2, off
.LBB8_2084:
	s_mov_b64 s[0:1], 0
.LBB8_2085:
	s_andn2_b64 vcc, exec, s[0:1]
	s_cbranch_vccnz .LBB8_2087
; %bb.2086:
	s_waitcnt vmcnt(0)
	v_cvt_f32_f64_e32 v2, v[0:1]
	v_cvt_f16_f32_e32 v2, v2
	global_store_short v[4:5], v2, off
.LBB8_2087:
	s_mov_b64 s[0:1], 0
.LBB8_2088:
	s_andn2_b64 vcc, exec, s[0:1]
	s_cbranch_vccnz .LBB8_2104
; %bb.2089:
	v_cmp_lt_i16_e64 s[2:3], s16, 2
	s_mov_b64 s[0:1], -1
	s_and_b64 vcc, exec, s[2:3]
	s_cbranch_vccnz .LBB8_2099
; %bb.2090:
	v_cmp_lt_i16_e64 s[2:3], s16, 3
	s_and_b64 vcc, exec, s[2:3]
	s_cbranch_vccnz .LBB8_2096
; %bb.2091:
	v_cmp_gt_i16_e64 s[2:3], s16, 3
	s_and_b64 vcc, exec, s[2:3]
	s_cbranch_vccz .LBB8_2093
; %bb.2092:
	s_waitcnt vmcnt(0)
	v_trunc_f64_e32 v[2:3], v[0:1]
	s_movk_i32 s0, 0xffe0
	v_ldexp_f64 v[6:7], v[2:3], s0
	v_floor_f64_e32 v[6:7], v[6:7]
	v_fmac_f64_e32 v[2:3], 0xc1f00000, v[6:7]
	v_cvt_i32_f64_e32 v9, v[6:7]
	v_cvt_u32_f64_e32 v8, v[2:3]
	global_store_dwordx2 v[4:5], v[8:9], off
	s_mov_b64 s[0:1], 0
.LBB8_2093:
	s_andn2_b64 vcc, exec, s[0:1]
	s_cbranch_vccnz .LBB8_2095
; %bb.2094:
	s_waitcnt vmcnt(0)
	v_cvt_i32_f64_e32 v2, v[0:1]
	global_store_dword v[4:5], v2, off
.LBB8_2095:
	s_mov_b64 s[0:1], 0
.LBB8_2096:
	s_andn2_b64 vcc, exec, s[0:1]
	s_cbranch_vccnz .LBB8_2098
; %bb.2097:
	s_waitcnt vmcnt(0)
	v_cvt_i32_f64_e32 v2, v[0:1]
	global_store_short v[4:5], v2, off
.LBB8_2098:
	s_mov_b64 s[0:1], 0
.LBB8_2099:
	s_andn2_b64 vcc, exec, s[0:1]
	s_cbranch_vccnz .LBB8_2104
; %bb.2100:
	v_cmp_gt_i16_e64 s[2:3], s16, 0
	s_mov_b64 s[0:1], -1
	s_and_b64 vcc, exec, s[2:3]
	s_cbranch_vccz .LBB8_2102
; %bb.2101:
	s_waitcnt vmcnt(0)
	v_cvt_i32_f64_e32 v2, v[0:1]
	global_store_byte v[4:5], v2, off
	s_mov_b64 s[0:1], 0
.LBB8_2102:
	s_andn2_b64 vcc, exec, s[0:1]
	s_cbranch_vccnz .LBB8_2104
; %bb.2103:
	s_waitcnt vmcnt(0)
	v_trunc_f64_e32 v[0:1], v[0:1]
	s_movk_i32 s0, 0xffe0
	v_ldexp_f64 v[2:3], v[0:1], s0
	v_floor_f64_e32 v[2:3], v[2:3]
	v_fmac_f64_e32 v[0:1], 0xc1f00000, v[2:3]
	v_cvt_u32_f64_e32 v0, v[0:1]
	global_store_byte v[4:5], v0, off
	s_endpgm
.LBB8_2104:
	s_endpgm
.LBB8_2105:
	s_mov_b64 s[4:5], 0
	s_mov_b64 s[0:1], -1
	s_branch .LBB8_2061
.LBB8_2106:
	s_mov_b64 s[0:1], 0
	s_branch .LBB8_2124
.LBB8_2107:
	s_or_saveexec_b64 s[14:15], s[14:15]
                                        ; implicit-def: $sgpr17
	s_xor_b64 exec, exec, s[14:15]
	s_cbranch_execz .LBB8_1962
.LBB8_2108:
	s_mov_b32 s17, 0x46000000
	v_add_f32_e64 v3, |v2|, s17
	v_and_b32_e32 v3, 0xff, v3
	v_cmp_ne_u32_e32 vcc, 0, v3
	s_andn2_b64 s[12:13], s[12:13], exec
	s_and_b64 s[18:19], vcc, exec
	s_mov_b32 s17, 0
	s_or_b64 s[12:13], s[12:13], s[18:19]
	s_or_b64 exec, exec, s[14:15]
	v_mov_b32_e32 v5, s17
	s_and_saveexec_b64 s[14:15], s[12:13]
	s_cbranch_execnz .LBB8_1963
	s_branch .LBB8_1964
.LBB8_2109:
	s_mov_b64 s[0:1], 0
	s_branch .LBB8_2120
.LBB8_2110:
	s_trap 2
	s_or_b64 s[2:3], s[2:3], exec
	s_cbranch_execz .LBB8_2010
	s_branch .LBB8_2011
.LBB8_2111:
	s_or_saveexec_b64 s[12:13], s[12:13]
                                        ; implicit-def: $sgpr14
	s_xor_b64 exec, exec, s[12:13]
	s_cbranch_execz .LBB8_1975
.LBB8_2112:
	s_mov_b32 s14, 0x42800000
	v_add_f32_e64 v3, |v2|, s14
	v_and_b32_e32 v3, 0xff, v3
	v_cmp_ne_u32_e32 vcc, 0, v3
	s_andn2_b64 s[10:11], s[10:11], exec
	s_and_b64 s[18:19], vcc, exec
	s_mov_b32 s14, 0
	s_or_b64 s[10:11], s[10:11], s[18:19]
	s_or_b64 exec, exec, s[12:13]
	v_mov_b32_e32 v5, s14
	s_and_saveexec_b64 s[12:13], s[10:11]
	s_cbranch_execnz .LBB8_1976
	s_branch .LBB8_1977
.LBB8_2113:
	s_mov_b64 s[0:1], 0
.LBB8_2114:
	s_and_b64 vcc, exec, s[6:7]
	s_cbranch_vccz .LBB8_2119
; %bb.2115:
	v_cmp_eq_u16_e64 s[6:7], s16, 44
	s_mov_b64 s[0:1], -1
	s_and_b64 vcc, exec, s[6:7]
	s_cbranch_vccz .LBB8_2119
; %bb.2116:
	v_cvt_f32_f64_e32 v2, v[0:1]
	v_bfe_u32 v3, v2, 23, 8
	s_movk_i32 s0, 0xff
	v_cmp_ne_u32_e32 vcc, s0, v3
	v_mov_b32_e32 v6, 0xff
	s_and_saveexec_b64 s[6:7], vcc
; %bb.2117:
	s_mov_b32 s0, 0x3fffff
	v_lshrrev_b32_e32 v6, 23, v2
	v_and_b32_e32 v7, 0x400000, v2
	v_and_or_b32 v2, v2, s0, v3
	v_cmp_ne_u32_e32 vcc, 0, v7
	v_cmp_ne_u32_e64 s[0:1], 0, v2
	s_and_b64 s[0:1], vcc, s[0:1]
	v_cndmask_b32_e64 v2, 0, 1, s[0:1]
	v_add_u32_e32 v6, v6, v2
; %bb.2118:
	s_or_b64 exec, exec, s[6:7]
	s_mov_b64 s[0:1], 0
	global_store_byte v[4:5], v6, off
.LBB8_2119:
	s_mov_b64 s[6:7], 0
.LBB8_2120:
	s_and_b64 vcc, exec, s[6:7]
	s_cbranch_vccz .LBB8_2123
; %bb.2121:
	v_cmp_eq_u16_e64 s[6:7], s16, 29
	s_mov_b64 s[0:1], -1
	s_and_b64 vcc, exec, s[6:7]
	s_cbranch_vccz .LBB8_2123
; %bb.2122:
	v_trunc_f64_e32 v[2:3], v[0:1]
	s_movk_i32 s0, 0xffe0
	v_ldexp_f64 v[6:7], v[2:3], s0
	v_floor_f64_e32 v[6:7], v[6:7]
	v_fmac_f64_e32 v[2:3], 0xc1f00000, v[6:7]
	v_cvt_u32_f64_e32 v9, v[6:7]
	v_cvt_u32_f64_e32 v8, v[2:3]
	global_store_dwordx2 v[4:5], v[8:9], off
	s_mov_b64 s[0:1], 0
.LBB8_2123:
	s_mov_b64 s[6:7], 0
.LBB8_2124:
	s_and_b64 vcc, exec, s[6:7]
	s_cbranch_vccz .LBB8_2139
; %bb.2125:
	v_cmp_lt_i16_e64 s[8:9], s16, 27
	s_mov_b64 s[6:7], -1
	s_and_b64 vcc, exec, s[8:9]
	s_cbranch_vccnz .LBB8_2131
; %bb.2126:
	v_cmp_gt_i16_e64 s[8:9], s16, 27
	s_and_b64 vcc, exec, s[8:9]
	s_cbranch_vccz .LBB8_2128
; %bb.2127:
	v_cvt_u32_f64_e32 v2, v[0:1]
	global_store_dword v[4:5], v2, off
	s_mov_b64 s[6:7], 0
.LBB8_2128:
	s_andn2_b64 vcc, exec, s[6:7]
	s_cbranch_vccnz .LBB8_2130
; %bb.2129:
	v_cvt_u32_f64_e32 v2, v[0:1]
	global_store_short v[4:5], v2, off
.LBB8_2130:
	s_mov_b64 s[6:7], 0
.LBB8_2131:
	s_andn2_b64 vcc, exec, s[6:7]
	s_cbranch_vccnz .LBB8_2139
; %bb.2132:
	v_cvt_f32_f64_e32 v2, v[0:1]
	v_and_b32_e32 v3, 0x7fffffff, v2
	s_mov_b32 s6, 0x43800000
	v_cmp_gt_u32_e32 vcc, s6, v3
	v_mov_b32_e32 v6, 0x80
	s_and_saveexec_b64 s[6:7], vcc
	s_cbranch_execz .LBB8_2138
; %bb.2133:
	s_mov_b32 s8, 0x3bffffff
	v_cmp_lt_u32_e32 vcc, s8, v3
	s_mov_b64 s[8:9], 0
                                        ; implicit-def: $vgpr3
	s_and_saveexec_b64 s[10:11], vcc
	s_xor_b64 s[10:11], exec, s[10:11]
	s_cbranch_execz .LBB8_2182
; %bb.2134:
	v_bfe_u32 v3, v2, 20, 1
	s_mov_b32 s12, 0x487ffff
	v_add3_u32 v3, v2, v3, s12
	s_mov_b64 s[8:9], exec
	v_lshrrev_b32_e32 v3, 20, v3
	s_or_saveexec_b64 s[10:11], s[10:11]
                                        ; implicit-def: $sgpr12
	s_xor_b64 exec, exec, s[10:11]
	s_cbranch_execnz .LBB8_2183
.LBB8_2135:
	s_or_b64 exec, exec, s[10:11]
	v_mov_b32_e32 v6, s12
	s_and_saveexec_b64 s[10:11], s[8:9]
.LBB8_2136:
	v_lshrrev_b32_e32 v2, 24, v2
	s_movk_i32 s8, 0x80
	v_and_or_b32 v6, v2, s8, v3
.LBB8_2137:
	s_or_b64 exec, exec, s[10:11]
.LBB8_2138:
	s_or_b64 exec, exec, s[6:7]
	global_store_byte v[4:5], v6, off
.LBB8_2139:
	s_mov_b64 s[6:7], 0
.LBB8_2140:
	s_and_b64 vcc, exec, s[6:7]
	s_cbranch_vccz .LBB8_2180
; %bb.2141:
	v_cmp_gt_i16_e64 s[6:7], s16, 22
	s_mov_b64 s[4:5], -1
	s_and_b64 vcc, exec, s[6:7]
	s_cbranch_vccz .LBB8_2173
; %bb.2142:
	v_cmp_lt_i16_e64 s[6:7], s16, 24
	s_and_b64 vcc, exec, s[6:7]
	s_cbranch_vccnz .LBB8_2162
; %bb.2143:
	v_cmp_gt_i16_e64 s[6:7], s16, 24
	s_and_b64 vcc, exec, s[6:7]
	s_cbranch_vccz .LBB8_2151
; %bb.2144:
	v_cvt_f32_f64_e32 v2, v[0:1]
	v_and_b32_e32 v3, 0x7fffffff, v2
	s_mov_b32 s4, 0x47800000
	v_cmp_gt_u32_e32 vcc, s4, v3
	v_mov_b32_e32 v6, 0x80
	s_and_saveexec_b64 s[4:5], vcc
	s_cbranch_execz .LBB8_2150
; %bb.2145:
	s_mov_b32 s6, 0x37ffffff
	v_cmp_lt_u32_e32 vcc, s6, v3
	s_mov_b64 s[6:7], 0
                                        ; implicit-def: $vgpr3
	s_and_saveexec_b64 s[8:9], vcc
	s_xor_b64 s[8:9], exec, s[8:9]
	s_cbranch_execz .LBB8_2185
; %bb.2146:
	v_bfe_u32 v3, v2, 21, 1
	s_mov_b32 s10, 0x88fffff
	v_add3_u32 v3, v2, v3, s10
	s_mov_b64 s[6:7], exec
	v_lshrrev_b32_e32 v3, 21, v3
	s_or_saveexec_b64 s[8:9], s[8:9]
                                        ; implicit-def: $sgpr10
	s_xor_b64 exec, exec, s[8:9]
	s_cbranch_execnz .LBB8_2186
.LBB8_2147:
	s_or_b64 exec, exec, s[8:9]
	v_mov_b32_e32 v6, s10
	s_and_saveexec_b64 s[8:9], s[6:7]
.LBB8_2148:
	v_lshrrev_b32_e32 v2, 24, v2
	s_movk_i32 s6, 0x80
	v_and_or_b32 v6, v2, s6, v3
.LBB8_2149:
	s_or_b64 exec, exec, s[8:9]
.LBB8_2150:
	s_or_b64 exec, exec, s[4:5]
	s_mov_b64 s[4:5], 0
	global_store_byte v[4:5], v6, off
.LBB8_2151:
	s_and_b64 vcc, exec, s[4:5]
	s_cbranch_vccz .LBB8_2161
; %bb.2152:
	v_cvt_f32_f64_e32 v2, v[0:1]
	v_and_b32_e32 v6, 0x7fffffff, v2
	s_mov_b32 s4, 0x43f00000
	v_cmp_gt_u32_e32 vcc, s4, v6
                                        ; implicit-def: $vgpr3
	s_and_saveexec_b64 s[4:5], vcc
	s_xor_b64 s[4:5], exec, s[4:5]
	s_cbranch_execz .LBB8_2158
; %bb.2153:
	s_mov_b32 s6, 0x3c7fffff
	v_cmp_lt_u32_e32 vcc, s6, v6
                                        ; implicit-def: $vgpr3
	s_and_saveexec_b64 s[6:7], vcc
	s_xor_b64 s[6:7], exec, s[6:7]
; %bb.2154:
	v_bfe_u32 v3, v2, 20, 1
	s_mov_b32 s8, 0x407ffff
	v_add3_u32 v3, v2, v3, s8
	v_lshrrev_b32_e32 v6, 20, v3
	v_and_b32_e32 v3, 0xff00000, v3
	s_mov_b32 s8, 0x7f00000
	v_mov_b32_e32 v7, 0x7e
	v_cmp_ne_u32_e32 vcc, s8, v3
	v_cndmask_b32_e32 v3, v7, v6, vcc
; %bb.2155:
	s_andn2_saveexec_b64 s[6:7], s[6:7]
; %bb.2156:
	s_mov_b32 s8, 0x46800000
	v_add_f32_e64 v3, |v2|, s8
; %bb.2157:
	s_or_b64 exec, exec, s[6:7]
                                        ; implicit-def: $vgpr6
.LBB8_2158:
	s_andn2_saveexec_b64 s[4:5], s[4:5]
; %bb.2159:
	s_mov_b32 s6, 0x7f800000
	v_mov_b32_e32 v3, 0x7e
	v_mov_b32_e32 v7, 0x7f
	v_cmp_lt_u32_e32 vcc, s6, v6
	v_cndmask_b32_e32 v3, v3, v7, vcc
; %bb.2160:
	s_or_b64 exec, exec, s[4:5]
	v_lshrrev_b32_e32 v2, 24, v2
	s_movk_i32 s4, 0x80
	v_and_or_b32 v2, v2, s4, v3
	global_store_byte v[4:5], v2, off
.LBB8_2161:
	s_mov_b64 s[4:5], 0
.LBB8_2162:
	s_andn2_b64 vcc, exec, s[4:5]
	s_cbranch_vccnz .LBB8_2172
; %bb.2163:
	v_cvt_f32_f64_e32 v2, v[0:1]
	v_and_b32_e32 v6, 0x7fffffff, v2
	s_mov_b32 s4, 0x47800000
	v_cmp_gt_u32_e32 vcc, s4, v6
                                        ; implicit-def: $vgpr3
	s_and_saveexec_b64 s[4:5], vcc
	s_xor_b64 s[4:5], exec, s[4:5]
	s_cbranch_execz .LBB8_2169
; %bb.2164:
	s_mov_b32 s6, 0x387fffff
	v_cmp_lt_u32_e32 vcc, s6, v6
                                        ; implicit-def: $vgpr3
	s_and_saveexec_b64 s[6:7], vcc
	s_xor_b64 s[6:7], exec, s[6:7]
; %bb.2165:
	v_bfe_u32 v3, v2, 21, 1
	s_mov_b32 s8, 0x80fffff
	v_add3_u32 v3, v2, v3, s8
	v_lshrrev_b32_e32 v3, 21, v3
; %bb.2166:
	s_andn2_saveexec_b64 s[6:7], s[6:7]
; %bb.2167:
	s_mov_b32 s8, 0x43000000
	v_add_f32_e64 v3, |v2|, s8
; %bb.2168:
	s_or_b64 exec, exec, s[6:7]
                                        ; implicit-def: $vgpr6
.LBB8_2169:
	s_andn2_saveexec_b64 s[4:5], s[4:5]
; %bb.2170:
	s_mov_b32 s6, 0x7f800000
	v_mov_b32_e32 v3, 0x7c
	v_mov_b32_e32 v7, 0x7f
	v_cmp_lt_u32_e32 vcc, s6, v6
	v_cndmask_b32_e32 v3, v3, v7, vcc
; %bb.2171:
	s_or_b64 exec, exec, s[4:5]
	v_lshrrev_b32_e32 v2, 24, v2
	s_movk_i32 s4, 0x80
	v_and_or_b32 v2, v2, s4, v3
	global_store_byte v[4:5], v2, off
.LBB8_2172:
	s_mov_b64 s[4:5], 0
.LBB8_2173:
	s_andn2_b64 vcc, exec, s[4:5]
	s_mov_b64 s[4:5], 0
	s_cbranch_vccnz .LBB8_2180
; %bb.2174:
	v_cmp_gt_i16_e64 s[4:5], s16, 14
	s_mov_b64 s[6:7], -1
	s_and_b64 vcc, exec, s[4:5]
	s_cbranch_vccz .LBB8_2178
; %bb.2175:
	v_cmp_eq_u16_e64 s[4:5], s16, 15
	s_mov_b64 s[0:1], -1
	s_and_b64 vcc, exec, s[4:5]
	s_cbranch_vccz .LBB8_2177
; %bb.2176:
	v_cvt_f32_f64_e32 v2, v[0:1]
	v_bfe_u32 v3, v2, 16, 1
	s_movk_i32 s0, 0x7fff
	v_add3_u32 v3, v2, v3, s0
	v_lshrrev_b32_e32 v3, 16, v3
	v_mov_b32_e32 v6, 0x7fc0
	v_cmp_o_f32_e32 vcc, v2, v2
	v_cndmask_b32_e32 v2, v6, v3, vcc
	global_store_short v[4:5], v2, off
	s_mov_b64 s[0:1], 0
.LBB8_2177:
	s_mov_b64 s[6:7], 0
.LBB8_2178:
	s_mov_b64 s[4:5], 0
	s_and_b64 vcc, exec, s[6:7]
	s_cbranch_vccz .LBB8_2180
; %bb.2179:
	v_cmp_ne_u16_e64 s[0:1], s16, 11
	s_mov_b64 s[4:5], -1
.LBB8_2180:
	s_and_b64 vcc, exec, s[0:1]
	s_cbranch_vccnz .LBB8_2184
.LBB8_2181:
	s_mov_b64 s[0:1], 0
	s_branch .LBB8_2061
.LBB8_2182:
	s_or_saveexec_b64 s[10:11], s[10:11]
                                        ; implicit-def: $sgpr12
	s_xor_b64 exec, exec, s[10:11]
	s_cbranch_execz .LBB8_2135
.LBB8_2183:
	s_mov_b32 s12, 0x46000000
	v_add_f32_e64 v3, |v2|, s12
	v_and_b32_e32 v3, 0xff, v3
	v_cmp_ne_u32_e32 vcc, 0, v3
	s_andn2_b64 s[8:9], s[8:9], exec
	s_and_b64 s[14:15], vcc, exec
	s_mov_b32 s12, 0
	s_or_b64 s[8:9], s[8:9], s[14:15]
	s_or_b64 exec, exec, s[10:11]
	v_mov_b32_e32 v6, s12
	s_and_saveexec_b64 s[10:11], s[8:9]
	s_cbranch_execnz .LBB8_2136
	s_branch .LBB8_2137
.LBB8_2184:
	s_mov_b64 s[4:5], 0
	s_or_b64 s[2:3], s[2:3], exec
	s_trap 2
	s_branch .LBB8_2181
.LBB8_2185:
	s_or_saveexec_b64 s[8:9], s[8:9]
                                        ; implicit-def: $sgpr10
	s_xor_b64 exec, exec, s[8:9]
	s_cbranch_execz .LBB8_2147
.LBB8_2186:
	s_mov_b32 s10, 0x42800000
	v_add_f32_e64 v3, |v2|, s10
	v_and_b32_e32 v3, 0xff, v3
	v_cmp_ne_u32_e32 vcc, 0, v3
	s_andn2_b64 s[6:7], s[6:7], exec
	s_and_b64 s[12:13], vcc, exec
	s_mov_b32 s10, 0
	s_or_b64 s[6:7], s[6:7], s[12:13]
	s_or_b64 exec, exec, s[8:9]
	v_mov_b32_e32 v6, s10
	s_and_saveexec_b64 s[8:9], s[6:7]
	s_cbranch_execnz .LBB8_2148
	s_branch .LBB8_2149
	.section	.rodata,"a",@progbits
	.p2align	6, 0x0
	.amdhsa_kernel _ZN2at6native32elementwise_kernel_manual_unrollILi128ELi4EZNS0_15gpu_kernel_implIZZZNS0_12_GLOBAL__N_139_amp_non_finite_check_and_unscale_cuda_ERNS_6TensorES5_RKS4_ENKUlvE_clEvENKUlvE_clEvEUldE_EEvRNS_18TensorIteratorBaseERKT_EUlibE0_EEviT1_
		.amdhsa_group_segment_fixed_size 0
		.amdhsa_private_segment_fixed_size 0
		.amdhsa_kernarg_size 376
		.amdhsa_user_sgpr_count 6
		.amdhsa_user_sgpr_private_segment_buffer 1
		.amdhsa_user_sgpr_dispatch_ptr 0
		.amdhsa_user_sgpr_queue_ptr 0
		.amdhsa_user_sgpr_kernarg_segment_ptr 1
		.amdhsa_user_sgpr_dispatch_id 0
		.amdhsa_user_sgpr_flat_scratch_init 0
		.amdhsa_user_sgpr_kernarg_preload_length 0
		.amdhsa_user_sgpr_kernarg_preload_offset 0
		.amdhsa_user_sgpr_private_segment_size 0
		.amdhsa_uses_dynamic_stack 0
		.amdhsa_system_sgpr_private_segment_wavefront_offset 0
		.amdhsa_system_sgpr_workgroup_id_x 1
		.amdhsa_system_sgpr_workgroup_id_y 0
		.amdhsa_system_sgpr_workgroup_id_z 0
		.amdhsa_system_sgpr_workgroup_info 0
		.amdhsa_system_vgpr_workitem_id 0
		.amdhsa_next_free_vgpr 30
		.amdhsa_next_free_sgpr 81
		.amdhsa_accum_offset 32
		.amdhsa_reserve_vcc 1
		.amdhsa_reserve_flat_scratch 0
		.amdhsa_float_round_mode_32 0
		.amdhsa_float_round_mode_16_64 0
		.amdhsa_float_denorm_mode_32 3
		.amdhsa_float_denorm_mode_16_64 3
		.amdhsa_dx10_clamp 1
		.amdhsa_ieee_mode 1
		.amdhsa_fp16_overflow 0
		.amdhsa_tg_split 0
		.amdhsa_exception_fp_ieee_invalid_op 0
		.amdhsa_exception_fp_denorm_src 0
		.amdhsa_exception_fp_ieee_div_zero 0
		.amdhsa_exception_fp_ieee_overflow 0
		.amdhsa_exception_fp_ieee_underflow 0
		.amdhsa_exception_fp_ieee_inexact 0
		.amdhsa_exception_int_div_zero 0
	.end_amdhsa_kernel
	.section	.text._ZN2at6native32elementwise_kernel_manual_unrollILi128ELi4EZNS0_15gpu_kernel_implIZZZNS0_12_GLOBAL__N_139_amp_non_finite_check_and_unscale_cuda_ERNS_6TensorES5_RKS4_ENKUlvE_clEvENKUlvE_clEvEUldE_EEvRNS_18TensorIteratorBaseERKT_EUlibE0_EEviT1_,"axG",@progbits,_ZN2at6native32elementwise_kernel_manual_unrollILi128ELi4EZNS0_15gpu_kernel_implIZZZNS0_12_GLOBAL__N_139_amp_non_finite_check_and_unscale_cuda_ERNS_6TensorES5_RKS4_ENKUlvE_clEvENKUlvE_clEvEUldE_EEvRNS_18TensorIteratorBaseERKT_EUlibE0_EEviT1_,comdat
.Lfunc_end8:
	.size	_ZN2at6native32elementwise_kernel_manual_unrollILi128ELi4EZNS0_15gpu_kernel_implIZZZNS0_12_GLOBAL__N_139_amp_non_finite_check_and_unscale_cuda_ERNS_6TensorES5_RKS4_ENKUlvE_clEvENKUlvE_clEvEUldE_EEvRNS_18TensorIteratorBaseERKT_EUlibE0_EEviT1_, .Lfunc_end8-_ZN2at6native32elementwise_kernel_manual_unrollILi128ELi4EZNS0_15gpu_kernel_implIZZZNS0_12_GLOBAL__N_139_amp_non_finite_check_and_unscale_cuda_ERNS_6TensorES5_RKS4_ENKUlvE_clEvENKUlvE_clEvEUldE_EEvRNS_18TensorIteratorBaseERKT_EUlibE0_EEviT1_
                                        ; -- End function
	.section	.AMDGPU.csdata,"",@progbits
; Kernel info:
; codeLenInByte = 41372
; NumSgprs: 85
; NumVgprs: 30
; NumAgprs: 0
; TotalNumVgprs: 30
; ScratchSize: 0
; MemoryBound: 1
; FloatMode: 240
; IeeeMode: 1
; LDSByteSize: 0 bytes/workgroup (compile time only)
; SGPRBlocks: 10
; VGPRBlocks: 3
; NumSGPRsForWavesPerEU: 85
; NumVGPRsForWavesPerEU: 30
; AccumOffset: 32
; Occupancy: 8
; WaveLimiterHint : 1
; COMPUTE_PGM_RSRC2:SCRATCH_EN: 0
; COMPUTE_PGM_RSRC2:USER_SGPR: 6
; COMPUTE_PGM_RSRC2:TRAP_HANDLER: 0
; COMPUTE_PGM_RSRC2:TGID_X_EN: 1
; COMPUTE_PGM_RSRC2:TGID_Y_EN: 0
; COMPUTE_PGM_RSRC2:TGID_Z_EN: 0
; COMPUTE_PGM_RSRC2:TIDIG_COMP_CNT: 0
; COMPUTE_PGM_RSRC3_GFX90A:ACCUM_OFFSET: 7
; COMPUTE_PGM_RSRC3_GFX90A:TG_SPLIT: 0
	.section	.text._ZN2at6native29vectorized_elementwise_kernelILi16EZZZNS0_12_GLOBAL__N_139_amp_non_finite_check_and_unscale_cuda_ERNS_6TensorES4_RKS3_ENKUlvE_clEvENKUlvE0_clEvEUlfE_St5arrayIPcLm2EEEEviT0_T1_,"axG",@progbits,_ZN2at6native29vectorized_elementwise_kernelILi16EZZZNS0_12_GLOBAL__N_139_amp_non_finite_check_and_unscale_cuda_ERNS_6TensorES4_RKS3_ENKUlvE_clEvENKUlvE0_clEvEUlfE_St5arrayIPcLm2EEEEviT0_T1_,comdat
	.globl	_ZN2at6native29vectorized_elementwise_kernelILi16EZZZNS0_12_GLOBAL__N_139_amp_non_finite_check_and_unscale_cuda_ERNS_6TensorES4_RKS3_ENKUlvE_clEvENKUlvE0_clEvEUlfE_St5arrayIPcLm2EEEEviT0_T1_ ; -- Begin function _ZN2at6native29vectorized_elementwise_kernelILi16EZZZNS0_12_GLOBAL__N_139_amp_non_finite_check_and_unscale_cuda_ERNS_6TensorES4_RKS3_ENKUlvE_clEvENKUlvE0_clEvEUlfE_St5arrayIPcLm2EEEEviT0_T1_
	.p2align	8
	.type	_ZN2at6native29vectorized_elementwise_kernelILi16EZZZNS0_12_GLOBAL__N_139_amp_non_finite_check_and_unscale_cuda_ERNS_6TensorES4_RKS3_ENKUlvE_clEvENKUlvE0_clEvEUlfE_St5arrayIPcLm2EEEEviT0_T1_,@function
_ZN2at6native29vectorized_elementwise_kernelILi16EZZZNS0_12_GLOBAL__N_139_amp_non_finite_check_and_unscale_cuda_ERNS_6TensorES4_RKS3_ENKUlvE_clEvENKUlvE0_clEvEUlfE_St5arrayIPcLm2EEEEviT0_T1_: ; @_ZN2at6native29vectorized_elementwise_kernelILi16EZZZNS0_12_GLOBAL__N_139_amp_non_finite_check_and_unscale_cuda_ERNS_6TensorES4_RKS3_ENKUlvE_clEvENKUlvE0_clEvEUlfE_St5arrayIPcLm2EEEEviT0_T1_
; %bb.0:
	s_load_dword s0, s[4:5], 0x0
	s_load_dwordx8 s[8:15], s[4:5], 0x8
	s_lshl_b32 s2, s6, 10
	s_waitcnt lgkmcnt(0)
	s_sub_i32 s6, s0, s2
	s_cmpk_gt_i32 s6, 0x3ff
	s_mov_b64 s[0:1], -1
	s_cbranch_scc0 .LBB9_10
; %bb.1:
	s_ashr_i32 s3, s2, 31
	s_lshl_b64 s[0:1], s[2:3], 2
	s_add_u32 s4, s14, s0
	s_addc_u32 s5, s15, s1
	v_lshlrev_b32_e32 v1, 4, v0
	global_load_dwordx4 v[2:5], v1, s[4:5]
	s_mov_b32 s3, 0x7f800000
	v_mov_b32_e32 v6, 0
	s_waitcnt vmcnt(0)
	v_cmp_nlg_f32_e64 s[16:17], |v2|, s3
	s_and_saveexec_b64 s[4:5], s[16:17]
	s_cbranch_execz .LBB9_3
; %bb.2:
	v_mov_b32_e32 v7, 1.0
	global_store_dword v6, v7, s[8:9]
.LBB9_3:
	s_or_b64 exec, exec, s[4:5]
	global_load_dword v6, v6, s[10:11]
	v_cmp_nlg_f32_e64 s[16:17], |v3|, s3
	s_waitcnt vmcnt(0)
	v_mov_b32_e32 v7, v6
	s_and_saveexec_b64 s[4:5], s[16:17]
	s_cbranch_execz .LBB9_5
; %bb.4:
	v_mov_b32_e32 v7, 0
	v_mov_b32_e32 v8, 1.0
	global_store_dword v7, v8, s[8:9]
	global_load_dword v7, v7, s[10:11]
.LBB9_5:
	s_or_b64 exec, exec, s[4:5]
	v_cmp_nlg_f32_e64 s[16:17], |v4|, s3
	s_waitcnt vmcnt(0)
	v_mov_b32_e32 v8, v7
	s_and_saveexec_b64 s[4:5], s[16:17]
	s_cbranch_execz .LBB9_7
; %bb.6:
	v_mov_b32_e32 v8, 0
	v_mov_b32_e32 v9, 1.0
	global_store_dword v8, v9, s[8:9]
	global_load_dword v8, v8, s[10:11]
.LBB9_7:
	s_or_b64 exec, exec, s[4:5]
	;; [unrolled: 12-line block ×3, first 2 shown]
	v_pk_mul_f32 v[12:13], v[2:3], v[6:7]
	v_cmp_eq_f32_e32 vcc, 1.0, v7
	v_cndmask_b32_e32 v3, v13, v3, vcc
	v_cmp_eq_f32_e32 vcc, 1.0, v6
	s_waitcnt vmcnt(0)
	v_pk_mul_f32 v[10:11], v[4:5], v[8:9]
	v_cndmask_b32_e32 v2, v12, v2, vcc
	v_cmp_eq_f32_e32 vcc, 1.0, v9
	s_add_u32 s0, s12, s0
	v_cndmask_b32_e32 v5, v11, v5, vcc
	v_cmp_eq_f32_e32 vcc, 1.0, v8
	s_addc_u32 s1, s13, s1
	v_cndmask_b32_e32 v4, v10, v4, vcc
	global_store_dwordx4 v1, v[2:5], s[0:1]
	s_mov_b64 s[0:1], 0
.LBB9_10:
	s_and_b64 vcc, exec, s[0:1]
	s_cbranch_vccz .LBB9_37
; %bb.11:
	v_cmp_gt_i32_e32 vcc, s6, v0
	v_mov_b32_e32 v8, 0
	v_or_b32_e32 v6, s2, v0
	v_mov_b32_e32 v9, 0
	v_mov_b32_e32 v2, v0
	s_and_saveexec_b64 s[4:5], vcc
	s_cbranch_execz .LBB9_13
; %bb.12:
	v_mov_b32_e32 v7, 0
	v_lshlrev_b64 v[2:3], 2, v[6:7]
	v_mov_b32_e32 v1, s15
	v_add_co_u32_e64 v2, s[0:1], s14, v2
	v_addc_co_u32_e64 v3, s[0:1], v1, v3, s[0:1]
	global_load_dword v9, v[2:3], off
	v_or_b32_e32 v2, 0x100, v0
.LBB9_13:
	s_or_b64 exec, exec, s[4:5]
	v_cmp_gt_i32_e64 s[0:1], s6, v2
	s_and_saveexec_b64 s[4:5], s[0:1]
	s_cbranch_execz .LBB9_15
; %bb.14:
	v_add_u32_e32 v4, s2, v2
	v_mov_b32_e32 v5, 0
	v_lshlrev_b64 v[4:5], 2, v[4:5]
	v_mov_b32_e32 v1, s15
	v_add_co_u32_e64 v4, s[0:1], s14, v4
	v_addc_co_u32_e64 v5, s[0:1], v1, v5, s[0:1]
	global_load_dword v8, v[4:5], off
	v_add_u32_e32 v2, 0x100, v2
.LBB9_15:
	s_or_b64 exec, exec, s[4:5]
	v_cmp_gt_i32_e64 s[0:1], s6, v2
	v_mov_b32_e32 v1, 0
	v_mov_b32_e32 v7, 0
	s_and_saveexec_b64 s[4:5], s[0:1]
	s_cbranch_execnz .LBB9_18
; %bb.16:
	s_or_b64 exec, exec, s[4:5]
	v_cmp_gt_i32_e64 s[0:1], s6, v2
	s_and_saveexec_b64 s[4:5], s[0:1]
	s_cbranch_execnz .LBB9_19
.LBB9_17:
	s_or_b64 exec, exec, s[4:5]
                                        ; implicit-def: $vgpr2_vgpr3_vgpr4_vgpr5
	s_and_saveexec_b64 s[4:5], vcc
	s_cbranch_execnz .LBB9_20
	s_branch .LBB9_23
.LBB9_18:
	v_add_u32_e32 v4, s2, v2
	v_mov_b32_e32 v5, 0
	v_lshlrev_b64 v[4:5], 2, v[4:5]
	v_mov_b32_e32 v3, s15
	v_add_co_u32_e64 v4, s[0:1], s14, v4
	v_addc_co_u32_e64 v5, s[0:1], v3, v5, s[0:1]
	global_load_dword v7, v[4:5], off
	v_add_u32_e32 v2, 0x100, v2
	s_or_b64 exec, exec, s[4:5]
	v_cmp_gt_i32_e64 s[0:1], s6, v2
	s_and_saveexec_b64 s[4:5], s[0:1]
	s_cbranch_execz .LBB9_17
.LBB9_19:
	v_add_u32_e32 v2, s2, v2
	v_mov_b32_e32 v3, 0
	v_lshlrev_b64 v[2:3], 2, v[2:3]
	v_mov_b32_e32 v1, s15
	v_add_co_u32_e64 v2, s[0:1], s14, v2
	v_addc_co_u32_e64 v3, s[0:1], v1, v3, s[0:1]
	global_load_dword v1, v[2:3], off
	s_or_b64 exec, exec, s[4:5]
                                        ; implicit-def: $vgpr2_vgpr3_vgpr4_vgpr5
	s_and_saveexec_b64 s[4:5], vcc
	s_cbranch_execz .LBB9_23
.LBB9_20:
	s_mov_b32 s0, 0x7f800000
	s_waitcnt vmcnt(0)
	v_cmp_nlg_f32_e64 s[14:15], |v9|, s0
	s_and_saveexec_b64 s[0:1], s[14:15]
	s_cbranch_execz .LBB9_22
; %bb.21:
	v_mov_b32_e32 v2, 0
	v_mov_b32_e32 v3, 1.0
	global_store_dword v2, v3, s[8:9]
.LBB9_22:
	s_or_b64 exec, exec, s[0:1]
	v_mov_b32_e32 v2, 0
	global_load_dword v2, v2, s[10:11]
	s_waitcnt vmcnt(0)
	v_mul_f32_e32 v3, v9, v2
	v_cmp_eq_f32_e64 s[0:1], 1.0, v2
	v_cndmask_b32_e64 v2, v3, v9, s[0:1]
.LBB9_23:
	s_or_b64 exec, exec, s[4:5]
	s_waitcnt vmcnt(0)
	v_or_b32_e32 v9, 0x100, v0
	v_cmp_gt_i32_e64 s[0:1], s6, v9
	s_and_saveexec_b64 s[4:5], s[0:1]
	s_cbranch_execz .LBB9_27
; %bb.24:
	s_mov_b32 s0, 0x7f800000
	v_cmp_nlg_f32_e64 s[14:15], |v8|, s0
	s_and_saveexec_b64 s[0:1], s[14:15]
	s_cbranch_execz .LBB9_26
; %bb.25:
	v_mov_b32_e32 v3, 0
	v_mov_b32_e32 v10, 1.0
	global_store_dword v3, v10, s[8:9]
.LBB9_26:
	s_or_b64 exec, exec, s[0:1]
	v_mov_b32_e32 v3, 0
	global_load_dword v3, v3, s[10:11]
	s_waitcnt vmcnt(0)
	v_mul_f32_e32 v10, v8, v3
	v_cmp_eq_f32_e64 s[0:1], 1.0, v3
	v_cndmask_b32_e64 v3, v10, v8, s[0:1]
.LBB9_27:
	s_or_b64 exec, exec, s[4:5]
	v_or_b32_e32 v8, 0x200, v0
	v_cmp_gt_i32_e64 s[0:1], s6, v8
	s_and_saveexec_b64 s[4:5], s[0:1]
	s_cbranch_execz .LBB9_31
; %bb.28:
	s_mov_b32 s0, 0x7f800000
	v_cmp_nlg_f32_e64 s[14:15], |v7|, s0
	s_and_saveexec_b64 s[0:1], s[14:15]
	s_cbranch_execz .LBB9_30
; %bb.29:
	v_mov_b32_e32 v4, 0
	v_mov_b32_e32 v8, 1.0
	global_store_dword v4, v8, s[8:9]
.LBB9_30:
	s_or_b64 exec, exec, s[0:1]
	v_mov_b32_e32 v4, 0
	global_load_dword v4, v4, s[10:11]
	s_waitcnt vmcnt(0)
	v_mul_f32_e32 v8, v7, v4
	v_cmp_eq_f32_e64 s[0:1], 1.0, v4
	v_cndmask_b32_e64 v4, v8, v7, s[0:1]
.LBB9_31:
	s_or_b64 exec, exec, s[4:5]
	v_or_b32_e32 v7, 0x300, v0
	v_cmp_gt_i32_e64 s[0:1], s6, v7
	s_and_saveexec_b64 s[4:5], s[0:1]
	s_cbranch_execnz .LBB9_38
; %bb.32:
	s_or_b64 exec, exec, s[4:5]
	s_and_saveexec_b64 s[0:1], vcc
	s_xor_b64 s[0:1], exec, s[0:1]
	s_cbranch_execnz .LBB9_41
.LBB9_33:
	s_or_b64 exec, exec, s[0:1]
	v_cmp_gt_i32_e32 vcc, s6, v0
	s_and_saveexec_b64 s[0:1], vcc
	s_cbranch_execnz .LBB9_42
.LBB9_34:
	s_or_b64 exec, exec, s[0:1]
	v_cmp_gt_i32_e32 vcc, s6, v0
	s_and_saveexec_b64 s[0:1], vcc
	s_cbranch_execnz .LBB9_43
.LBB9_35:
	s_or_b64 exec, exec, s[0:1]
	v_cmp_gt_i32_e32 vcc, s6, v0
	s_and_saveexec_b64 s[0:1], vcc
	s_cbranch_execz .LBB9_37
.LBB9_36:
	v_add_u32_e32 v0, s2, v0
	v_mov_b32_e32 v1, 0
	v_lshlrev_b64 v[0:1], 2, v[0:1]
	v_mov_b32_e32 v2, s13
	v_add_co_u32_e32 v0, vcc, s12, v0
	v_addc_co_u32_e32 v1, vcc, v2, v1, vcc
	global_store_dword v[0:1], v5, off
.LBB9_37:
	s_endpgm
.LBB9_38:
	s_mov_b32 s0, 0x7f800000
	v_cmp_nlg_f32_e64 s[14:15], |v1|, s0
	s_and_saveexec_b64 s[0:1], s[14:15]
	s_cbranch_execz .LBB9_40
; %bb.39:
	v_mov_b32_e32 v5, 0
	v_mov_b32_e32 v7, 1.0
	global_store_dword v5, v7, s[8:9]
.LBB9_40:
	s_or_b64 exec, exec, s[0:1]
	v_mov_b32_e32 v5, 0
	global_load_dword v5, v5, s[10:11]
	s_waitcnt vmcnt(0)
	v_mul_f32_e32 v7, v1, v5
	v_cmp_eq_f32_e64 s[0:1], 1.0, v5
	v_cndmask_b32_e64 v5, v7, v1, s[0:1]
	s_or_b64 exec, exec, s[4:5]
	s_and_saveexec_b64 s[0:1], vcc
	s_xor_b64 s[0:1], exec, s[0:1]
	s_cbranch_execz .LBB9_33
.LBB9_41:
	v_mov_b32_e32 v7, 0
	v_lshlrev_b64 v[0:1], 2, v[6:7]
	v_mov_b32_e32 v6, s13
	v_add_co_u32_e32 v0, vcc, s12, v0
	v_addc_co_u32_e32 v1, vcc, v6, v1, vcc
	global_store_dword v[0:1], v2, off
	v_mov_b32_e32 v0, v9
	s_or_b64 exec, exec, s[0:1]
	v_cmp_gt_i32_e32 vcc, s6, v0
	s_and_saveexec_b64 s[0:1], vcc
	s_cbranch_execz .LBB9_34
.LBB9_42:
	v_add_u32_e32 v6, s2, v0
	v_mov_b32_e32 v7, 0
	v_lshlrev_b64 v[6:7], 2, v[6:7]
	v_mov_b32_e32 v1, s13
	v_add_co_u32_e32 v6, vcc, s12, v6
	v_addc_co_u32_e32 v7, vcc, v1, v7, vcc
	v_add_u32_e32 v0, 0x100, v0
	global_store_dword v[6:7], v3, off
	s_or_b64 exec, exec, s[0:1]
	v_cmp_gt_i32_e32 vcc, s6, v0
	s_and_saveexec_b64 s[0:1], vcc
	s_cbranch_execz .LBB9_35
.LBB9_43:
	v_add_u32_e32 v2, s2, v0
	v_mov_b32_e32 v3, 0
	v_lshlrev_b64 v[2:3], 2, v[2:3]
	v_mov_b32_e32 v1, s13
	v_add_co_u32_e32 v2, vcc, s12, v2
	v_addc_co_u32_e32 v3, vcc, v1, v3, vcc
	v_add_u32_e32 v0, 0x100, v0
	global_store_dword v[2:3], v4, off
	s_or_b64 exec, exec, s[0:1]
	v_cmp_gt_i32_e32 vcc, s6, v0
	s_and_saveexec_b64 s[0:1], vcc
	s_cbranch_execnz .LBB9_36
	s_branch .LBB9_37
	.section	.rodata,"a",@progbits
	.p2align	6, 0x0
	.amdhsa_kernel _ZN2at6native29vectorized_elementwise_kernelILi16EZZZNS0_12_GLOBAL__N_139_amp_non_finite_check_and_unscale_cuda_ERNS_6TensorES4_RKS3_ENKUlvE_clEvENKUlvE0_clEvEUlfE_St5arrayIPcLm2EEEEviT0_T1_
		.amdhsa_group_segment_fixed_size 0
		.amdhsa_private_segment_fixed_size 0
		.amdhsa_kernarg_size 40
		.amdhsa_user_sgpr_count 6
		.amdhsa_user_sgpr_private_segment_buffer 1
		.amdhsa_user_sgpr_dispatch_ptr 0
		.amdhsa_user_sgpr_queue_ptr 0
		.amdhsa_user_sgpr_kernarg_segment_ptr 1
		.amdhsa_user_sgpr_dispatch_id 0
		.amdhsa_user_sgpr_flat_scratch_init 0
		.amdhsa_user_sgpr_kernarg_preload_length 0
		.amdhsa_user_sgpr_kernarg_preload_offset 0
		.amdhsa_user_sgpr_private_segment_size 0
		.amdhsa_uses_dynamic_stack 0
		.amdhsa_system_sgpr_private_segment_wavefront_offset 0
		.amdhsa_system_sgpr_workgroup_id_x 1
		.amdhsa_system_sgpr_workgroup_id_y 0
		.amdhsa_system_sgpr_workgroup_id_z 0
		.amdhsa_system_sgpr_workgroup_info 0
		.amdhsa_system_vgpr_workitem_id 0
		.amdhsa_next_free_vgpr 14
		.amdhsa_next_free_sgpr 18
		.amdhsa_accum_offset 16
		.amdhsa_reserve_vcc 1
		.amdhsa_reserve_flat_scratch 0
		.amdhsa_float_round_mode_32 0
		.amdhsa_float_round_mode_16_64 0
		.amdhsa_float_denorm_mode_32 3
		.amdhsa_float_denorm_mode_16_64 3
		.amdhsa_dx10_clamp 1
		.amdhsa_ieee_mode 1
		.amdhsa_fp16_overflow 0
		.amdhsa_tg_split 0
		.amdhsa_exception_fp_ieee_invalid_op 0
		.amdhsa_exception_fp_denorm_src 0
		.amdhsa_exception_fp_ieee_div_zero 0
		.amdhsa_exception_fp_ieee_overflow 0
		.amdhsa_exception_fp_ieee_underflow 0
		.amdhsa_exception_fp_ieee_inexact 0
		.amdhsa_exception_int_div_zero 0
	.end_amdhsa_kernel
	.section	.text._ZN2at6native29vectorized_elementwise_kernelILi16EZZZNS0_12_GLOBAL__N_139_amp_non_finite_check_and_unscale_cuda_ERNS_6TensorES4_RKS3_ENKUlvE_clEvENKUlvE0_clEvEUlfE_St5arrayIPcLm2EEEEviT0_T1_,"axG",@progbits,_ZN2at6native29vectorized_elementwise_kernelILi16EZZZNS0_12_GLOBAL__N_139_amp_non_finite_check_and_unscale_cuda_ERNS_6TensorES4_RKS3_ENKUlvE_clEvENKUlvE0_clEvEUlfE_St5arrayIPcLm2EEEEviT0_T1_,comdat
.Lfunc_end9:
	.size	_ZN2at6native29vectorized_elementwise_kernelILi16EZZZNS0_12_GLOBAL__N_139_amp_non_finite_check_and_unscale_cuda_ERNS_6TensorES4_RKS3_ENKUlvE_clEvENKUlvE0_clEvEUlfE_St5arrayIPcLm2EEEEviT0_T1_, .Lfunc_end9-_ZN2at6native29vectorized_elementwise_kernelILi16EZZZNS0_12_GLOBAL__N_139_amp_non_finite_check_and_unscale_cuda_ERNS_6TensorES4_RKS3_ENKUlvE_clEvENKUlvE0_clEvEUlfE_St5arrayIPcLm2EEEEviT0_T1_
                                        ; -- End function
	.section	.AMDGPU.csdata,"",@progbits
; Kernel info:
; codeLenInByte = 1408
; NumSgprs: 22
; NumVgprs: 14
; NumAgprs: 0
; TotalNumVgprs: 14
; ScratchSize: 0
; MemoryBound: 0
; FloatMode: 240
; IeeeMode: 1
; LDSByteSize: 0 bytes/workgroup (compile time only)
; SGPRBlocks: 2
; VGPRBlocks: 1
; NumSGPRsForWavesPerEU: 22
; NumVGPRsForWavesPerEU: 14
; AccumOffset: 16
; Occupancy: 8
; WaveLimiterHint : 0
; COMPUTE_PGM_RSRC2:SCRATCH_EN: 0
; COMPUTE_PGM_RSRC2:USER_SGPR: 6
; COMPUTE_PGM_RSRC2:TRAP_HANDLER: 0
; COMPUTE_PGM_RSRC2:TGID_X_EN: 1
; COMPUTE_PGM_RSRC2:TGID_Y_EN: 0
; COMPUTE_PGM_RSRC2:TGID_Z_EN: 0
; COMPUTE_PGM_RSRC2:TIDIG_COMP_CNT: 0
; COMPUTE_PGM_RSRC3_GFX90A:ACCUM_OFFSET: 3
; COMPUTE_PGM_RSRC3_GFX90A:TG_SPLIT: 0
	.section	.text._ZN2at6native29vectorized_elementwise_kernelILi8EZZZNS0_12_GLOBAL__N_139_amp_non_finite_check_and_unscale_cuda_ERNS_6TensorES4_RKS3_ENKUlvE_clEvENKUlvE0_clEvEUlfE_St5arrayIPcLm2EEEEviT0_T1_,"axG",@progbits,_ZN2at6native29vectorized_elementwise_kernelILi8EZZZNS0_12_GLOBAL__N_139_amp_non_finite_check_and_unscale_cuda_ERNS_6TensorES4_RKS3_ENKUlvE_clEvENKUlvE0_clEvEUlfE_St5arrayIPcLm2EEEEviT0_T1_,comdat
	.globl	_ZN2at6native29vectorized_elementwise_kernelILi8EZZZNS0_12_GLOBAL__N_139_amp_non_finite_check_and_unscale_cuda_ERNS_6TensorES4_RKS3_ENKUlvE_clEvENKUlvE0_clEvEUlfE_St5arrayIPcLm2EEEEviT0_T1_ ; -- Begin function _ZN2at6native29vectorized_elementwise_kernelILi8EZZZNS0_12_GLOBAL__N_139_amp_non_finite_check_and_unscale_cuda_ERNS_6TensorES4_RKS3_ENKUlvE_clEvENKUlvE0_clEvEUlfE_St5arrayIPcLm2EEEEviT0_T1_
	.p2align	8
	.type	_ZN2at6native29vectorized_elementwise_kernelILi8EZZZNS0_12_GLOBAL__N_139_amp_non_finite_check_and_unscale_cuda_ERNS_6TensorES4_RKS3_ENKUlvE_clEvENKUlvE0_clEvEUlfE_St5arrayIPcLm2EEEEviT0_T1_,@function
_ZN2at6native29vectorized_elementwise_kernelILi8EZZZNS0_12_GLOBAL__N_139_amp_non_finite_check_and_unscale_cuda_ERNS_6TensorES4_RKS3_ENKUlvE_clEvENKUlvE0_clEvEUlfE_St5arrayIPcLm2EEEEviT0_T1_: ; @_ZN2at6native29vectorized_elementwise_kernelILi8EZZZNS0_12_GLOBAL__N_139_amp_non_finite_check_and_unscale_cuda_ERNS_6TensorES4_RKS3_ENKUlvE_clEvENKUlvE0_clEvEUlfE_St5arrayIPcLm2EEEEviT0_T1_
; %bb.0:
	s_load_dword s0, s[4:5], 0x0
	s_load_dwordx8 s[8:15], s[4:5], 0x8
	s_lshl_b32 s2, s6, 10
	s_waitcnt lgkmcnt(0)
	s_sub_i32 s6, s0, s2
	s_cmpk_gt_i32 s6, 0x3ff
	s_mov_b64 s[0:1], -1
	s_cbranch_scc0 .LBB10_10
; %bb.1:
	s_ashr_i32 s3, s2, 31
	s_lshl_b64 s[0:1], s[2:3], 2
	s_add_u32 s4, s14, s0
	s_addc_u32 s5, s15, s1
	v_lshlrev_b32_e32 v1, 4, v0
	global_load_dwordx4 v[2:5], v1, s[4:5]
	s_mov_b32 s3, 0x7f800000
	v_mov_b32_e32 v6, 0
	s_waitcnt vmcnt(0)
	v_cmp_nlg_f32_e64 s[16:17], |v2|, s3
	s_and_saveexec_b64 s[4:5], s[16:17]
	s_cbranch_execz .LBB10_3
; %bb.2:
	v_mov_b32_e32 v7, 1.0
	global_store_dword v6, v7, s[8:9]
.LBB10_3:
	s_or_b64 exec, exec, s[4:5]
	global_load_dword v6, v6, s[10:11]
	v_cmp_nlg_f32_e64 s[16:17], |v3|, s3
	s_waitcnt vmcnt(0)
	v_mov_b32_e32 v7, v6
	s_and_saveexec_b64 s[4:5], s[16:17]
	s_cbranch_execz .LBB10_5
; %bb.4:
	v_mov_b32_e32 v7, 0
	v_mov_b32_e32 v8, 1.0
	global_store_dword v7, v8, s[8:9]
	global_load_dword v7, v7, s[10:11]
.LBB10_5:
	s_or_b64 exec, exec, s[4:5]
	v_cmp_nlg_f32_e64 s[16:17], |v4|, s3
	s_waitcnt vmcnt(0)
	v_mov_b32_e32 v8, v7
	s_and_saveexec_b64 s[4:5], s[16:17]
	s_cbranch_execz .LBB10_7
; %bb.6:
	v_mov_b32_e32 v8, 0
	v_mov_b32_e32 v9, 1.0
	global_store_dword v8, v9, s[8:9]
	global_load_dword v8, v8, s[10:11]
.LBB10_7:
	s_or_b64 exec, exec, s[4:5]
	;; [unrolled: 12-line block ×3, first 2 shown]
	v_pk_mul_f32 v[12:13], v[2:3], v[6:7]
	v_cmp_eq_f32_e32 vcc, 1.0, v7
	v_cndmask_b32_e32 v3, v13, v3, vcc
	v_cmp_eq_f32_e32 vcc, 1.0, v6
	s_waitcnt vmcnt(0)
	v_pk_mul_f32 v[10:11], v[4:5], v[8:9]
	v_cndmask_b32_e32 v2, v12, v2, vcc
	v_cmp_eq_f32_e32 vcc, 1.0, v9
	s_add_u32 s0, s12, s0
	v_cndmask_b32_e32 v5, v11, v5, vcc
	v_cmp_eq_f32_e32 vcc, 1.0, v8
	s_addc_u32 s1, s13, s1
	v_cndmask_b32_e32 v4, v10, v4, vcc
	global_store_dwordx4 v1, v[2:5], s[0:1]
	s_mov_b64 s[0:1], 0
.LBB10_10:
	s_and_b64 vcc, exec, s[0:1]
	s_cbranch_vccz .LBB10_37
; %bb.11:
	v_cmp_gt_i32_e32 vcc, s6, v0
	v_mov_b32_e32 v8, 0
	v_or_b32_e32 v6, s2, v0
	v_mov_b32_e32 v9, 0
	v_mov_b32_e32 v2, v0
	s_and_saveexec_b64 s[4:5], vcc
	s_cbranch_execz .LBB10_13
; %bb.12:
	v_mov_b32_e32 v7, 0
	v_lshlrev_b64 v[2:3], 2, v[6:7]
	v_mov_b32_e32 v1, s15
	v_add_co_u32_e64 v2, s[0:1], s14, v2
	v_addc_co_u32_e64 v3, s[0:1], v1, v3, s[0:1]
	global_load_dword v9, v[2:3], off
	v_or_b32_e32 v2, 0x100, v0
.LBB10_13:
	s_or_b64 exec, exec, s[4:5]
	v_cmp_gt_i32_e64 s[0:1], s6, v2
	s_and_saveexec_b64 s[4:5], s[0:1]
	s_cbranch_execz .LBB10_15
; %bb.14:
	v_add_u32_e32 v4, s2, v2
	v_mov_b32_e32 v5, 0
	v_lshlrev_b64 v[4:5], 2, v[4:5]
	v_mov_b32_e32 v1, s15
	v_add_co_u32_e64 v4, s[0:1], s14, v4
	v_addc_co_u32_e64 v5, s[0:1], v1, v5, s[0:1]
	global_load_dword v8, v[4:5], off
	v_add_u32_e32 v2, 0x100, v2
.LBB10_15:
	s_or_b64 exec, exec, s[4:5]
	v_cmp_gt_i32_e64 s[0:1], s6, v2
	v_mov_b32_e32 v1, 0
	v_mov_b32_e32 v7, 0
	s_and_saveexec_b64 s[4:5], s[0:1]
	s_cbranch_execnz .LBB10_18
; %bb.16:
	s_or_b64 exec, exec, s[4:5]
	v_cmp_gt_i32_e64 s[0:1], s6, v2
	s_and_saveexec_b64 s[4:5], s[0:1]
	s_cbranch_execnz .LBB10_19
.LBB10_17:
	s_or_b64 exec, exec, s[4:5]
                                        ; implicit-def: $vgpr2_vgpr3_vgpr4_vgpr5
	s_and_saveexec_b64 s[4:5], vcc
	s_cbranch_execnz .LBB10_20
	s_branch .LBB10_23
.LBB10_18:
	v_add_u32_e32 v4, s2, v2
	v_mov_b32_e32 v5, 0
	v_lshlrev_b64 v[4:5], 2, v[4:5]
	v_mov_b32_e32 v3, s15
	v_add_co_u32_e64 v4, s[0:1], s14, v4
	v_addc_co_u32_e64 v5, s[0:1], v3, v5, s[0:1]
	global_load_dword v7, v[4:5], off
	v_add_u32_e32 v2, 0x100, v2
	s_or_b64 exec, exec, s[4:5]
	v_cmp_gt_i32_e64 s[0:1], s6, v2
	s_and_saveexec_b64 s[4:5], s[0:1]
	s_cbranch_execz .LBB10_17
.LBB10_19:
	v_add_u32_e32 v2, s2, v2
	v_mov_b32_e32 v3, 0
	v_lshlrev_b64 v[2:3], 2, v[2:3]
	v_mov_b32_e32 v1, s15
	v_add_co_u32_e64 v2, s[0:1], s14, v2
	v_addc_co_u32_e64 v3, s[0:1], v1, v3, s[0:1]
	global_load_dword v1, v[2:3], off
	s_or_b64 exec, exec, s[4:5]
                                        ; implicit-def: $vgpr2_vgpr3_vgpr4_vgpr5
	s_and_saveexec_b64 s[4:5], vcc
	s_cbranch_execz .LBB10_23
.LBB10_20:
	s_mov_b32 s0, 0x7f800000
	s_waitcnt vmcnt(0)
	v_cmp_nlg_f32_e64 s[14:15], |v9|, s0
	s_and_saveexec_b64 s[0:1], s[14:15]
	s_cbranch_execz .LBB10_22
; %bb.21:
	v_mov_b32_e32 v2, 0
	v_mov_b32_e32 v3, 1.0
	global_store_dword v2, v3, s[8:9]
.LBB10_22:
	s_or_b64 exec, exec, s[0:1]
	v_mov_b32_e32 v2, 0
	global_load_dword v2, v2, s[10:11]
	s_waitcnt vmcnt(0)
	v_mul_f32_e32 v3, v9, v2
	v_cmp_eq_f32_e64 s[0:1], 1.0, v2
	v_cndmask_b32_e64 v2, v3, v9, s[0:1]
.LBB10_23:
	s_or_b64 exec, exec, s[4:5]
	s_waitcnt vmcnt(0)
	v_or_b32_e32 v9, 0x100, v0
	v_cmp_gt_i32_e64 s[0:1], s6, v9
	s_and_saveexec_b64 s[4:5], s[0:1]
	s_cbranch_execz .LBB10_27
; %bb.24:
	s_mov_b32 s0, 0x7f800000
	v_cmp_nlg_f32_e64 s[14:15], |v8|, s0
	s_and_saveexec_b64 s[0:1], s[14:15]
	s_cbranch_execz .LBB10_26
; %bb.25:
	v_mov_b32_e32 v3, 0
	v_mov_b32_e32 v10, 1.0
	global_store_dword v3, v10, s[8:9]
.LBB10_26:
	s_or_b64 exec, exec, s[0:1]
	v_mov_b32_e32 v3, 0
	global_load_dword v3, v3, s[10:11]
	s_waitcnt vmcnt(0)
	v_mul_f32_e32 v10, v8, v3
	v_cmp_eq_f32_e64 s[0:1], 1.0, v3
	v_cndmask_b32_e64 v3, v10, v8, s[0:1]
.LBB10_27:
	s_or_b64 exec, exec, s[4:5]
	v_or_b32_e32 v8, 0x200, v0
	v_cmp_gt_i32_e64 s[0:1], s6, v8
	s_and_saveexec_b64 s[4:5], s[0:1]
	s_cbranch_execz .LBB10_31
; %bb.28:
	s_mov_b32 s0, 0x7f800000
	v_cmp_nlg_f32_e64 s[14:15], |v7|, s0
	s_and_saveexec_b64 s[0:1], s[14:15]
	s_cbranch_execz .LBB10_30
; %bb.29:
	v_mov_b32_e32 v4, 0
	v_mov_b32_e32 v8, 1.0
	global_store_dword v4, v8, s[8:9]
.LBB10_30:
	s_or_b64 exec, exec, s[0:1]
	v_mov_b32_e32 v4, 0
	global_load_dword v4, v4, s[10:11]
	s_waitcnt vmcnt(0)
	v_mul_f32_e32 v8, v7, v4
	v_cmp_eq_f32_e64 s[0:1], 1.0, v4
	v_cndmask_b32_e64 v4, v8, v7, s[0:1]
.LBB10_31:
	s_or_b64 exec, exec, s[4:5]
	v_or_b32_e32 v7, 0x300, v0
	v_cmp_gt_i32_e64 s[0:1], s6, v7
	s_and_saveexec_b64 s[4:5], s[0:1]
	s_cbranch_execnz .LBB10_38
; %bb.32:
	s_or_b64 exec, exec, s[4:5]
	s_and_saveexec_b64 s[0:1], vcc
	s_xor_b64 s[0:1], exec, s[0:1]
	s_cbranch_execnz .LBB10_41
.LBB10_33:
	s_or_b64 exec, exec, s[0:1]
	v_cmp_gt_i32_e32 vcc, s6, v0
	s_and_saveexec_b64 s[0:1], vcc
	s_cbranch_execnz .LBB10_42
.LBB10_34:
	s_or_b64 exec, exec, s[0:1]
	v_cmp_gt_i32_e32 vcc, s6, v0
	s_and_saveexec_b64 s[0:1], vcc
	s_cbranch_execnz .LBB10_43
.LBB10_35:
	s_or_b64 exec, exec, s[0:1]
	v_cmp_gt_i32_e32 vcc, s6, v0
	s_and_saveexec_b64 s[0:1], vcc
	s_cbranch_execz .LBB10_37
.LBB10_36:
	v_add_u32_e32 v0, s2, v0
	v_mov_b32_e32 v1, 0
	v_lshlrev_b64 v[0:1], 2, v[0:1]
	v_mov_b32_e32 v2, s13
	v_add_co_u32_e32 v0, vcc, s12, v0
	v_addc_co_u32_e32 v1, vcc, v2, v1, vcc
	global_store_dword v[0:1], v5, off
.LBB10_37:
	s_endpgm
.LBB10_38:
	s_mov_b32 s0, 0x7f800000
	v_cmp_nlg_f32_e64 s[14:15], |v1|, s0
	s_and_saveexec_b64 s[0:1], s[14:15]
	s_cbranch_execz .LBB10_40
; %bb.39:
	v_mov_b32_e32 v5, 0
	v_mov_b32_e32 v7, 1.0
	global_store_dword v5, v7, s[8:9]
.LBB10_40:
	s_or_b64 exec, exec, s[0:1]
	v_mov_b32_e32 v5, 0
	global_load_dword v5, v5, s[10:11]
	s_waitcnt vmcnt(0)
	v_mul_f32_e32 v7, v1, v5
	v_cmp_eq_f32_e64 s[0:1], 1.0, v5
	v_cndmask_b32_e64 v5, v7, v1, s[0:1]
	s_or_b64 exec, exec, s[4:5]
	s_and_saveexec_b64 s[0:1], vcc
	s_xor_b64 s[0:1], exec, s[0:1]
	s_cbranch_execz .LBB10_33
.LBB10_41:
	v_mov_b32_e32 v7, 0
	v_lshlrev_b64 v[0:1], 2, v[6:7]
	v_mov_b32_e32 v6, s13
	v_add_co_u32_e32 v0, vcc, s12, v0
	v_addc_co_u32_e32 v1, vcc, v6, v1, vcc
	global_store_dword v[0:1], v2, off
	v_mov_b32_e32 v0, v9
	s_or_b64 exec, exec, s[0:1]
	v_cmp_gt_i32_e32 vcc, s6, v0
	s_and_saveexec_b64 s[0:1], vcc
	s_cbranch_execz .LBB10_34
.LBB10_42:
	v_add_u32_e32 v6, s2, v0
	v_mov_b32_e32 v7, 0
	v_lshlrev_b64 v[6:7], 2, v[6:7]
	v_mov_b32_e32 v1, s13
	v_add_co_u32_e32 v6, vcc, s12, v6
	v_addc_co_u32_e32 v7, vcc, v1, v7, vcc
	v_add_u32_e32 v0, 0x100, v0
	global_store_dword v[6:7], v3, off
	s_or_b64 exec, exec, s[0:1]
	v_cmp_gt_i32_e32 vcc, s6, v0
	s_and_saveexec_b64 s[0:1], vcc
	s_cbranch_execz .LBB10_35
.LBB10_43:
	v_add_u32_e32 v2, s2, v0
	v_mov_b32_e32 v3, 0
	v_lshlrev_b64 v[2:3], 2, v[2:3]
	v_mov_b32_e32 v1, s13
	v_add_co_u32_e32 v2, vcc, s12, v2
	v_addc_co_u32_e32 v3, vcc, v1, v3, vcc
	v_add_u32_e32 v0, 0x100, v0
	global_store_dword v[2:3], v4, off
	s_or_b64 exec, exec, s[0:1]
	v_cmp_gt_i32_e32 vcc, s6, v0
	s_and_saveexec_b64 s[0:1], vcc
	s_cbranch_execnz .LBB10_36
	s_branch .LBB10_37
	.section	.rodata,"a",@progbits
	.p2align	6, 0x0
	.amdhsa_kernel _ZN2at6native29vectorized_elementwise_kernelILi8EZZZNS0_12_GLOBAL__N_139_amp_non_finite_check_and_unscale_cuda_ERNS_6TensorES4_RKS3_ENKUlvE_clEvENKUlvE0_clEvEUlfE_St5arrayIPcLm2EEEEviT0_T1_
		.amdhsa_group_segment_fixed_size 0
		.amdhsa_private_segment_fixed_size 0
		.amdhsa_kernarg_size 40
		.amdhsa_user_sgpr_count 6
		.amdhsa_user_sgpr_private_segment_buffer 1
		.amdhsa_user_sgpr_dispatch_ptr 0
		.amdhsa_user_sgpr_queue_ptr 0
		.amdhsa_user_sgpr_kernarg_segment_ptr 1
		.amdhsa_user_sgpr_dispatch_id 0
		.amdhsa_user_sgpr_flat_scratch_init 0
		.amdhsa_user_sgpr_kernarg_preload_length 0
		.amdhsa_user_sgpr_kernarg_preload_offset 0
		.amdhsa_user_sgpr_private_segment_size 0
		.amdhsa_uses_dynamic_stack 0
		.amdhsa_system_sgpr_private_segment_wavefront_offset 0
		.amdhsa_system_sgpr_workgroup_id_x 1
		.amdhsa_system_sgpr_workgroup_id_y 0
		.amdhsa_system_sgpr_workgroup_id_z 0
		.amdhsa_system_sgpr_workgroup_info 0
		.amdhsa_system_vgpr_workitem_id 0
		.amdhsa_next_free_vgpr 14
		.amdhsa_next_free_sgpr 18
		.amdhsa_accum_offset 16
		.amdhsa_reserve_vcc 1
		.amdhsa_reserve_flat_scratch 0
		.amdhsa_float_round_mode_32 0
		.amdhsa_float_round_mode_16_64 0
		.amdhsa_float_denorm_mode_32 3
		.amdhsa_float_denorm_mode_16_64 3
		.amdhsa_dx10_clamp 1
		.amdhsa_ieee_mode 1
		.amdhsa_fp16_overflow 0
		.amdhsa_tg_split 0
		.amdhsa_exception_fp_ieee_invalid_op 0
		.amdhsa_exception_fp_denorm_src 0
		.amdhsa_exception_fp_ieee_div_zero 0
		.amdhsa_exception_fp_ieee_overflow 0
		.amdhsa_exception_fp_ieee_underflow 0
		.amdhsa_exception_fp_ieee_inexact 0
		.amdhsa_exception_int_div_zero 0
	.end_amdhsa_kernel
	.section	.text._ZN2at6native29vectorized_elementwise_kernelILi8EZZZNS0_12_GLOBAL__N_139_amp_non_finite_check_and_unscale_cuda_ERNS_6TensorES4_RKS3_ENKUlvE_clEvENKUlvE0_clEvEUlfE_St5arrayIPcLm2EEEEviT0_T1_,"axG",@progbits,_ZN2at6native29vectorized_elementwise_kernelILi8EZZZNS0_12_GLOBAL__N_139_amp_non_finite_check_and_unscale_cuda_ERNS_6TensorES4_RKS3_ENKUlvE_clEvENKUlvE0_clEvEUlfE_St5arrayIPcLm2EEEEviT0_T1_,comdat
.Lfunc_end10:
	.size	_ZN2at6native29vectorized_elementwise_kernelILi8EZZZNS0_12_GLOBAL__N_139_amp_non_finite_check_and_unscale_cuda_ERNS_6TensorES4_RKS3_ENKUlvE_clEvENKUlvE0_clEvEUlfE_St5arrayIPcLm2EEEEviT0_T1_, .Lfunc_end10-_ZN2at6native29vectorized_elementwise_kernelILi8EZZZNS0_12_GLOBAL__N_139_amp_non_finite_check_and_unscale_cuda_ERNS_6TensorES4_RKS3_ENKUlvE_clEvENKUlvE0_clEvEUlfE_St5arrayIPcLm2EEEEviT0_T1_
                                        ; -- End function
	.section	.AMDGPU.csdata,"",@progbits
; Kernel info:
; codeLenInByte = 1408
; NumSgprs: 22
; NumVgprs: 14
; NumAgprs: 0
; TotalNumVgprs: 14
; ScratchSize: 0
; MemoryBound: 0
; FloatMode: 240
; IeeeMode: 1
; LDSByteSize: 0 bytes/workgroup (compile time only)
; SGPRBlocks: 2
; VGPRBlocks: 1
; NumSGPRsForWavesPerEU: 22
; NumVGPRsForWavesPerEU: 14
; AccumOffset: 16
; Occupancy: 8
; WaveLimiterHint : 0
; COMPUTE_PGM_RSRC2:SCRATCH_EN: 0
; COMPUTE_PGM_RSRC2:USER_SGPR: 6
; COMPUTE_PGM_RSRC2:TRAP_HANDLER: 0
; COMPUTE_PGM_RSRC2:TGID_X_EN: 1
; COMPUTE_PGM_RSRC2:TGID_Y_EN: 0
; COMPUTE_PGM_RSRC2:TGID_Z_EN: 0
; COMPUTE_PGM_RSRC2:TIDIG_COMP_CNT: 0
; COMPUTE_PGM_RSRC3_GFX90A:ACCUM_OFFSET: 3
; COMPUTE_PGM_RSRC3_GFX90A:TG_SPLIT: 0
	.section	.text._ZN2at6native29vectorized_elementwise_kernelILi4EZZZNS0_12_GLOBAL__N_139_amp_non_finite_check_and_unscale_cuda_ERNS_6TensorES4_RKS3_ENKUlvE_clEvENKUlvE0_clEvEUlfE_St5arrayIPcLm2EEEEviT0_T1_,"axG",@progbits,_ZN2at6native29vectorized_elementwise_kernelILi4EZZZNS0_12_GLOBAL__N_139_amp_non_finite_check_and_unscale_cuda_ERNS_6TensorES4_RKS3_ENKUlvE_clEvENKUlvE0_clEvEUlfE_St5arrayIPcLm2EEEEviT0_T1_,comdat
	.globl	_ZN2at6native29vectorized_elementwise_kernelILi4EZZZNS0_12_GLOBAL__N_139_amp_non_finite_check_and_unscale_cuda_ERNS_6TensorES4_RKS3_ENKUlvE_clEvENKUlvE0_clEvEUlfE_St5arrayIPcLm2EEEEviT0_T1_ ; -- Begin function _ZN2at6native29vectorized_elementwise_kernelILi4EZZZNS0_12_GLOBAL__N_139_amp_non_finite_check_and_unscale_cuda_ERNS_6TensorES4_RKS3_ENKUlvE_clEvENKUlvE0_clEvEUlfE_St5arrayIPcLm2EEEEviT0_T1_
	.p2align	8
	.type	_ZN2at6native29vectorized_elementwise_kernelILi4EZZZNS0_12_GLOBAL__N_139_amp_non_finite_check_and_unscale_cuda_ERNS_6TensorES4_RKS3_ENKUlvE_clEvENKUlvE0_clEvEUlfE_St5arrayIPcLm2EEEEviT0_T1_,@function
_ZN2at6native29vectorized_elementwise_kernelILi4EZZZNS0_12_GLOBAL__N_139_amp_non_finite_check_and_unscale_cuda_ERNS_6TensorES4_RKS3_ENKUlvE_clEvENKUlvE0_clEvEUlfE_St5arrayIPcLm2EEEEviT0_T1_: ; @_ZN2at6native29vectorized_elementwise_kernelILi4EZZZNS0_12_GLOBAL__N_139_amp_non_finite_check_and_unscale_cuda_ERNS_6TensorES4_RKS3_ENKUlvE_clEvENKUlvE0_clEvEUlfE_St5arrayIPcLm2EEEEviT0_T1_
; %bb.0:
	s_load_dword s0, s[4:5], 0x0
	s_load_dwordx8 s[8:15], s[4:5], 0x8
	s_lshl_b32 s2, s6, 10
	s_waitcnt lgkmcnt(0)
	s_sub_i32 s6, s0, s2
	s_cmpk_gt_i32 s6, 0x3ff
	s_mov_b64 s[0:1], -1
	s_cbranch_scc0 .LBB11_10
; %bb.1:
	s_ashr_i32 s3, s2, 31
	s_lshl_b64 s[0:1], s[2:3], 2
	s_add_u32 s4, s14, s0
	s_addc_u32 s5, s15, s1
	v_lshlrev_b32_e32 v1, 4, v0
	global_load_dwordx4 v[2:5], v1, s[4:5]
	s_mov_b32 s3, 0x7f800000
	v_mov_b32_e32 v6, 0
	s_waitcnt vmcnt(0)
	v_cmp_nlg_f32_e64 s[16:17], |v2|, s3
	s_and_saveexec_b64 s[4:5], s[16:17]
	s_cbranch_execz .LBB11_3
; %bb.2:
	v_mov_b32_e32 v7, 1.0
	global_store_dword v6, v7, s[8:9]
.LBB11_3:
	s_or_b64 exec, exec, s[4:5]
	global_load_dword v6, v6, s[10:11]
	v_cmp_nlg_f32_e64 s[16:17], |v3|, s3
	s_waitcnt vmcnt(0)
	v_mov_b32_e32 v7, v6
	s_and_saveexec_b64 s[4:5], s[16:17]
	s_cbranch_execz .LBB11_5
; %bb.4:
	v_mov_b32_e32 v7, 0
	v_mov_b32_e32 v8, 1.0
	global_store_dword v7, v8, s[8:9]
	global_load_dword v7, v7, s[10:11]
.LBB11_5:
	s_or_b64 exec, exec, s[4:5]
	v_cmp_nlg_f32_e64 s[16:17], |v4|, s3
	s_waitcnt vmcnt(0)
	v_mov_b32_e32 v8, v7
	s_and_saveexec_b64 s[4:5], s[16:17]
	s_cbranch_execz .LBB11_7
; %bb.6:
	v_mov_b32_e32 v8, 0
	v_mov_b32_e32 v9, 1.0
	global_store_dword v8, v9, s[8:9]
	global_load_dword v8, v8, s[10:11]
.LBB11_7:
	s_or_b64 exec, exec, s[4:5]
	v_cmp_nlg_f32_e64 s[16:17], |v5|, s3
	s_waitcnt vmcnt(0)
	v_mov_b32_e32 v9, v8
	s_and_saveexec_b64 s[4:5], s[16:17]
	s_cbranch_execz .LBB11_9
; %bb.8:
	v_mov_b32_e32 v9, 0
	v_mov_b32_e32 v10, 1.0
	global_store_dword v9, v10, s[8:9]
	global_load_dword v9, v9, s[10:11]
.LBB11_9:
	s_or_b64 exec, exec, s[4:5]
	v_pk_mul_f32 v[12:13], v[2:3], v[6:7]
	v_cmp_eq_f32_e32 vcc, 1.0, v7
	v_cndmask_b32_e32 v3, v13, v3, vcc
	v_cmp_eq_f32_e32 vcc, 1.0, v6
	s_waitcnt vmcnt(0)
	v_pk_mul_f32 v[10:11], v[4:5], v[8:9]
	v_cndmask_b32_e32 v2, v12, v2, vcc
	v_cmp_eq_f32_e32 vcc, 1.0, v9
	s_add_u32 s0, s12, s0
	v_cndmask_b32_e32 v5, v11, v5, vcc
	v_cmp_eq_f32_e32 vcc, 1.0, v8
	s_addc_u32 s1, s13, s1
	v_cndmask_b32_e32 v4, v10, v4, vcc
	global_store_dwordx4 v1, v[2:5], s[0:1]
	s_mov_b64 s[0:1], 0
.LBB11_10:
	s_and_b64 vcc, exec, s[0:1]
	s_cbranch_vccz .LBB11_37
; %bb.11:
	v_cmp_gt_i32_e32 vcc, s6, v0
	v_mov_b32_e32 v8, 0
	v_or_b32_e32 v6, s2, v0
	v_mov_b32_e32 v9, 0
	v_mov_b32_e32 v2, v0
	s_and_saveexec_b64 s[4:5], vcc
	s_cbranch_execz .LBB11_13
; %bb.12:
	v_mov_b32_e32 v7, 0
	v_lshlrev_b64 v[2:3], 2, v[6:7]
	v_mov_b32_e32 v1, s15
	v_add_co_u32_e64 v2, s[0:1], s14, v2
	v_addc_co_u32_e64 v3, s[0:1], v1, v3, s[0:1]
	global_load_dword v9, v[2:3], off
	v_or_b32_e32 v2, 0x100, v0
.LBB11_13:
	s_or_b64 exec, exec, s[4:5]
	v_cmp_gt_i32_e64 s[0:1], s6, v2
	s_and_saveexec_b64 s[4:5], s[0:1]
	s_cbranch_execz .LBB11_15
; %bb.14:
	v_add_u32_e32 v4, s2, v2
	v_mov_b32_e32 v5, 0
	v_lshlrev_b64 v[4:5], 2, v[4:5]
	v_mov_b32_e32 v1, s15
	v_add_co_u32_e64 v4, s[0:1], s14, v4
	v_addc_co_u32_e64 v5, s[0:1], v1, v5, s[0:1]
	global_load_dword v8, v[4:5], off
	v_add_u32_e32 v2, 0x100, v2
.LBB11_15:
	s_or_b64 exec, exec, s[4:5]
	v_cmp_gt_i32_e64 s[0:1], s6, v2
	v_mov_b32_e32 v1, 0
	v_mov_b32_e32 v7, 0
	s_and_saveexec_b64 s[4:5], s[0:1]
	s_cbranch_execnz .LBB11_18
; %bb.16:
	s_or_b64 exec, exec, s[4:5]
	v_cmp_gt_i32_e64 s[0:1], s6, v2
	s_and_saveexec_b64 s[4:5], s[0:1]
	s_cbranch_execnz .LBB11_19
.LBB11_17:
	s_or_b64 exec, exec, s[4:5]
                                        ; implicit-def: $vgpr2_vgpr3_vgpr4_vgpr5
	s_and_saveexec_b64 s[4:5], vcc
	s_cbranch_execnz .LBB11_20
	s_branch .LBB11_23
.LBB11_18:
	v_add_u32_e32 v4, s2, v2
	v_mov_b32_e32 v5, 0
	v_lshlrev_b64 v[4:5], 2, v[4:5]
	v_mov_b32_e32 v3, s15
	v_add_co_u32_e64 v4, s[0:1], s14, v4
	v_addc_co_u32_e64 v5, s[0:1], v3, v5, s[0:1]
	global_load_dword v7, v[4:5], off
	v_add_u32_e32 v2, 0x100, v2
	s_or_b64 exec, exec, s[4:5]
	v_cmp_gt_i32_e64 s[0:1], s6, v2
	s_and_saveexec_b64 s[4:5], s[0:1]
	s_cbranch_execz .LBB11_17
.LBB11_19:
	v_add_u32_e32 v2, s2, v2
	v_mov_b32_e32 v3, 0
	v_lshlrev_b64 v[2:3], 2, v[2:3]
	v_mov_b32_e32 v1, s15
	v_add_co_u32_e64 v2, s[0:1], s14, v2
	v_addc_co_u32_e64 v3, s[0:1], v1, v3, s[0:1]
	global_load_dword v1, v[2:3], off
	s_or_b64 exec, exec, s[4:5]
                                        ; implicit-def: $vgpr2_vgpr3_vgpr4_vgpr5
	s_and_saveexec_b64 s[4:5], vcc
	s_cbranch_execz .LBB11_23
.LBB11_20:
	s_mov_b32 s0, 0x7f800000
	s_waitcnt vmcnt(0)
	v_cmp_nlg_f32_e64 s[14:15], |v9|, s0
	s_and_saveexec_b64 s[0:1], s[14:15]
	s_cbranch_execz .LBB11_22
; %bb.21:
	v_mov_b32_e32 v2, 0
	v_mov_b32_e32 v3, 1.0
	global_store_dword v2, v3, s[8:9]
.LBB11_22:
	s_or_b64 exec, exec, s[0:1]
	v_mov_b32_e32 v2, 0
	global_load_dword v2, v2, s[10:11]
	s_waitcnt vmcnt(0)
	v_mul_f32_e32 v3, v9, v2
	v_cmp_eq_f32_e64 s[0:1], 1.0, v2
	v_cndmask_b32_e64 v2, v3, v9, s[0:1]
.LBB11_23:
	s_or_b64 exec, exec, s[4:5]
	s_waitcnt vmcnt(0)
	v_or_b32_e32 v9, 0x100, v0
	v_cmp_gt_i32_e64 s[0:1], s6, v9
	s_and_saveexec_b64 s[4:5], s[0:1]
	s_cbranch_execz .LBB11_27
; %bb.24:
	s_mov_b32 s0, 0x7f800000
	v_cmp_nlg_f32_e64 s[14:15], |v8|, s0
	s_and_saveexec_b64 s[0:1], s[14:15]
	s_cbranch_execz .LBB11_26
; %bb.25:
	v_mov_b32_e32 v3, 0
	v_mov_b32_e32 v10, 1.0
	global_store_dword v3, v10, s[8:9]
.LBB11_26:
	s_or_b64 exec, exec, s[0:1]
	v_mov_b32_e32 v3, 0
	global_load_dword v3, v3, s[10:11]
	s_waitcnt vmcnt(0)
	v_mul_f32_e32 v10, v8, v3
	v_cmp_eq_f32_e64 s[0:1], 1.0, v3
	v_cndmask_b32_e64 v3, v10, v8, s[0:1]
.LBB11_27:
	s_or_b64 exec, exec, s[4:5]
	v_or_b32_e32 v8, 0x200, v0
	v_cmp_gt_i32_e64 s[0:1], s6, v8
	s_and_saveexec_b64 s[4:5], s[0:1]
	s_cbranch_execz .LBB11_31
; %bb.28:
	s_mov_b32 s0, 0x7f800000
	v_cmp_nlg_f32_e64 s[14:15], |v7|, s0
	s_and_saveexec_b64 s[0:1], s[14:15]
	s_cbranch_execz .LBB11_30
; %bb.29:
	v_mov_b32_e32 v4, 0
	v_mov_b32_e32 v8, 1.0
	global_store_dword v4, v8, s[8:9]
.LBB11_30:
	s_or_b64 exec, exec, s[0:1]
	v_mov_b32_e32 v4, 0
	global_load_dword v4, v4, s[10:11]
	s_waitcnt vmcnt(0)
	v_mul_f32_e32 v8, v7, v4
	v_cmp_eq_f32_e64 s[0:1], 1.0, v4
	v_cndmask_b32_e64 v4, v8, v7, s[0:1]
.LBB11_31:
	s_or_b64 exec, exec, s[4:5]
	v_or_b32_e32 v7, 0x300, v0
	v_cmp_gt_i32_e64 s[0:1], s6, v7
	s_and_saveexec_b64 s[4:5], s[0:1]
	s_cbranch_execnz .LBB11_38
; %bb.32:
	s_or_b64 exec, exec, s[4:5]
	s_and_saveexec_b64 s[0:1], vcc
	s_xor_b64 s[0:1], exec, s[0:1]
	s_cbranch_execnz .LBB11_41
.LBB11_33:
	s_or_b64 exec, exec, s[0:1]
	v_cmp_gt_i32_e32 vcc, s6, v0
	s_and_saveexec_b64 s[0:1], vcc
	s_cbranch_execnz .LBB11_42
.LBB11_34:
	s_or_b64 exec, exec, s[0:1]
	v_cmp_gt_i32_e32 vcc, s6, v0
	s_and_saveexec_b64 s[0:1], vcc
	s_cbranch_execnz .LBB11_43
.LBB11_35:
	s_or_b64 exec, exec, s[0:1]
	v_cmp_gt_i32_e32 vcc, s6, v0
	s_and_saveexec_b64 s[0:1], vcc
	s_cbranch_execz .LBB11_37
.LBB11_36:
	v_add_u32_e32 v0, s2, v0
	v_mov_b32_e32 v1, 0
	v_lshlrev_b64 v[0:1], 2, v[0:1]
	v_mov_b32_e32 v2, s13
	v_add_co_u32_e32 v0, vcc, s12, v0
	v_addc_co_u32_e32 v1, vcc, v2, v1, vcc
	global_store_dword v[0:1], v5, off
.LBB11_37:
	s_endpgm
.LBB11_38:
	s_mov_b32 s0, 0x7f800000
	v_cmp_nlg_f32_e64 s[14:15], |v1|, s0
	s_and_saveexec_b64 s[0:1], s[14:15]
	s_cbranch_execz .LBB11_40
; %bb.39:
	v_mov_b32_e32 v5, 0
	v_mov_b32_e32 v7, 1.0
	global_store_dword v5, v7, s[8:9]
.LBB11_40:
	s_or_b64 exec, exec, s[0:1]
	v_mov_b32_e32 v5, 0
	global_load_dword v5, v5, s[10:11]
	s_waitcnt vmcnt(0)
	v_mul_f32_e32 v7, v1, v5
	v_cmp_eq_f32_e64 s[0:1], 1.0, v5
	v_cndmask_b32_e64 v5, v7, v1, s[0:1]
	s_or_b64 exec, exec, s[4:5]
	s_and_saveexec_b64 s[0:1], vcc
	s_xor_b64 s[0:1], exec, s[0:1]
	s_cbranch_execz .LBB11_33
.LBB11_41:
	v_mov_b32_e32 v7, 0
	v_lshlrev_b64 v[0:1], 2, v[6:7]
	v_mov_b32_e32 v6, s13
	v_add_co_u32_e32 v0, vcc, s12, v0
	v_addc_co_u32_e32 v1, vcc, v6, v1, vcc
	global_store_dword v[0:1], v2, off
	v_mov_b32_e32 v0, v9
	s_or_b64 exec, exec, s[0:1]
	v_cmp_gt_i32_e32 vcc, s6, v0
	s_and_saveexec_b64 s[0:1], vcc
	s_cbranch_execz .LBB11_34
.LBB11_42:
	v_add_u32_e32 v6, s2, v0
	v_mov_b32_e32 v7, 0
	v_lshlrev_b64 v[6:7], 2, v[6:7]
	v_mov_b32_e32 v1, s13
	v_add_co_u32_e32 v6, vcc, s12, v6
	v_addc_co_u32_e32 v7, vcc, v1, v7, vcc
	v_add_u32_e32 v0, 0x100, v0
	global_store_dword v[6:7], v3, off
	s_or_b64 exec, exec, s[0:1]
	v_cmp_gt_i32_e32 vcc, s6, v0
	s_and_saveexec_b64 s[0:1], vcc
	s_cbranch_execz .LBB11_35
.LBB11_43:
	v_add_u32_e32 v2, s2, v0
	v_mov_b32_e32 v3, 0
	v_lshlrev_b64 v[2:3], 2, v[2:3]
	v_mov_b32_e32 v1, s13
	v_add_co_u32_e32 v2, vcc, s12, v2
	v_addc_co_u32_e32 v3, vcc, v1, v3, vcc
	v_add_u32_e32 v0, 0x100, v0
	global_store_dword v[2:3], v4, off
	s_or_b64 exec, exec, s[0:1]
	v_cmp_gt_i32_e32 vcc, s6, v0
	s_and_saveexec_b64 s[0:1], vcc
	s_cbranch_execnz .LBB11_36
	s_branch .LBB11_37
	.section	.rodata,"a",@progbits
	.p2align	6, 0x0
	.amdhsa_kernel _ZN2at6native29vectorized_elementwise_kernelILi4EZZZNS0_12_GLOBAL__N_139_amp_non_finite_check_and_unscale_cuda_ERNS_6TensorES4_RKS3_ENKUlvE_clEvENKUlvE0_clEvEUlfE_St5arrayIPcLm2EEEEviT0_T1_
		.amdhsa_group_segment_fixed_size 0
		.amdhsa_private_segment_fixed_size 0
		.amdhsa_kernarg_size 40
		.amdhsa_user_sgpr_count 6
		.amdhsa_user_sgpr_private_segment_buffer 1
		.amdhsa_user_sgpr_dispatch_ptr 0
		.amdhsa_user_sgpr_queue_ptr 0
		.amdhsa_user_sgpr_kernarg_segment_ptr 1
		.amdhsa_user_sgpr_dispatch_id 0
		.amdhsa_user_sgpr_flat_scratch_init 0
		.amdhsa_user_sgpr_kernarg_preload_length 0
		.amdhsa_user_sgpr_kernarg_preload_offset 0
		.amdhsa_user_sgpr_private_segment_size 0
		.amdhsa_uses_dynamic_stack 0
		.amdhsa_system_sgpr_private_segment_wavefront_offset 0
		.amdhsa_system_sgpr_workgroup_id_x 1
		.amdhsa_system_sgpr_workgroup_id_y 0
		.amdhsa_system_sgpr_workgroup_id_z 0
		.amdhsa_system_sgpr_workgroup_info 0
		.amdhsa_system_vgpr_workitem_id 0
		.amdhsa_next_free_vgpr 14
		.amdhsa_next_free_sgpr 18
		.amdhsa_accum_offset 16
		.amdhsa_reserve_vcc 1
		.amdhsa_reserve_flat_scratch 0
		.amdhsa_float_round_mode_32 0
		.amdhsa_float_round_mode_16_64 0
		.amdhsa_float_denorm_mode_32 3
		.amdhsa_float_denorm_mode_16_64 3
		.amdhsa_dx10_clamp 1
		.amdhsa_ieee_mode 1
		.amdhsa_fp16_overflow 0
		.amdhsa_tg_split 0
		.amdhsa_exception_fp_ieee_invalid_op 0
		.amdhsa_exception_fp_denorm_src 0
		.amdhsa_exception_fp_ieee_div_zero 0
		.amdhsa_exception_fp_ieee_overflow 0
		.amdhsa_exception_fp_ieee_underflow 0
		.amdhsa_exception_fp_ieee_inexact 0
		.amdhsa_exception_int_div_zero 0
	.end_amdhsa_kernel
	.section	.text._ZN2at6native29vectorized_elementwise_kernelILi4EZZZNS0_12_GLOBAL__N_139_amp_non_finite_check_and_unscale_cuda_ERNS_6TensorES4_RKS3_ENKUlvE_clEvENKUlvE0_clEvEUlfE_St5arrayIPcLm2EEEEviT0_T1_,"axG",@progbits,_ZN2at6native29vectorized_elementwise_kernelILi4EZZZNS0_12_GLOBAL__N_139_amp_non_finite_check_and_unscale_cuda_ERNS_6TensorES4_RKS3_ENKUlvE_clEvENKUlvE0_clEvEUlfE_St5arrayIPcLm2EEEEviT0_T1_,comdat
.Lfunc_end11:
	.size	_ZN2at6native29vectorized_elementwise_kernelILi4EZZZNS0_12_GLOBAL__N_139_amp_non_finite_check_and_unscale_cuda_ERNS_6TensorES4_RKS3_ENKUlvE_clEvENKUlvE0_clEvEUlfE_St5arrayIPcLm2EEEEviT0_T1_, .Lfunc_end11-_ZN2at6native29vectorized_elementwise_kernelILi4EZZZNS0_12_GLOBAL__N_139_amp_non_finite_check_and_unscale_cuda_ERNS_6TensorES4_RKS3_ENKUlvE_clEvENKUlvE0_clEvEUlfE_St5arrayIPcLm2EEEEviT0_T1_
                                        ; -- End function
	.section	.AMDGPU.csdata,"",@progbits
; Kernel info:
; codeLenInByte = 1408
; NumSgprs: 22
; NumVgprs: 14
; NumAgprs: 0
; TotalNumVgprs: 14
; ScratchSize: 0
; MemoryBound: 0
; FloatMode: 240
; IeeeMode: 1
; LDSByteSize: 0 bytes/workgroup (compile time only)
; SGPRBlocks: 2
; VGPRBlocks: 1
; NumSGPRsForWavesPerEU: 22
; NumVGPRsForWavesPerEU: 14
; AccumOffset: 16
; Occupancy: 8
; WaveLimiterHint : 0
; COMPUTE_PGM_RSRC2:SCRATCH_EN: 0
; COMPUTE_PGM_RSRC2:USER_SGPR: 6
; COMPUTE_PGM_RSRC2:TRAP_HANDLER: 0
; COMPUTE_PGM_RSRC2:TGID_X_EN: 1
; COMPUTE_PGM_RSRC2:TGID_Y_EN: 0
; COMPUTE_PGM_RSRC2:TGID_Z_EN: 0
; COMPUTE_PGM_RSRC2:TIDIG_COMP_CNT: 0
; COMPUTE_PGM_RSRC3_GFX90A:ACCUM_OFFSET: 3
; COMPUTE_PGM_RSRC3_GFX90A:TG_SPLIT: 0
	.section	.text._ZN2at6native29vectorized_elementwise_kernelILi2EZZZNS0_12_GLOBAL__N_139_amp_non_finite_check_and_unscale_cuda_ERNS_6TensorES4_RKS3_ENKUlvE_clEvENKUlvE0_clEvEUlfE_St5arrayIPcLm2EEEEviT0_T1_,"axG",@progbits,_ZN2at6native29vectorized_elementwise_kernelILi2EZZZNS0_12_GLOBAL__N_139_amp_non_finite_check_and_unscale_cuda_ERNS_6TensorES4_RKS3_ENKUlvE_clEvENKUlvE0_clEvEUlfE_St5arrayIPcLm2EEEEviT0_T1_,comdat
	.globl	_ZN2at6native29vectorized_elementwise_kernelILi2EZZZNS0_12_GLOBAL__N_139_amp_non_finite_check_and_unscale_cuda_ERNS_6TensorES4_RKS3_ENKUlvE_clEvENKUlvE0_clEvEUlfE_St5arrayIPcLm2EEEEviT0_T1_ ; -- Begin function _ZN2at6native29vectorized_elementwise_kernelILi2EZZZNS0_12_GLOBAL__N_139_amp_non_finite_check_and_unscale_cuda_ERNS_6TensorES4_RKS3_ENKUlvE_clEvENKUlvE0_clEvEUlfE_St5arrayIPcLm2EEEEviT0_T1_
	.p2align	8
	.type	_ZN2at6native29vectorized_elementwise_kernelILi2EZZZNS0_12_GLOBAL__N_139_amp_non_finite_check_and_unscale_cuda_ERNS_6TensorES4_RKS3_ENKUlvE_clEvENKUlvE0_clEvEUlfE_St5arrayIPcLm2EEEEviT0_T1_,@function
_ZN2at6native29vectorized_elementwise_kernelILi2EZZZNS0_12_GLOBAL__N_139_amp_non_finite_check_and_unscale_cuda_ERNS_6TensorES4_RKS3_ENKUlvE_clEvENKUlvE0_clEvEUlfE_St5arrayIPcLm2EEEEviT0_T1_: ; @_ZN2at6native29vectorized_elementwise_kernelILi2EZZZNS0_12_GLOBAL__N_139_amp_non_finite_check_and_unscale_cuda_ERNS_6TensorES4_RKS3_ENKUlvE_clEvENKUlvE0_clEvEUlfE_St5arrayIPcLm2EEEEviT0_T1_
; %bb.0:
	s_load_dword s0, s[4:5], 0x0
	s_load_dwordx8 s[8:15], s[4:5], 0x8
	s_lshl_b32 s2, s6, 10
	s_waitcnt lgkmcnt(0)
	s_sub_i32 s6, s0, s2
	s_cmpk_gt_i32 s6, 0x3ff
	s_mov_b64 s[0:1], -1
	s_cbranch_scc0 .LBB12_10
; %bb.1:
	s_ashr_i32 s3, s2, 31
	s_lshl_b64 s[0:1], s[2:3], 2
	s_add_u32 s4, s14, s0
	s_addc_u32 s5, s15, s1
	v_lshlrev_b32_e32 v1, 3, v0
	global_load_dwordx2 v[4:5], v1, s[4:5]
	global_load_dwordx2 v[2:3], v1, s[4:5] offset:2048
	s_mov_b32 s3, 0x7f800000
	v_mov_b32_e32 v6, 0
	s_waitcnt vmcnt(1)
	v_cmp_nlg_f32_e64 s[16:17], |v4|, s3
	s_and_saveexec_b64 s[4:5], s[16:17]
	s_cbranch_execz .LBB12_3
; %bb.2:
	v_mov_b32_e32 v7, 1.0
	global_store_dword v6, v7, s[8:9]
.LBB12_3:
	s_or_b64 exec, exec, s[4:5]
	global_load_dword v6, v6, s[10:11]
	v_cmp_nlg_f32_e64 s[16:17], |v5|, s3
	s_waitcnt vmcnt(0)
	v_mov_b32_e32 v7, v6
	s_and_saveexec_b64 s[4:5], s[16:17]
	s_cbranch_execz .LBB12_5
; %bb.4:
	v_mov_b32_e32 v7, 0
	v_mov_b32_e32 v8, 1.0
	global_store_dword v7, v8, s[8:9]
	global_load_dword v7, v7, s[10:11]
.LBB12_5:
	s_or_b64 exec, exec, s[4:5]
	v_cmp_nlg_f32_e64 s[16:17], |v2|, s3
	s_waitcnt vmcnt(0)
	v_mov_b32_e32 v8, v7
	s_and_saveexec_b64 s[4:5], s[16:17]
	s_cbranch_execz .LBB12_7
; %bb.6:
	v_mov_b32_e32 v8, 0
	v_mov_b32_e32 v9, 1.0
	global_store_dword v8, v9, s[8:9]
	global_load_dword v8, v8, s[10:11]
.LBB12_7:
	s_or_b64 exec, exec, s[4:5]
	;; [unrolled: 12-line block ×3, first 2 shown]
	v_pk_mul_f32 v[10:11], v[4:5], v[6:7]
	v_cmp_eq_f32_e32 vcc, 1.0, v7
	v_cndmask_b32_e32 v5, v11, v5, vcc
	v_cmp_eq_f32_e32 vcc, 1.0, v6
	s_waitcnt vmcnt(0)
	v_pk_mul_f32 v[12:13], v[2:3], v[8:9]
	v_cndmask_b32_e32 v4, v10, v4, vcc
	v_cmp_eq_f32_e32 vcc, 1.0, v9
	s_add_u32 s0, s12, s0
	v_cndmask_b32_e32 v3, v13, v3, vcc
	v_cmp_eq_f32_e32 vcc, 1.0, v8
	s_addc_u32 s1, s13, s1
	v_cndmask_b32_e32 v2, v12, v2, vcc
	global_store_dwordx2 v1, v[4:5], s[0:1]
	global_store_dwordx2 v1, v[2:3], s[0:1] offset:2048
	s_mov_b64 s[0:1], 0
.LBB12_10:
	s_and_b64 vcc, exec, s[0:1]
	s_cbranch_vccz .LBB12_37
; %bb.11:
	v_cmp_gt_i32_e32 vcc, s6, v0
	v_mov_b32_e32 v8, 0
	v_or_b32_e32 v6, s2, v0
	v_mov_b32_e32 v9, 0
	v_mov_b32_e32 v2, v0
	s_and_saveexec_b64 s[4:5], vcc
	s_cbranch_execz .LBB12_13
; %bb.12:
	v_mov_b32_e32 v7, 0
	v_lshlrev_b64 v[2:3], 2, v[6:7]
	v_mov_b32_e32 v1, s15
	v_add_co_u32_e64 v2, s[0:1], s14, v2
	v_addc_co_u32_e64 v3, s[0:1], v1, v3, s[0:1]
	global_load_dword v9, v[2:3], off
	v_or_b32_e32 v2, 0x100, v0
.LBB12_13:
	s_or_b64 exec, exec, s[4:5]
	v_cmp_gt_i32_e64 s[0:1], s6, v2
	s_and_saveexec_b64 s[4:5], s[0:1]
	s_cbranch_execz .LBB12_15
; %bb.14:
	v_add_u32_e32 v4, s2, v2
	v_mov_b32_e32 v5, 0
	v_lshlrev_b64 v[4:5], 2, v[4:5]
	v_mov_b32_e32 v1, s15
	v_add_co_u32_e64 v4, s[0:1], s14, v4
	v_addc_co_u32_e64 v5, s[0:1], v1, v5, s[0:1]
	global_load_dword v8, v[4:5], off
	v_add_u32_e32 v2, 0x100, v2
.LBB12_15:
	s_or_b64 exec, exec, s[4:5]
	v_cmp_gt_i32_e64 s[0:1], s6, v2
	v_mov_b32_e32 v1, 0
	v_mov_b32_e32 v7, 0
	s_and_saveexec_b64 s[4:5], s[0:1]
	s_cbranch_execnz .LBB12_18
; %bb.16:
	s_or_b64 exec, exec, s[4:5]
	v_cmp_gt_i32_e64 s[0:1], s6, v2
	s_and_saveexec_b64 s[4:5], s[0:1]
	s_cbranch_execnz .LBB12_19
.LBB12_17:
	s_or_b64 exec, exec, s[4:5]
                                        ; implicit-def: $vgpr2_vgpr3_vgpr4_vgpr5
	s_and_saveexec_b64 s[4:5], vcc
	s_cbranch_execnz .LBB12_20
	s_branch .LBB12_23
.LBB12_18:
	v_add_u32_e32 v4, s2, v2
	v_mov_b32_e32 v5, 0
	v_lshlrev_b64 v[4:5], 2, v[4:5]
	v_mov_b32_e32 v3, s15
	v_add_co_u32_e64 v4, s[0:1], s14, v4
	v_addc_co_u32_e64 v5, s[0:1], v3, v5, s[0:1]
	global_load_dword v7, v[4:5], off
	v_add_u32_e32 v2, 0x100, v2
	s_or_b64 exec, exec, s[4:5]
	v_cmp_gt_i32_e64 s[0:1], s6, v2
	s_and_saveexec_b64 s[4:5], s[0:1]
	s_cbranch_execz .LBB12_17
.LBB12_19:
	v_add_u32_e32 v2, s2, v2
	v_mov_b32_e32 v3, 0
	v_lshlrev_b64 v[2:3], 2, v[2:3]
	v_mov_b32_e32 v1, s15
	v_add_co_u32_e64 v2, s[0:1], s14, v2
	v_addc_co_u32_e64 v3, s[0:1], v1, v3, s[0:1]
	global_load_dword v1, v[2:3], off
	s_or_b64 exec, exec, s[4:5]
                                        ; implicit-def: $vgpr2_vgpr3_vgpr4_vgpr5
	s_and_saveexec_b64 s[4:5], vcc
	s_cbranch_execz .LBB12_23
.LBB12_20:
	s_mov_b32 s0, 0x7f800000
	s_waitcnt vmcnt(0)
	v_cmp_nlg_f32_e64 s[14:15], |v9|, s0
	s_and_saveexec_b64 s[0:1], s[14:15]
	s_cbranch_execz .LBB12_22
; %bb.21:
	v_mov_b32_e32 v2, 0
	v_mov_b32_e32 v3, 1.0
	global_store_dword v2, v3, s[8:9]
.LBB12_22:
	s_or_b64 exec, exec, s[0:1]
	v_mov_b32_e32 v2, 0
	global_load_dword v2, v2, s[10:11]
	s_waitcnt vmcnt(0)
	v_mul_f32_e32 v3, v9, v2
	v_cmp_eq_f32_e64 s[0:1], 1.0, v2
	v_cndmask_b32_e64 v2, v3, v9, s[0:1]
.LBB12_23:
	s_or_b64 exec, exec, s[4:5]
	s_waitcnt vmcnt(0)
	v_or_b32_e32 v9, 0x100, v0
	v_cmp_gt_i32_e64 s[0:1], s6, v9
	s_and_saveexec_b64 s[4:5], s[0:1]
	s_cbranch_execz .LBB12_27
; %bb.24:
	s_mov_b32 s0, 0x7f800000
	v_cmp_nlg_f32_e64 s[14:15], |v8|, s0
	s_and_saveexec_b64 s[0:1], s[14:15]
	s_cbranch_execz .LBB12_26
; %bb.25:
	v_mov_b32_e32 v3, 0
	v_mov_b32_e32 v10, 1.0
	global_store_dword v3, v10, s[8:9]
.LBB12_26:
	s_or_b64 exec, exec, s[0:1]
	v_mov_b32_e32 v3, 0
	global_load_dword v3, v3, s[10:11]
	s_waitcnt vmcnt(0)
	v_mul_f32_e32 v10, v8, v3
	v_cmp_eq_f32_e64 s[0:1], 1.0, v3
	v_cndmask_b32_e64 v3, v10, v8, s[0:1]
.LBB12_27:
	s_or_b64 exec, exec, s[4:5]
	v_or_b32_e32 v8, 0x200, v0
	v_cmp_gt_i32_e64 s[0:1], s6, v8
	s_and_saveexec_b64 s[4:5], s[0:1]
	s_cbranch_execz .LBB12_31
; %bb.28:
	s_mov_b32 s0, 0x7f800000
	v_cmp_nlg_f32_e64 s[14:15], |v7|, s0
	s_and_saveexec_b64 s[0:1], s[14:15]
	s_cbranch_execz .LBB12_30
; %bb.29:
	v_mov_b32_e32 v4, 0
	v_mov_b32_e32 v8, 1.0
	global_store_dword v4, v8, s[8:9]
.LBB12_30:
	s_or_b64 exec, exec, s[0:1]
	v_mov_b32_e32 v4, 0
	global_load_dword v4, v4, s[10:11]
	s_waitcnt vmcnt(0)
	v_mul_f32_e32 v8, v7, v4
	v_cmp_eq_f32_e64 s[0:1], 1.0, v4
	v_cndmask_b32_e64 v4, v8, v7, s[0:1]
.LBB12_31:
	s_or_b64 exec, exec, s[4:5]
	v_or_b32_e32 v7, 0x300, v0
	v_cmp_gt_i32_e64 s[0:1], s6, v7
	s_and_saveexec_b64 s[4:5], s[0:1]
	s_cbranch_execnz .LBB12_38
; %bb.32:
	s_or_b64 exec, exec, s[4:5]
	s_and_saveexec_b64 s[0:1], vcc
	s_xor_b64 s[0:1], exec, s[0:1]
	s_cbranch_execnz .LBB12_41
.LBB12_33:
	s_or_b64 exec, exec, s[0:1]
	v_cmp_gt_i32_e32 vcc, s6, v0
	s_and_saveexec_b64 s[0:1], vcc
	s_cbranch_execnz .LBB12_42
.LBB12_34:
	s_or_b64 exec, exec, s[0:1]
	v_cmp_gt_i32_e32 vcc, s6, v0
	s_and_saveexec_b64 s[0:1], vcc
	s_cbranch_execnz .LBB12_43
.LBB12_35:
	s_or_b64 exec, exec, s[0:1]
	v_cmp_gt_i32_e32 vcc, s6, v0
	s_and_saveexec_b64 s[0:1], vcc
	s_cbranch_execz .LBB12_37
.LBB12_36:
	v_add_u32_e32 v0, s2, v0
	v_mov_b32_e32 v1, 0
	v_lshlrev_b64 v[0:1], 2, v[0:1]
	v_mov_b32_e32 v2, s13
	v_add_co_u32_e32 v0, vcc, s12, v0
	v_addc_co_u32_e32 v1, vcc, v2, v1, vcc
	global_store_dword v[0:1], v5, off
.LBB12_37:
	s_endpgm
.LBB12_38:
	s_mov_b32 s0, 0x7f800000
	v_cmp_nlg_f32_e64 s[14:15], |v1|, s0
	s_and_saveexec_b64 s[0:1], s[14:15]
	s_cbranch_execz .LBB12_40
; %bb.39:
	v_mov_b32_e32 v5, 0
	v_mov_b32_e32 v7, 1.0
	global_store_dword v5, v7, s[8:9]
.LBB12_40:
	s_or_b64 exec, exec, s[0:1]
	v_mov_b32_e32 v5, 0
	global_load_dword v5, v5, s[10:11]
	s_waitcnt vmcnt(0)
	v_mul_f32_e32 v7, v1, v5
	v_cmp_eq_f32_e64 s[0:1], 1.0, v5
	v_cndmask_b32_e64 v5, v7, v1, s[0:1]
	s_or_b64 exec, exec, s[4:5]
	s_and_saveexec_b64 s[0:1], vcc
	s_xor_b64 s[0:1], exec, s[0:1]
	s_cbranch_execz .LBB12_33
.LBB12_41:
	v_mov_b32_e32 v7, 0
	v_lshlrev_b64 v[0:1], 2, v[6:7]
	v_mov_b32_e32 v6, s13
	v_add_co_u32_e32 v0, vcc, s12, v0
	v_addc_co_u32_e32 v1, vcc, v6, v1, vcc
	global_store_dword v[0:1], v2, off
	v_mov_b32_e32 v0, v9
	s_or_b64 exec, exec, s[0:1]
	v_cmp_gt_i32_e32 vcc, s6, v0
	s_and_saveexec_b64 s[0:1], vcc
	s_cbranch_execz .LBB12_34
.LBB12_42:
	v_add_u32_e32 v6, s2, v0
	v_mov_b32_e32 v7, 0
	v_lshlrev_b64 v[6:7], 2, v[6:7]
	v_mov_b32_e32 v1, s13
	v_add_co_u32_e32 v6, vcc, s12, v6
	v_addc_co_u32_e32 v7, vcc, v1, v7, vcc
	v_add_u32_e32 v0, 0x100, v0
	global_store_dword v[6:7], v3, off
	s_or_b64 exec, exec, s[0:1]
	v_cmp_gt_i32_e32 vcc, s6, v0
	s_and_saveexec_b64 s[0:1], vcc
	s_cbranch_execz .LBB12_35
.LBB12_43:
	v_add_u32_e32 v2, s2, v0
	v_mov_b32_e32 v3, 0
	v_lshlrev_b64 v[2:3], 2, v[2:3]
	v_mov_b32_e32 v1, s13
	v_add_co_u32_e32 v2, vcc, s12, v2
	v_addc_co_u32_e32 v3, vcc, v1, v3, vcc
	v_add_u32_e32 v0, 0x100, v0
	global_store_dword v[2:3], v4, off
	s_or_b64 exec, exec, s[0:1]
	v_cmp_gt_i32_e32 vcc, s6, v0
	s_and_saveexec_b64 s[0:1], vcc
	s_cbranch_execnz .LBB12_36
	s_branch .LBB12_37
	.section	.rodata,"a",@progbits
	.p2align	6, 0x0
	.amdhsa_kernel _ZN2at6native29vectorized_elementwise_kernelILi2EZZZNS0_12_GLOBAL__N_139_amp_non_finite_check_and_unscale_cuda_ERNS_6TensorES4_RKS3_ENKUlvE_clEvENKUlvE0_clEvEUlfE_St5arrayIPcLm2EEEEviT0_T1_
		.amdhsa_group_segment_fixed_size 0
		.amdhsa_private_segment_fixed_size 0
		.amdhsa_kernarg_size 40
		.amdhsa_user_sgpr_count 6
		.amdhsa_user_sgpr_private_segment_buffer 1
		.amdhsa_user_sgpr_dispatch_ptr 0
		.amdhsa_user_sgpr_queue_ptr 0
		.amdhsa_user_sgpr_kernarg_segment_ptr 1
		.amdhsa_user_sgpr_dispatch_id 0
		.amdhsa_user_sgpr_flat_scratch_init 0
		.amdhsa_user_sgpr_kernarg_preload_length 0
		.amdhsa_user_sgpr_kernarg_preload_offset 0
		.amdhsa_user_sgpr_private_segment_size 0
		.amdhsa_uses_dynamic_stack 0
		.amdhsa_system_sgpr_private_segment_wavefront_offset 0
		.amdhsa_system_sgpr_workgroup_id_x 1
		.amdhsa_system_sgpr_workgroup_id_y 0
		.amdhsa_system_sgpr_workgroup_id_z 0
		.amdhsa_system_sgpr_workgroup_info 0
		.amdhsa_system_vgpr_workitem_id 0
		.amdhsa_next_free_vgpr 14
		.amdhsa_next_free_sgpr 18
		.amdhsa_accum_offset 16
		.amdhsa_reserve_vcc 1
		.amdhsa_reserve_flat_scratch 0
		.amdhsa_float_round_mode_32 0
		.amdhsa_float_round_mode_16_64 0
		.amdhsa_float_denorm_mode_32 3
		.amdhsa_float_denorm_mode_16_64 3
		.amdhsa_dx10_clamp 1
		.amdhsa_ieee_mode 1
		.amdhsa_fp16_overflow 0
		.amdhsa_tg_split 0
		.amdhsa_exception_fp_ieee_invalid_op 0
		.amdhsa_exception_fp_denorm_src 0
		.amdhsa_exception_fp_ieee_div_zero 0
		.amdhsa_exception_fp_ieee_overflow 0
		.amdhsa_exception_fp_ieee_underflow 0
		.amdhsa_exception_fp_ieee_inexact 0
		.amdhsa_exception_int_div_zero 0
	.end_amdhsa_kernel
	.section	.text._ZN2at6native29vectorized_elementwise_kernelILi2EZZZNS0_12_GLOBAL__N_139_amp_non_finite_check_and_unscale_cuda_ERNS_6TensorES4_RKS3_ENKUlvE_clEvENKUlvE0_clEvEUlfE_St5arrayIPcLm2EEEEviT0_T1_,"axG",@progbits,_ZN2at6native29vectorized_elementwise_kernelILi2EZZZNS0_12_GLOBAL__N_139_amp_non_finite_check_and_unscale_cuda_ERNS_6TensorES4_RKS3_ENKUlvE_clEvENKUlvE0_clEvEUlfE_St5arrayIPcLm2EEEEviT0_T1_,comdat
.Lfunc_end12:
	.size	_ZN2at6native29vectorized_elementwise_kernelILi2EZZZNS0_12_GLOBAL__N_139_amp_non_finite_check_and_unscale_cuda_ERNS_6TensorES4_RKS3_ENKUlvE_clEvENKUlvE0_clEvEUlfE_St5arrayIPcLm2EEEEviT0_T1_, .Lfunc_end12-_ZN2at6native29vectorized_elementwise_kernelILi2EZZZNS0_12_GLOBAL__N_139_amp_non_finite_check_and_unscale_cuda_ERNS_6TensorES4_RKS3_ENKUlvE_clEvENKUlvE0_clEvEUlfE_St5arrayIPcLm2EEEEviT0_T1_
                                        ; -- End function
	.section	.AMDGPU.csdata,"",@progbits
; Kernel info:
; codeLenInByte = 1424
; NumSgprs: 22
; NumVgprs: 14
; NumAgprs: 0
; TotalNumVgprs: 14
; ScratchSize: 0
; MemoryBound: 0
; FloatMode: 240
; IeeeMode: 1
; LDSByteSize: 0 bytes/workgroup (compile time only)
; SGPRBlocks: 2
; VGPRBlocks: 1
; NumSGPRsForWavesPerEU: 22
; NumVGPRsForWavesPerEU: 14
; AccumOffset: 16
; Occupancy: 8
; WaveLimiterHint : 1
; COMPUTE_PGM_RSRC2:SCRATCH_EN: 0
; COMPUTE_PGM_RSRC2:USER_SGPR: 6
; COMPUTE_PGM_RSRC2:TRAP_HANDLER: 0
; COMPUTE_PGM_RSRC2:TGID_X_EN: 1
; COMPUTE_PGM_RSRC2:TGID_Y_EN: 0
; COMPUTE_PGM_RSRC2:TGID_Z_EN: 0
; COMPUTE_PGM_RSRC2:TIDIG_COMP_CNT: 0
; COMPUTE_PGM_RSRC3_GFX90A:ACCUM_OFFSET: 3
; COMPUTE_PGM_RSRC3_GFX90A:TG_SPLIT: 0
	.section	.text._ZN2at6native27unrolled_elementwise_kernelIZZZNS0_12_GLOBAL__N_139_amp_non_finite_check_and_unscale_cuda_ERNS_6TensorES4_RKS3_ENKUlvE_clEvENKUlvE0_clEvEUlfE_St5arrayIPcLm2EELi4E23TrivialOffsetCalculatorILi1EjESE_NS0_6memory15LoadWithoutCastENSF_16StoreWithoutCastEEEviT_T0_T2_T3_T4_T5_,"axG",@progbits,_ZN2at6native27unrolled_elementwise_kernelIZZZNS0_12_GLOBAL__N_139_amp_non_finite_check_and_unscale_cuda_ERNS_6TensorES4_RKS3_ENKUlvE_clEvENKUlvE0_clEvEUlfE_St5arrayIPcLm2EELi4E23TrivialOffsetCalculatorILi1EjESE_NS0_6memory15LoadWithoutCastENSF_16StoreWithoutCastEEEviT_T0_T2_T3_T4_T5_,comdat
	.globl	_ZN2at6native27unrolled_elementwise_kernelIZZZNS0_12_GLOBAL__N_139_amp_non_finite_check_and_unscale_cuda_ERNS_6TensorES4_RKS3_ENKUlvE_clEvENKUlvE0_clEvEUlfE_St5arrayIPcLm2EELi4E23TrivialOffsetCalculatorILi1EjESE_NS0_6memory15LoadWithoutCastENSF_16StoreWithoutCastEEEviT_T0_T2_T3_T4_T5_ ; -- Begin function _ZN2at6native27unrolled_elementwise_kernelIZZZNS0_12_GLOBAL__N_139_amp_non_finite_check_and_unscale_cuda_ERNS_6TensorES4_RKS3_ENKUlvE_clEvENKUlvE0_clEvEUlfE_St5arrayIPcLm2EELi4E23TrivialOffsetCalculatorILi1EjESE_NS0_6memory15LoadWithoutCastENSF_16StoreWithoutCastEEEviT_T0_T2_T3_T4_T5_
	.p2align	8
	.type	_ZN2at6native27unrolled_elementwise_kernelIZZZNS0_12_GLOBAL__N_139_amp_non_finite_check_and_unscale_cuda_ERNS_6TensorES4_RKS3_ENKUlvE_clEvENKUlvE0_clEvEUlfE_St5arrayIPcLm2EELi4E23TrivialOffsetCalculatorILi1EjESE_NS0_6memory15LoadWithoutCastENSF_16StoreWithoutCastEEEviT_T0_T2_T3_T4_T5_,@function
_ZN2at6native27unrolled_elementwise_kernelIZZZNS0_12_GLOBAL__N_139_amp_non_finite_check_and_unscale_cuda_ERNS_6TensorES4_RKS3_ENKUlvE_clEvENKUlvE0_clEvEUlfE_St5arrayIPcLm2EELi4E23TrivialOffsetCalculatorILi1EjESE_NS0_6memory15LoadWithoutCastENSF_16StoreWithoutCastEEEviT_T0_T2_T3_T4_T5_: ; @_ZN2at6native27unrolled_elementwise_kernelIZZZNS0_12_GLOBAL__N_139_amp_non_finite_check_and_unscale_cuda_ERNS_6TensorES4_RKS3_ENKUlvE_clEvENKUlvE0_clEvEUlfE_St5arrayIPcLm2EELi4E23TrivialOffsetCalculatorILi1EjESE_NS0_6memory15LoadWithoutCastENSF_16StoreWithoutCastEEEviT_T0_T2_T3_T4_T5_
; %bb.0:
	s_load_dword s0, s[4:5], 0x0
	s_load_dwordx8 s[8:15], s[4:5], 0x8
	s_lshl_b32 s4, s6, 10
	v_mov_b32_e32 v8, 0
	v_or_b32_e32 v6, s4, v0
	s_waitcnt lgkmcnt(0)
	s_sub_i32 s5, s0, s4
	v_cmp_gt_i32_e32 vcc, s5, v0
	v_mov_b32_e32 v9, 0
	v_mov_b32_e32 v2, v0
	s_and_saveexec_b64 s[2:3], vcc
	s_cbranch_execz .LBB13_2
; %bb.1:
	v_mov_b32_e32 v7, 0
	v_lshlrev_b64 v[2:3], 2, v[6:7]
	v_mov_b32_e32 v1, s15
	v_add_co_u32_e64 v2, s[0:1], s14, v2
	v_addc_co_u32_e64 v3, s[0:1], v1, v3, s[0:1]
	global_load_dword v9, v[2:3], off
	v_or_b32_e32 v2, 0x100, v0
.LBB13_2:
	s_or_b64 exec, exec, s[2:3]
	v_cmp_gt_i32_e64 s[0:1], s5, v2
	s_and_saveexec_b64 s[2:3], s[0:1]
	s_cbranch_execz .LBB13_4
; %bb.3:
	v_add_u32_e32 v4, s4, v2
	v_mov_b32_e32 v5, 0
	v_lshlrev_b64 v[4:5], 2, v[4:5]
	v_mov_b32_e32 v1, s15
	v_add_co_u32_e64 v4, s[0:1], s14, v4
	v_addc_co_u32_e64 v5, s[0:1], v1, v5, s[0:1]
	global_load_dword v8, v[4:5], off
	v_add_u32_e32 v2, 0x100, v2
.LBB13_4:
	s_or_b64 exec, exec, s[2:3]
	v_cmp_gt_i32_e64 s[0:1], s5, v2
	v_mov_b32_e32 v1, 0
	v_mov_b32_e32 v7, 0
	s_and_saveexec_b64 s[2:3], s[0:1]
	s_cbranch_execnz .LBB13_7
; %bb.5:
	s_or_b64 exec, exec, s[2:3]
	v_cmp_gt_i32_e64 s[0:1], s5, v2
	s_and_saveexec_b64 s[2:3], s[0:1]
	s_cbranch_execnz .LBB13_8
.LBB13_6:
	s_or_b64 exec, exec, s[2:3]
                                        ; implicit-def: $vgpr2_vgpr3_vgpr4_vgpr5
	s_and_saveexec_b64 s[2:3], vcc
	s_cbranch_execnz .LBB13_9
	s_branch .LBB13_12
.LBB13_7:
	v_add_u32_e32 v4, s4, v2
	v_mov_b32_e32 v5, 0
	v_lshlrev_b64 v[4:5], 2, v[4:5]
	v_mov_b32_e32 v3, s15
	v_add_co_u32_e64 v4, s[0:1], s14, v4
	v_addc_co_u32_e64 v5, s[0:1], v3, v5, s[0:1]
	global_load_dword v7, v[4:5], off
	v_add_u32_e32 v2, 0x100, v2
	s_or_b64 exec, exec, s[2:3]
	v_cmp_gt_i32_e64 s[0:1], s5, v2
	s_and_saveexec_b64 s[2:3], s[0:1]
	s_cbranch_execz .LBB13_6
.LBB13_8:
	v_add_u32_e32 v2, s4, v2
	v_mov_b32_e32 v3, 0
	v_lshlrev_b64 v[2:3], 2, v[2:3]
	v_mov_b32_e32 v1, s15
	v_add_co_u32_e64 v2, s[0:1], s14, v2
	v_addc_co_u32_e64 v3, s[0:1], v1, v3, s[0:1]
	global_load_dword v1, v[2:3], off
	s_or_b64 exec, exec, s[2:3]
                                        ; implicit-def: $vgpr2_vgpr3_vgpr4_vgpr5
	s_and_saveexec_b64 s[2:3], vcc
	s_cbranch_execz .LBB13_12
.LBB13_9:
	s_mov_b32 s0, 0x7f800000
	s_waitcnt vmcnt(0)
	v_cmp_nlg_f32_e64 s[6:7], |v9|, s0
	s_and_saveexec_b64 s[0:1], s[6:7]
	s_cbranch_execz .LBB13_11
; %bb.10:
	v_mov_b32_e32 v2, 0
	v_mov_b32_e32 v3, 1.0
	global_store_dword v2, v3, s[8:9]
.LBB13_11:
	s_or_b64 exec, exec, s[0:1]
	v_mov_b32_e32 v2, 0
	global_load_dword v2, v2, s[10:11]
	s_waitcnt vmcnt(0)
	v_mul_f32_e32 v3, v9, v2
	v_cmp_eq_f32_e64 s[0:1], 1.0, v2
	v_cndmask_b32_e64 v2, v3, v9, s[0:1]
.LBB13_12:
	s_or_b64 exec, exec, s[2:3]
	s_waitcnt vmcnt(0)
	v_or_b32_e32 v9, 0x100, v0
	v_cmp_gt_i32_e64 s[0:1], s5, v9
	s_and_saveexec_b64 s[2:3], s[0:1]
	s_cbranch_execz .LBB13_16
; %bb.13:
	s_mov_b32 s0, 0x7f800000
	v_cmp_nlg_f32_e64 s[6:7], |v8|, s0
	s_and_saveexec_b64 s[0:1], s[6:7]
	s_cbranch_execz .LBB13_15
; %bb.14:
	v_mov_b32_e32 v3, 0
	v_mov_b32_e32 v10, 1.0
	global_store_dword v3, v10, s[8:9]
.LBB13_15:
	s_or_b64 exec, exec, s[0:1]
	v_mov_b32_e32 v3, 0
	global_load_dword v3, v3, s[10:11]
	s_waitcnt vmcnt(0)
	v_mul_f32_e32 v10, v8, v3
	v_cmp_eq_f32_e64 s[0:1], 1.0, v3
	v_cndmask_b32_e64 v3, v10, v8, s[0:1]
.LBB13_16:
	s_or_b64 exec, exec, s[2:3]
	v_or_b32_e32 v8, 0x200, v0
	v_cmp_gt_i32_e64 s[0:1], s5, v8
	s_and_saveexec_b64 s[2:3], s[0:1]
	s_cbranch_execz .LBB13_20
; %bb.17:
	s_mov_b32 s0, 0x7f800000
	v_cmp_nlg_f32_e64 s[6:7], |v7|, s0
	s_and_saveexec_b64 s[0:1], s[6:7]
	s_cbranch_execz .LBB13_19
; %bb.18:
	v_mov_b32_e32 v4, 0
	v_mov_b32_e32 v8, 1.0
	global_store_dword v4, v8, s[8:9]
.LBB13_19:
	s_or_b64 exec, exec, s[0:1]
	v_mov_b32_e32 v4, 0
	global_load_dword v4, v4, s[10:11]
	s_waitcnt vmcnt(0)
	v_mul_f32_e32 v8, v7, v4
	v_cmp_eq_f32_e64 s[0:1], 1.0, v4
	v_cndmask_b32_e64 v4, v8, v7, s[0:1]
.LBB13_20:
	s_or_b64 exec, exec, s[2:3]
	v_or_b32_e32 v7, 0x300, v0
	v_cmp_gt_i32_e64 s[0:1], s5, v7
	s_and_saveexec_b64 s[2:3], s[0:1]
	s_cbranch_execnz .LBB13_26
; %bb.21:
	s_or_b64 exec, exec, s[2:3]
	s_and_saveexec_b64 s[0:1], vcc
	s_xor_b64 s[0:1], exec, s[0:1]
	s_cbranch_execnz .LBB13_29
.LBB13_22:
	s_or_b64 exec, exec, s[0:1]
	v_cmp_gt_i32_e32 vcc, s5, v0
	s_and_saveexec_b64 s[0:1], vcc
	s_cbranch_execnz .LBB13_30
.LBB13_23:
	s_or_b64 exec, exec, s[0:1]
	v_cmp_gt_i32_e32 vcc, s5, v0
	s_and_saveexec_b64 s[0:1], vcc
	s_cbranch_execnz .LBB13_31
.LBB13_24:
	s_or_b64 exec, exec, s[0:1]
	v_cmp_gt_i32_e32 vcc, s5, v0
	s_and_saveexec_b64 s[0:1], vcc
	s_cbranch_execnz .LBB13_32
.LBB13_25:
	s_endpgm
.LBB13_26:
	s_mov_b32 s0, 0x7f800000
	v_cmp_nlg_f32_e64 s[6:7], |v1|, s0
	s_and_saveexec_b64 s[0:1], s[6:7]
	s_cbranch_execz .LBB13_28
; %bb.27:
	v_mov_b32_e32 v5, 0
	v_mov_b32_e32 v7, 1.0
	global_store_dword v5, v7, s[8:9]
.LBB13_28:
	s_or_b64 exec, exec, s[0:1]
	v_mov_b32_e32 v5, 0
	global_load_dword v5, v5, s[10:11]
	s_waitcnt vmcnt(0)
	v_mul_f32_e32 v7, v1, v5
	v_cmp_eq_f32_e64 s[0:1], 1.0, v5
	v_cndmask_b32_e64 v5, v7, v1, s[0:1]
	s_or_b64 exec, exec, s[2:3]
	s_and_saveexec_b64 s[0:1], vcc
	s_xor_b64 s[0:1], exec, s[0:1]
	s_cbranch_execz .LBB13_22
.LBB13_29:
	v_mov_b32_e32 v7, 0
	v_lshlrev_b64 v[0:1], 2, v[6:7]
	v_mov_b32_e32 v6, s13
	v_add_co_u32_e32 v0, vcc, s12, v0
	v_addc_co_u32_e32 v1, vcc, v6, v1, vcc
	global_store_dword v[0:1], v2, off
	v_mov_b32_e32 v0, v9
	s_or_b64 exec, exec, s[0:1]
	v_cmp_gt_i32_e32 vcc, s5, v0
	s_and_saveexec_b64 s[0:1], vcc
	s_cbranch_execz .LBB13_23
.LBB13_30:
	v_add_u32_e32 v2, 0x100, v0
	v_add_u32_e32 v0, s4, v0
	v_mov_b32_e32 v1, 0
	v_lshlrev_b64 v[0:1], 2, v[0:1]
	v_mov_b32_e32 v6, s13
	v_add_co_u32_e32 v0, vcc, s12, v0
	v_addc_co_u32_e32 v1, vcc, v6, v1, vcc
	global_store_dword v[0:1], v3, off
	v_mov_b32_e32 v0, v2
	s_or_b64 exec, exec, s[0:1]
	v_cmp_gt_i32_e32 vcc, s5, v0
	s_and_saveexec_b64 s[0:1], vcc
	s_cbranch_execz .LBB13_24
.LBB13_31:
	v_add_u32_e32 v2, 0x100, v0
	v_add_u32_e32 v0, s4, v0
	v_mov_b32_e32 v1, 0
	v_lshlrev_b64 v[0:1], 2, v[0:1]
	v_mov_b32_e32 v3, s13
	v_add_co_u32_e32 v0, vcc, s12, v0
	v_addc_co_u32_e32 v1, vcc, v3, v1, vcc
	global_store_dword v[0:1], v4, off
	v_mov_b32_e32 v0, v2
	s_or_b64 exec, exec, s[0:1]
	v_cmp_gt_i32_e32 vcc, s5, v0
	s_and_saveexec_b64 s[0:1], vcc
	s_cbranch_execz .LBB13_25
.LBB13_32:
	v_add_u32_e32 v0, s4, v0
	v_mov_b32_e32 v1, 0
	v_lshlrev_b64 v[0:1], 2, v[0:1]
	v_mov_b32_e32 v2, s13
	v_add_co_u32_e32 v0, vcc, s12, v0
	v_addc_co_u32_e32 v1, vcc, v2, v1, vcc
	global_store_dword v[0:1], v5, off
	s_endpgm
	.section	.rodata,"a",@progbits
	.p2align	6, 0x0
	.amdhsa_kernel _ZN2at6native27unrolled_elementwise_kernelIZZZNS0_12_GLOBAL__N_139_amp_non_finite_check_and_unscale_cuda_ERNS_6TensorES4_RKS3_ENKUlvE_clEvENKUlvE0_clEvEUlfE_St5arrayIPcLm2EELi4E23TrivialOffsetCalculatorILi1EjESE_NS0_6memory15LoadWithoutCastENSF_16StoreWithoutCastEEEviT_T0_T2_T3_T4_T5_
		.amdhsa_group_segment_fixed_size 0
		.amdhsa_private_segment_fixed_size 0
		.amdhsa_kernarg_size 44
		.amdhsa_user_sgpr_count 6
		.amdhsa_user_sgpr_private_segment_buffer 1
		.amdhsa_user_sgpr_dispatch_ptr 0
		.amdhsa_user_sgpr_queue_ptr 0
		.amdhsa_user_sgpr_kernarg_segment_ptr 1
		.amdhsa_user_sgpr_dispatch_id 0
		.amdhsa_user_sgpr_flat_scratch_init 0
		.amdhsa_user_sgpr_kernarg_preload_length 0
		.amdhsa_user_sgpr_kernarg_preload_offset 0
		.amdhsa_user_sgpr_private_segment_size 0
		.amdhsa_uses_dynamic_stack 0
		.amdhsa_system_sgpr_private_segment_wavefront_offset 0
		.amdhsa_system_sgpr_workgroup_id_x 1
		.amdhsa_system_sgpr_workgroup_id_y 0
		.amdhsa_system_sgpr_workgroup_id_z 0
		.amdhsa_system_sgpr_workgroup_info 0
		.amdhsa_system_vgpr_workitem_id 0
		.amdhsa_next_free_vgpr 11
		.amdhsa_next_free_sgpr 16
		.amdhsa_accum_offset 12
		.amdhsa_reserve_vcc 1
		.amdhsa_reserve_flat_scratch 0
		.amdhsa_float_round_mode_32 0
		.amdhsa_float_round_mode_16_64 0
		.amdhsa_float_denorm_mode_32 3
		.amdhsa_float_denorm_mode_16_64 3
		.amdhsa_dx10_clamp 1
		.amdhsa_ieee_mode 1
		.amdhsa_fp16_overflow 0
		.amdhsa_tg_split 0
		.amdhsa_exception_fp_ieee_invalid_op 0
		.amdhsa_exception_fp_denorm_src 0
		.amdhsa_exception_fp_ieee_div_zero 0
		.amdhsa_exception_fp_ieee_overflow 0
		.amdhsa_exception_fp_ieee_underflow 0
		.amdhsa_exception_fp_ieee_inexact 0
		.amdhsa_exception_int_div_zero 0
	.end_amdhsa_kernel
	.section	.text._ZN2at6native27unrolled_elementwise_kernelIZZZNS0_12_GLOBAL__N_139_amp_non_finite_check_and_unscale_cuda_ERNS_6TensorES4_RKS3_ENKUlvE_clEvENKUlvE0_clEvEUlfE_St5arrayIPcLm2EELi4E23TrivialOffsetCalculatorILi1EjESE_NS0_6memory15LoadWithoutCastENSF_16StoreWithoutCastEEEviT_T0_T2_T3_T4_T5_,"axG",@progbits,_ZN2at6native27unrolled_elementwise_kernelIZZZNS0_12_GLOBAL__N_139_amp_non_finite_check_and_unscale_cuda_ERNS_6TensorES4_RKS3_ENKUlvE_clEvENKUlvE0_clEvEUlfE_St5arrayIPcLm2EELi4E23TrivialOffsetCalculatorILi1EjESE_NS0_6memory15LoadWithoutCastENSF_16StoreWithoutCastEEEviT_T0_T2_T3_T4_T5_,comdat
.Lfunc_end13:
	.size	_ZN2at6native27unrolled_elementwise_kernelIZZZNS0_12_GLOBAL__N_139_amp_non_finite_check_and_unscale_cuda_ERNS_6TensorES4_RKS3_ENKUlvE_clEvENKUlvE0_clEvEUlfE_St5arrayIPcLm2EELi4E23TrivialOffsetCalculatorILi1EjESE_NS0_6memory15LoadWithoutCastENSF_16StoreWithoutCastEEEviT_T0_T2_T3_T4_T5_, .Lfunc_end13-_ZN2at6native27unrolled_elementwise_kernelIZZZNS0_12_GLOBAL__N_139_amp_non_finite_check_and_unscale_cuda_ERNS_6TensorES4_RKS3_ENKUlvE_clEvENKUlvE0_clEvEUlfE_St5arrayIPcLm2EELi4E23TrivialOffsetCalculatorILi1EjESE_NS0_6memory15LoadWithoutCastENSF_16StoreWithoutCastEEEviT_T0_T2_T3_T4_T5_
                                        ; -- End function
	.section	.AMDGPU.csdata,"",@progbits
; Kernel info:
; codeLenInByte = 1084
; NumSgprs: 20
; NumVgprs: 11
; NumAgprs: 0
; TotalNumVgprs: 11
; ScratchSize: 0
; MemoryBound: 0
; FloatMode: 240
; IeeeMode: 1
; LDSByteSize: 0 bytes/workgroup (compile time only)
; SGPRBlocks: 2
; VGPRBlocks: 1
; NumSGPRsForWavesPerEU: 20
; NumVGPRsForWavesPerEU: 11
; AccumOffset: 12
; Occupancy: 8
; WaveLimiterHint : 0
; COMPUTE_PGM_RSRC2:SCRATCH_EN: 0
; COMPUTE_PGM_RSRC2:USER_SGPR: 6
; COMPUTE_PGM_RSRC2:TRAP_HANDLER: 0
; COMPUTE_PGM_RSRC2:TGID_X_EN: 1
; COMPUTE_PGM_RSRC2:TGID_Y_EN: 0
; COMPUTE_PGM_RSRC2:TGID_Z_EN: 0
; COMPUTE_PGM_RSRC2:TIDIG_COMP_CNT: 0
; COMPUTE_PGM_RSRC3_GFX90A:ACCUM_OFFSET: 2
; COMPUTE_PGM_RSRC3_GFX90A:TG_SPLIT: 0
	.section	.text._ZN2at6native32elementwise_kernel_manual_unrollILi128ELi4EZNS0_22gpu_kernel_impl_nocastIZZZNS0_12_GLOBAL__N_139_amp_non_finite_check_and_unscale_cuda_ERNS_6TensorES5_RKS4_ENKUlvE_clEvENKUlvE0_clEvEUlfE_EEvRNS_18TensorIteratorBaseERKT_EUlibE_EEviT1_,"axG",@progbits,_ZN2at6native32elementwise_kernel_manual_unrollILi128ELi4EZNS0_22gpu_kernel_impl_nocastIZZZNS0_12_GLOBAL__N_139_amp_non_finite_check_and_unscale_cuda_ERNS_6TensorES5_RKS4_ENKUlvE_clEvENKUlvE0_clEvEUlfE_EEvRNS_18TensorIteratorBaseERKT_EUlibE_EEviT1_,comdat
	.globl	_ZN2at6native32elementwise_kernel_manual_unrollILi128ELi4EZNS0_22gpu_kernel_impl_nocastIZZZNS0_12_GLOBAL__N_139_amp_non_finite_check_and_unscale_cuda_ERNS_6TensorES5_RKS4_ENKUlvE_clEvENKUlvE0_clEvEUlfE_EEvRNS_18TensorIteratorBaseERKT_EUlibE_EEviT1_ ; -- Begin function _ZN2at6native32elementwise_kernel_manual_unrollILi128ELi4EZNS0_22gpu_kernel_impl_nocastIZZZNS0_12_GLOBAL__N_139_amp_non_finite_check_and_unscale_cuda_ERNS_6TensorES5_RKS4_ENKUlvE_clEvENKUlvE0_clEvEUlfE_EEvRNS_18TensorIteratorBaseERKT_EUlibE_EEviT1_
	.p2align	8
	.type	_ZN2at6native32elementwise_kernel_manual_unrollILi128ELi4EZNS0_22gpu_kernel_impl_nocastIZZZNS0_12_GLOBAL__N_139_amp_non_finite_check_and_unscale_cuda_ERNS_6TensorES5_RKS4_ENKUlvE_clEvENKUlvE0_clEvEUlfE_EEvRNS_18TensorIteratorBaseERKT_EUlibE_EEviT1_,@function
_ZN2at6native32elementwise_kernel_manual_unrollILi128ELi4EZNS0_22gpu_kernel_impl_nocastIZZZNS0_12_GLOBAL__N_139_amp_non_finite_check_and_unscale_cuda_ERNS_6TensorES5_RKS4_ENKUlvE_clEvENKUlvE0_clEvEUlfE_EEvRNS_18TensorIteratorBaseERKT_EUlibE_EEviT1_: ; @_ZN2at6native32elementwise_kernel_manual_unrollILi128ELi4EZNS0_22gpu_kernel_impl_nocastIZZZNS0_12_GLOBAL__N_139_amp_non_finite_check_and_unscale_cuda_ERNS_6TensorES5_RKS4_ENKUlvE_clEvENKUlvE0_clEvEUlfE_EEvRNS_18TensorIteratorBaseERKT_EUlibE_EEviT1_
; %bb.0:
	s_load_dword s61, s[4:5], 0x0
	s_load_dword s33, s[4:5], 0x8
	s_or_b32 s4, s4, 8
	v_lshl_or_b32 v8, s6, 9, v0
	v_or_b32_e32 v15, 0x180, v8
	s_waitcnt lgkmcnt(0)
	v_cmp_le_i32_e32 vcc, s61, v15
	s_add_i32 s60, s33, -1
	s_cmp_gt_u32 s60, 1
	s_cselect_b64 s[6:7], -1, 0
	s_and_saveexec_b64 s[0:1], vcc
	s_xor_b64 s[34:35], exec, s[0:1]
	s_cbranch_execz .LBB14_8
; %bb.1:
	s_load_dwordx4 s[36:39], s[4:5], 0x4
	s_load_dwordx2 s[44:45], s[4:5], 0x14
	s_load_dwordx4 s[0:3], s[4:5], 0xc4
	s_load_dwordx8 s[8:15], s[4:5], 0x148
	s_cmp_lg_u32 s33, 0
	s_cselect_b64 s[50:51], -1, 0
	s_add_u32 s48, s4, 0xc4
	s_addc_u32 s49, s5, 0
	s_min_u32 s62, s60, 15
	s_cmp_gt_u32 s33, 1
	s_cselect_b64 s[46:47], -1, 0
	v_cmp_gt_i32_e32 vcc, s61, v8
	s_and_saveexec_b64 s[52:53], vcc
	s_cbranch_execz .LBB14_16
; %bb.2:
	s_andn2_b64 vcc, exec, s[6:7]
	s_cbranch_vccnz .LBB14_24
; %bb.3:
	s_mov_b32 s54, 0
	s_andn2_b64 vcc, exec, s[50:51]
	v_mov_b32_e32 v2, 0
	v_mov_b32_e32 v0, 0
	s_cbranch_vccnz .LBB14_88
; %bb.4:
	s_add_i32 s63, s62, 1
	s_cmp_eq_u32 s60, 2
	s_cbranch_scc1 .LBB14_83
; %bb.5:
	s_and_b32 s54, s63, 28
	s_mov_b32 s55, 0
	v_mov_b32_e32 v0, 0
	s_mov_b64 s[56:57], s[4:5]
	s_mov_b64 s[58:59], s[48:49]
	v_mov_b32_e32 v3, v8
	v_mov_b32_e32 v2, 0
.LBB14_6:                               ; =>This Inner Loop Header: Depth=1
	s_load_dwordx8 s[24:31], s[56:57], 0x4
	s_load_dwordx4 s[40:43], s[56:57], 0x24
	s_load_dwordx8 s[16:23], s[58:59], 0x0
	s_add_u32 s56, s56, 48
	s_addc_u32 s57, s57, 0
	s_waitcnt lgkmcnt(0)
	v_mul_hi_u32 v1, s25, v3
	v_add_u32_e32 v1, v3, v1
	v_lshrrev_b32_e32 v1, s26, v1
	v_mul_lo_u32 v4, v1, s24
	v_mul_hi_u32 v5, s28, v1
	v_sub_u32_e32 v3, v3, v4
	v_add_u32_e32 v4, v1, v5
	v_lshrrev_b32_e32 v4, s29, v4
	v_mul_lo_u32 v6, v4, s27
	v_mul_hi_u32 v7, s31, v4
	v_sub_u32_e32 v1, v1, v6
	v_add_u32_e32 v6, v4, v7
	v_mul_lo_u32 v5, v3, s17
	v_mul_lo_u32 v3, v3, s16
	;; [unrolled: 1-line block ×4, first 2 shown]
	v_lshrrev_b32_e32 v6, s40, v6
	v_add3_u32 v0, v3, v0, v1
	v_mul_hi_u32 v3, s42, v6
	v_add_u32_e32 v3, v6, v3
	v_lshrrev_b32_e32 v3, s43, v3
	s_add_i32 s55, s55, 4
	v_add3_u32 v1, v5, v2, v7
	v_mul_lo_u32 v2, v6, s30
	v_mul_lo_u32 v5, v3, s41
	s_add_u32 s58, s58, 32
	v_sub_u32_e32 v2, v4, v2
	v_sub_u32_e32 v5, v6, v5
	s_addc_u32 s59, s59, 0
	v_mul_lo_u32 v4, v2, s20
	v_mul_lo_u32 v2, v2, s21
	;; [unrolled: 1-line block ×4, first 2 shown]
	s_cmp_lg_u32 s54, s55
	v_add3_u32 v2, v2, v1, v5
	v_add3_u32 v0, v4, v0, v6
	s_cbranch_scc1 .LBB14_6
; %bb.7:
	v_mov_b32_e32 v1, v2
	s_branch .LBB14_84
.LBB14_8:
	s_andn2_saveexec_b64 s[0:1], s[34:35]
	s_cbranch_execz .LBB14_115
.LBB14_9:
	v_cndmask_b32_e64 v0, 0, 1, s[6:7]
	v_cmp_ne_u32_e64 s[0:1], 1, v0
	s_andn2_b64 vcc, exec, s[6:7]
	s_cbranch_vccnz .LBB14_23
; %bb.10:
	s_mov_b32 s2, 0
	s_cmp_lg_u32 s33, 0
	v_mov_b32_e32 v2, 0
	v_mov_b32_e32 v0, 0
	s_cbranch_scc0 .LBB14_15
; %bb.11:
	s_min_u32 s30, s60, 15
	s_add_i32 s30, s30, 1
	s_cmp_eq_u32 s60, 2
	s_cbranch_scc1 .LBB14_26
; %bb.12:
	s_add_u32 s6, s4, 0xc4
	s_addc_u32 s7, s5, 0
	s_and_b32 s2, s30, 28
	s_mov_b32 s3, 0
	v_mov_b32_e32 v0, 0
	s_mov_b64 s[28:29], s[4:5]
	v_mov_b32_e32 v3, v8
	v_mov_b32_e32 v2, 0
.LBB14_13:                              ; =>This Inner Loop Header: Depth=1
	s_load_dwordx8 s[16:23], s[28:29], 0x4
	s_load_dwordx4 s[24:27], s[28:29], 0x24
	s_load_dwordx8 s[8:15], s[6:7], 0x0
	s_add_u32 s28, s28, 48
	s_addc_u32 s29, s29, 0
	s_waitcnt lgkmcnt(0)
	v_mul_hi_u32 v1, s17, v3
	v_add_u32_e32 v1, v3, v1
	v_lshrrev_b32_e32 v1, s18, v1
	v_mul_lo_u32 v4, v1, s16
	v_mul_hi_u32 v5, s20, v1
	v_sub_u32_e32 v3, v3, v4
	v_add_u32_e32 v4, v1, v5
	v_lshrrev_b32_e32 v4, s21, v4
	v_mul_lo_u32 v6, v4, s19
	v_mul_hi_u32 v7, s23, v4
	v_sub_u32_e32 v1, v1, v6
	v_add_u32_e32 v6, v4, v7
	v_mul_lo_u32 v5, v3, s9
	v_mul_lo_u32 v3, v3, s8
	;; [unrolled: 1-line block ×4, first 2 shown]
	v_lshrrev_b32_e32 v6, s24, v6
	v_add3_u32 v0, v3, v0, v1
	v_mul_hi_u32 v3, s26, v6
	v_add_u32_e32 v3, v6, v3
	v_lshrrev_b32_e32 v3, s27, v3
	s_add_i32 s3, s3, 4
	v_add3_u32 v1, v5, v2, v7
	v_mul_lo_u32 v2, v6, s22
	v_mul_lo_u32 v5, v3, s25
	s_add_u32 s6, s6, 32
	v_sub_u32_e32 v2, v4, v2
	v_sub_u32_e32 v5, v6, v5
	s_addc_u32 s7, s7, 0
	v_mul_lo_u32 v4, v2, s12
	v_mul_lo_u32 v2, v2, s13
	;; [unrolled: 1-line block ×4, first 2 shown]
	s_cmp_lg_u32 s2, s3
	v_add3_u32 v2, v2, v1, v5
	v_add3_u32 v0, v4, v0, v6
	s_cbranch_scc1 .LBB14_13
; %bb.14:
	v_mov_b32_e32 v1, v2
	s_and_b32 s8, s30, 3
	s_cmp_eq_u32 s8, 0
	s_cbranch_scc0 .LBB14_27
.LBB14_15:
	s_cbranch_execz .LBB14_30
	s_branch .LBB14_32
.LBB14_16:
	s_or_b64 exec, exec, s[52:53]
	v_cmp_gt_i32_e32 vcc, s61, v8
	s_and_saveexec_b64 s[52:53], vcc
	s_cbranch_execz .LBB14_94
.LBB14_17:
	s_andn2_b64 vcc, exec, s[6:7]
	s_cbranch_vccnz .LBB14_25
; %bb.18:
	s_mov_b32 s54, 0
	s_andn2_b64 vcc, exec, s[50:51]
	v_mov_b32_e32 v2, 0
	v_mov_b32_e32 v0, 0
	s_cbranch_vccnz .LBB14_107
; %bb.19:
	s_add_i32 s63, s62, 1
	s_cmp_eq_u32 s60, 2
	s_cbranch_scc1 .LBB14_102
; %bb.20:
	s_and_b32 s54, s63, 28
	s_mov_b32 s55, 0
	v_mov_b32_e32 v0, 0
	s_mov_b64 s[56:57], s[4:5]
	s_mov_b64 s[58:59], s[48:49]
	v_mov_b32_e32 v3, v8
	v_mov_b32_e32 v2, 0
.LBB14_21:                              ; =>This Inner Loop Header: Depth=1
	s_load_dwordx8 s[24:31], s[56:57], 0x4
	s_load_dwordx4 s[40:43], s[56:57], 0x24
	s_load_dwordx8 s[16:23], s[58:59], 0x0
	s_add_u32 s56, s56, 48
	s_addc_u32 s57, s57, 0
	s_waitcnt lgkmcnt(0)
	v_mul_hi_u32 v1, s25, v3
	v_add_u32_e32 v1, v3, v1
	v_lshrrev_b32_e32 v1, s26, v1
	v_mul_lo_u32 v4, v1, s24
	v_mul_hi_u32 v5, s28, v1
	v_sub_u32_e32 v3, v3, v4
	v_add_u32_e32 v4, v1, v5
	v_lshrrev_b32_e32 v4, s29, v4
	v_mul_lo_u32 v6, v4, s27
	v_mul_hi_u32 v7, s31, v4
	v_sub_u32_e32 v1, v1, v6
	v_add_u32_e32 v6, v4, v7
	v_mul_lo_u32 v5, v3, s17
	v_mul_lo_u32 v3, v3, s16
	;; [unrolled: 1-line block ×4, first 2 shown]
	v_lshrrev_b32_e32 v6, s40, v6
	v_add3_u32 v0, v3, v0, v1
	v_mul_hi_u32 v3, s42, v6
	v_add_u32_e32 v3, v6, v3
	v_lshrrev_b32_e32 v3, s43, v3
	s_add_i32 s55, s55, 4
	v_add3_u32 v1, v5, v2, v7
	v_mul_lo_u32 v2, v6, s30
	v_mul_lo_u32 v5, v3, s41
	s_add_u32 s58, s58, 32
	v_sub_u32_e32 v2, v4, v2
	v_sub_u32_e32 v5, v6, v5
	s_addc_u32 s59, s59, 0
	v_mul_lo_u32 v4, v2, s20
	v_mul_lo_u32 v2, v2, s21
	v_mul_lo_u32 v6, v5, s22
	v_mul_lo_u32 v5, v5, s23
	s_cmp_eq_u32 s54, s55
	v_add3_u32 v2, v2, v1, v5
	v_add3_u32 v0, v4, v0, v6
	s_cbranch_scc0 .LBB14_21
; %bb.22:
	v_mov_b32_e32 v1, v2
	s_branch .LBB14_103
.LBB14_23:
                                        ; implicit-def: $vgpr2
                                        ; implicit-def: $vgpr0
	s_branch .LBB14_30
.LBB14_24:
                                        ; implicit-def: $vgpr2
                                        ; implicit-def: $vgpr0
	s_branch .LBB14_89
.LBB14_25:
                                        ; implicit-def: $vgpr2
                                        ; implicit-def: $vgpr0
	s_branch .LBB14_108
.LBB14_26:
	s_mov_b32 s3, s2
	v_pk_mov_b32 v[0:1], s[2:3], s[2:3] op_sel:[0,1]
                                        ; implicit-def: $vgpr2
	v_mov_b32_e32 v3, v8
	s_and_b32 s8, s30, 3
	s_cmp_eq_u32 s8, 0
	s_cbranch_scc1 .LBB14_15
.LBB14_27:
	s_lshl_b32 s3, s2, 3
	s_add_u32 s3, s3, s4
	s_addc_u32 s7, 0, s5
	s_add_u32 s6, s3, 0xc4
	s_addc_u32 s7, s7, 0
	s_mul_i32 s2, s2, 12
	s_add_u32 s2, s4, s2
	s_addc_u32 s3, 0, s5
.LBB14_28:                              ; =>This Inner Loop Header: Depth=1
	s_load_dwordx2 s[10:11], s[2:3], 0x4
	s_load_dword s9, s[2:3], 0xc
	s_load_dwordx2 s[12:13], s[6:7], 0x0
	v_mov_b32_e32 v2, v1
	s_add_u32 s2, s2, 12
	s_waitcnt lgkmcnt(0)
	v_mul_hi_u32 v1, s11, v3
	v_add_u32_e32 v1, v3, v1
	v_lshrrev_b32_e32 v1, s9, v1
	s_addc_u32 s3, s3, 0
	v_mul_lo_u32 v4, v1, s10
	s_add_u32 s6, s6, 8
	v_sub_u32_e32 v6, v3, v4
	v_mov_b32_e32 v3, v1
	s_addc_u32 s7, s7, 0
	s_add_i32 s8, s8, -1
	v_mad_u64_u32 v[4:5], s[10:11], v6, s13, v[2:3]
	v_mad_u64_u32 v[0:1], s[10:11], v6, s12, v[0:1]
	s_cmp_lg_u32 s8, 0
	v_mov_b32_e32 v1, v4
	s_cbranch_scc1 .LBB14_28
; %bb.29:
	v_mov_b32_e32 v2, v1
	s_cbranch_execnz .LBB14_32
.LBB14_30:
	s_load_dwordx4 s[8:11], s[4:5], 0x4
	s_load_dwordx2 s[2:3], s[4:5], 0xc4
	s_cmp_lt_u32 s33, 2
	s_waitcnt lgkmcnt(0)
	v_mul_hi_u32 v0, s9, v8
	v_add_u32_e32 v0, v8, v0
	v_lshrrev_b32_e32 v1, s10, v0
	v_mul_lo_u32 v0, v1, s8
	v_sub_u32_e32 v0, v8, v0
	v_mul_lo_u32 v2, v0, s3
	v_mul_lo_u32 v0, v0, s2
	s_cbranch_scc1 .LBB14_32
; %bb.31:
	s_load_dwordx4 s[8:11], s[4:5], 0x10
	s_load_dwordx2 s[2:3], s[4:5], 0xcc
	s_waitcnt lgkmcnt(0)
	v_mul_hi_u32 v3, s9, v1
	v_add_u32_e32 v3, v1, v3
	v_lshrrev_b32_e32 v3, s10, v3
	v_mul_lo_u32 v3, v3, s8
	v_sub_u32_e32 v3, v1, v3
	v_mad_u64_u32 v[0:1], s[6:7], v3, s2, v[0:1]
	v_mad_u64_u32 v[2:3], s[2:3], v3, s3, v[2:3]
.LBB14_32:
	s_and_b64 vcc, exec, s[0:1]
	v_add_u32_e32 v1, 0x80, v8
	s_cbranch_vccnz .LBB14_39
; %bb.33:
	s_mov_b32 s2, 0
	s_cmp_lg_u32 s33, 0
	v_mov_b32_e32 v6, 0
	v_mov_b32_e32 v4, 0
	s_cbranch_scc0 .LBB14_38
; %bb.34:
	s_min_u32 s30, s60, 15
	s_add_i32 s30, s30, 1
	s_cmp_eq_u32 s60, 2
	s_cbranch_scc1 .LBB14_40
; %bb.35:
	s_add_u32 s6, s4, 0xc4
	s_addc_u32 s7, s5, 0
	s_and_b32 s2, s30, 28
	s_mov_b32 s3, 0
	v_mov_b32_e32 v4, 0
	s_mov_b64 s[28:29], s[4:5]
	v_mov_b32_e32 v3, v1
	v_mov_b32_e32 v6, 0
.LBB14_36:                              ; =>This Inner Loop Header: Depth=1
	s_load_dwordx8 s[16:23], s[28:29], 0x4
	s_load_dwordx4 s[24:27], s[28:29], 0x24
	s_load_dwordx8 s[8:15], s[6:7], 0x0
	s_add_u32 s28, s28, 48
	s_addc_u32 s29, s29, 0
	s_waitcnt lgkmcnt(0)
	v_mul_hi_u32 v5, s17, v3
	v_add_u32_e32 v5, v3, v5
	v_lshrrev_b32_e32 v5, s18, v5
	v_mul_lo_u32 v7, v5, s16
	v_mul_hi_u32 v9, s20, v5
	v_sub_u32_e32 v3, v3, v7
	v_add_u32_e32 v7, v5, v9
	v_lshrrev_b32_e32 v7, s21, v7
	v_mul_lo_u32 v10, v7, s19
	v_mul_hi_u32 v11, s23, v7
	v_sub_u32_e32 v5, v5, v10
	v_add_u32_e32 v10, v7, v11
	v_mul_lo_u32 v9, v3, s9
	v_mul_lo_u32 v3, v3, s8
	;; [unrolled: 1-line block ×4, first 2 shown]
	v_lshrrev_b32_e32 v10, s24, v10
	v_add3_u32 v4, v3, v4, v5
	v_add3_u32 v5, v9, v6, v11
	v_mul_lo_u32 v3, v10, s22
	v_mul_hi_u32 v6, s26, v10
	v_sub_u32_e32 v3, v7, v3
	v_add_u32_e32 v6, v10, v6
	v_mul_lo_u32 v7, v3, s12
	v_mul_lo_u32 v9, v3, s13
	v_lshrrev_b32_e32 v3, s27, v6
	s_add_i32 s3, s3, 4
	v_mul_lo_u32 v6, v3, s25
	s_add_u32 s6, s6, 32
	v_sub_u32_e32 v6, v10, v6
	s_addc_u32 s7, s7, 0
	v_mul_lo_u32 v10, v6, s14
	v_mul_lo_u32 v6, v6, s15
	s_cmp_lg_u32 s2, s3
	v_add3_u32 v6, v9, v5, v6
	v_add3_u32 v4, v7, v4, v10
	s_cbranch_scc1 .LBB14_36
; %bb.37:
	v_mov_b32_e32 v5, v6
	s_and_b32 s8, s30, 3
	s_cmp_eq_u32 s8, 0
	s_cbranch_scc0 .LBB14_41
.LBB14_38:
	s_cbranch_execz .LBB14_44
	s_branch .LBB14_46
.LBB14_39:
                                        ; implicit-def: $vgpr6
                                        ; implicit-def: $vgpr4
	s_branch .LBB14_44
.LBB14_40:
	s_mov_b32 s3, s2
	v_pk_mov_b32 v[4:5], s[2:3], s[2:3] op_sel:[0,1]
                                        ; implicit-def: $vgpr6
	v_mov_b32_e32 v3, v1
	s_and_b32 s8, s30, 3
	s_cmp_eq_u32 s8, 0
	s_cbranch_scc1 .LBB14_38
.LBB14_41:
	s_lshl_b32 s3, s2, 3
	s_add_u32 s3, s3, s4
	s_addc_u32 s7, 0, s5
	s_add_u32 s6, s3, 0xc4
	s_addc_u32 s7, s7, 0
	s_mul_i32 s2, s2, 12
	s_add_u32 s2, s4, s2
	s_addc_u32 s3, 0, s5
.LBB14_42:                              ; =>This Inner Loop Header: Depth=1
	s_load_dwordx2 s[10:11], s[2:3], 0x4
	s_load_dword s9, s[2:3], 0xc
	s_load_dwordx2 s[12:13], s[6:7], 0x0
	v_mov_b32_e32 v6, v5
	s_add_u32 s2, s2, 12
	s_waitcnt lgkmcnt(0)
	v_mul_hi_u32 v5, s11, v3
	v_add_u32_e32 v5, v3, v5
	v_lshrrev_b32_e32 v5, s9, v5
	s_addc_u32 s3, s3, 0
	v_mul_lo_u32 v7, v5, s10
	s_add_u32 s6, s6, 8
	v_sub_u32_e32 v9, v3, v7
	s_addc_u32 s7, s7, 0
	s_add_i32 s8, s8, -1
	v_mov_b32_e32 v3, v5
	v_mad_u64_u32 v[6:7], s[10:11], v9, s13, v[6:7]
	v_mad_u64_u32 v[4:5], s[10:11], v9, s12, v[4:5]
	s_cmp_lg_u32 s8, 0
	v_mov_b32_e32 v5, v6
	s_cbranch_scc1 .LBB14_42
; %bb.43:
	v_mov_b32_e32 v6, v5
	s_cbranch_execnz .LBB14_46
.LBB14_44:
	s_load_dwordx4 s[8:11], s[4:5], 0x4
	s_load_dwordx2 s[2:3], s[4:5], 0xc4
	s_cmp_lt_u32 s33, 2
	s_waitcnt lgkmcnt(0)
	v_mul_hi_u32 v3, s9, v1
	v_add_u32_e32 v3, v1, v3
	v_lshrrev_b32_e32 v3, s10, v3
	v_mul_lo_u32 v4, v3, s8
	v_sub_u32_e32 v1, v1, v4
	v_mul_lo_u32 v6, v1, s3
	v_mul_lo_u32 v4, v1, s2
	s_cbranch_scc1 .LBB14_46
; %bb.45:
	s_load_dwordx4 s[8:11], s[4:5], 0x10
	s_load_dwordx2 s[2:3], s[4:5], 0xcc
	s_waitcnt lgkmcnt(0)
	v_mul_hi_u32 v1, s9, v3
	v_add_u32_e32 v1, v3, v1
	v_lshrrev_b32_e32 v1, s10, v1
	v_mul_lo_u32 v1, v1, s8
	v_sub_u32_e32 v1, v3, v1
	v_mad_u64_u32 v[4:5], s[6:7], v1, s2, v[4:5]
	v_mad_u64_u32 v[6:7], s[2:3], v1, s3, v[6:7]
.LBB14_46:
	s_and_b64 vcc, exec, s[0:1]
	v_add_u32_e32 v1, 0x100, v8
	s_cbranch_vccnz .LBB14_53
; %bb.47:
	s_mov_b32 s2, 0
	s_cmp_lg_u32 s33, 0
	v_mov_b32_e32 v10, 0
	v_mov_b32_e32 v8, 0
	s_cbranch_scc0 .LBB14_52
; %bb.48:
	s_min_u32 s30, s60, 15
	s_add_i32 s30, s30, 1
	s_cmp_eq_u32 s60, 2
	s_cbranch_scc1 .LBB14_54
; %bb.49:
	s_add_u32 s6, s4, 0xc4
	s_addc_u32 s7, s5, 0
	s_and_b32 s2, s30, 28
	s_mov_b32 s3, 0
	v_mov_b32_e32 v8, 0
	s_mov_b64 s[28:29], s[4:5]
	v_mov_b32_e32 v3, v1
	v_mov_b32_e32 v10, 0
.LBB14_50:                              ; =>This Inner Loop Header: Depth=1
	s_load_dwordx8 s[16:23], s[28:29], 0x4
	s_load_dwordx4 s[24:27], s[28:29], 0x24
	s_load_dwordx8 s[8:15], s[6:7], 0x0
	s_add_u32 s28, s28, 48
	s_addc_u32 s29, s29, 0
	s_waitcnt lgkmcnt(0)
	v_mul_hi_u32 v5, s17, v3
	v_add_u32_e32 v5, v3, v5
	v_lshrrev_b32_e32 v5, s18, v5
	v_mul_lo_u32 v7, v5, s16
	v_mul_hi_u32 v9, s20, v5
	v_sub_u32_e32 v3, v3, v7
	v_add_u32_e32 v7, v5, v9
	v_lshrrev_b32_e32 v7, s21, v7
	v_mul_lo_u32 v11, v7, s19
	v_mul_hi_u32 v12, s23, v7
	v_sub_u32_e32 v5, v5, v11
	v_add_u32_e32 v11, v7, v12
	v_mul_lo_u32 v9, v3, s9
	v_mul_lo_u32 v3, v3, s8
	;; [unrolled: 1-line block ×4, first 2 shown]
	v_lshrrev_b32_e32 v11, s24, v11
	v_add3_u32 v5, v3, v8, v5
	v_add3_u32 v8, v9, v10, v12
	v_mul_lo_u32 v3, v11, s22
	v_mul_hi_u32 v9, s26, v11
	v_sub_u32_e32 v3, v7, v3
	v_add_u32_e32 v7, v11, v9
	v_mul_lo_u32 v9, v3, s12
	v_mul_lo_u32 v10, v3, s13
	v_lshrrev_b32_e32 v3, s27, v7
	s_add_i32 s3, s3, 4
	v_mul_lo_u32 v7, v3, s25
	s_add_u32 s6, s6, 32
	v_sub_u32_e32 v7, v11, v7
	s_addc_u32 s7, s7, 0
	v_mul_lo_u32 v11, v7, s14
	v_mul_lo_u32 v7, v7, s15
	s_cmp_lg_u32 s2, s3
	v_add3_u32 v10, v10, v8, v7
	v_add3_u32 v8, v9, v5, v11
	s_cbranch_scc1 .LBB14_50
; %bb.51:
	v_mov_b32_e32 v9, v10
	s_and_b32 s8, s30, 3
	s_cmp_eq_u32 s8, 0
	s_cbranch_scc0 .LBB14_55
.LBB14_52:
	s_cbranch_execz .LBB14_58
	s_branch .LBB14_60
.LBB14_53:
                                        ; implicit-def: $vgpr10
                                        ; implicit-def: $vgpr8
	s_branch .LBB14_58
.LBB14_54:
	s_mov_b32 s3, s2
	v_pk_mov_b32 v[8:9], s[2:3], s[2:3] op_sel:[0,1]
                                        ; implicit-def: $vgpr10
	v_mov_b32_e32 v3, v1
	s_and_b32 s8, s30, 3
	s_cmp_eq_u32 s8, 0
	s_cbranch_scc1 .LBB14_52
.LBB14_55:
	s_lshl_b32 s3, s2, 3
	s_add_u32 s3, s3, s4
	s_addc_u32 s7, 0, s5
	s_add_u32 s6, s3, 0xc4
	s_addc_u32 s7, s7, 0
	s_mul_i32 s2, s2, 12
	s_add_u32 s2, s4, s2
	s_addc_u32 s3, 0, s5
.LBB14_56:                              ; =>This Inner Loop Header: Depth=1
	s_load_dwordx2 s[10:11], s[2:3], 0x4
	s_load_dword s9, s[2:3], 0xc
	s_load_dwordx2 s[12:13], s[6:7], 0x0
	s_add_u32 s2, s2, 12
	s_addc_u32 s3, s3, 0
	s_waitcnt lgkmcnt(0)
	v_mul_hi_u32 v5, s11, v3
	v_add_u32_e32 v5, v3, v5
	v_lshrrev_b32_e32 v5, s9, v5
	v_mul_lo_u32 v7, v5, s10
	v_mov_b32_e32 v10, v9
	s_add_u32 s6, s6, 8
	v_sub_u32_e32 v7, v3, v7
	s_addc_u32 s7, s7, 0
	s_add_i32 s8, s8, -1
	v_mad_u64_u32 v[10:11], s[10:11], v7, s13, v[10:11]
	v_mad_u64_u32 v[8:9], s[10:11], v7, s12, v[8:9]
	s_cmp_lg_u32 s8, 0
	v_mov_b32_e32 v3, v5
	v_mov_b32_e32 v9, v10
	s_cbranch_scc1 .LBB14_56
; %bb.57:
	v_mov_b32_e32 v10, v9
	s_cbranch_execnz .LBB14_60
.LBB14_58:
	s_load_dwordx4 s[8:11], s[4:5], 0x4
	s_load_dwordx2 s[2:3], s[4:5], 0xc4
	s_cmp_lt_u32 s33, 2
	s_waitcnt lgkmcnt(0)
	v_mul_hi_u32 v3, s9, v1
	v_add_u32_e32 v3, v1, v3
	v_lshrrev_b32_e32 v3, s10, v3
	v_mul_lo_u32 v5, v3, s8
	v_sub_u32_e32 v1, v1, v5
	v_mul_lo_u32 v10, v1, s3
	v_mul_lo_u32 v8, v1, s2
	s_cbranch_scc1 .LBB14_60
; %bb.59:
	s_load_dwordx4 s[8:11], s[4:5], 0x10
	s_load_dwordx2 s[2:3], s[4:5], 0xcc
	s_waitcnt lgkmcnt(0)
	v_mul_hi_u32 v1, s9, v3
	v_add_u32_e32 v1, v3, v1
	v_lshrrev_b32_e32 v1, s10, v1
	v_mul_lo_u32 v1, v1, s8
	v_sub_u32_e32 v1, v3, v1
	v_mad_u64_u32 v[8:9], s[6:7], v1, s2, v[8:9]
	v_mad_u64_u32 v[10:11], s[2:3], v1, s3, v[10:11]
.LBB14_60:
	s_and_b64 vcc, exec, s[0:1]
	s_cbranch_vccnz .LBB14_67
; %bb.61:
	s_mov_b32 s6, 0
	s_cmp_lg_u32 s33, 0
	v_mov_b32_e32 v14, 0
	v_mov_b32_e32 v12, 0
	s_cbranch_scc0 .LBB14_66
; %bb.62:
	s_min_u32 s28, s60, 15
	s_add_i32 s28, s28, 1
	s_cmp_eq_u32 s60, 2
	s_cbranch_scc1 .LBB14_68
; %bb.63:
	s_add_u32 s24, s4, 0xc4
	s_addc_u32 s25, s5, 0
	s_and_b32 s6, s28, 28
	s_mov_b32 s7, 0
	v_mov_b32_e32 v12, 0
	s_mov_b64 s[26:27], s[4:5]
	v_mov_b32_e32 v1, v15
	v_mov_b32_e32 v14, 0
.LBB14_64:                              ; =>This Inner Loop Header: Depth=1
	s_load_dwordx8 s[16:23], s[26:27], 0x4
	s_load_dwordx4 s[0:3], s[26:27], 0x24
	s_load_dwordx8 s[8:15], s[24:25], 0x0
	s_add_u32 s26, s26, 48
	s_addc_u32 s27, s27, 0
	s_waitcnt lgkmcnt(0)
	v_mul_hi_u32 v3, s17, v1
	v_add_u32_e32 v3, v1, v3
	v_lshrrev_b32_e32 v3, s18, v3
	v_mul_lo_u32 v5, v3, s16
	v_mul_hi_u32 v7, s20, v3
	v_sub_u32_e32 v1, v1, v5
	v_add_u32_e32 v5, v3, v7
	v_lshrrev_b32_e32 v5, s21, v5
	v_mul_lo_u32 v9, v5, s19
	v_mul_hi_u32 v11, s23, v5
	v_sub_u32_e32 v3, v3, v9
	v_add_u32_e32 v9, v5, v11
	v_mul_lo_u32 v7, v1, s9
	v_mul_lo_u32 v1, v1, s8
	;; [unrolled: 1-line block ×4, first 2 shown]
	v_lshrrev_b32_e32 v9, s0, v9
	v_add3_u32 v3, v1, v12, v3
	v_add3_u32 v7, v7, v14, v11
	v_mul_lo_u32 v1, v9, s22
	v_mul_hi_u32 v11, s2, v9
	v_sub_u32_e32 v1, v5, v1
	v_add_u32_e32 v5, v9, v11
	v_mul_lo_u32 v11, v1, s12
	v_mul_lo_u32 v12, v1, s13
	v_lshrrev_b32_e32 v1, s3, v5
	s_add_i32 s7, s7, 4
	v_mul_lo_u32 v5, v1, s1
	s_add_u32 s24, s24, 32
	v_sub_u32_e32 v5, v9, v5
	s_addc_u32 s25, s25, 0
	v_mul_lo_u32 v9, v5, s14
	v_mul_lo_u32 v5, v5, s15
	s_cmp_lg_u32 s6, s7
	v_add3_u32 v14, v12, v7, v5
	v_add3_u32 v12, v11, v3, v9
	s_cbranch_scc1 .LBB14_64
; %bb.65:
	v_mov_b32_e32 v13, v14
	s_and_b32 s7, s28, 3
	s_cmp_eq_u32 s7, 0
	s_cbranch_scc0 .LBB14_69
.LBB14_66:
	s_cbranch_execz .LBB14_72
	s_branch .LBB14_74
.LBB14_67:
                                        ; implicit-def: $vgpr14
                                        ; implicit-def: $vgpr12
	s_branch .LBB14_72
.LBB14_68:
	s_mov_b32 s7, s6
	v_pk_mov_b32 v[12:13], s[6:7], s[6:7] op_sel:[0,1]
                                        ; implicit-def: $vgpr14
	v_mov_b32_e32 v1, v15
	s_and_b32 s7, s28, 3
	s_cmp_eq_u32 s7, 0
	s_cbranch_scc1 .LBB14_66
.LBB14_69:
	s_lshl_b32 s0, s6, 3
	s_add_u32 s0, s0, s4
	s_addc_u32 s1, 0, s5
	s_add_u32 s0, s0, 0xc4
	s_addc_u32 s1, s1, 0
	s_mul_i32 s2, s6, 12
	s_add_u32 s2, s4, s2
	s_addc_u32 s3, 0, s5
.LBB14_70:                              ; =>This Inner Loop Header: Depth=1
	s_load_dwordx2 s[8:9], s[2:3], 0x4
	s_load_dword s6, s[2:3], 0xc
	s_load_dwordx2 s[10:11], s[0:1], 0x0
	s_add_u32 s2, s2, 12
	s_addc_u32 s3, s3, 0
	s_waitcnt lgkmcnt(0)
	v_mul_hi_u32 v3, s9, v1
	v_add_u32_e32 v3, v1, v3
	v_lshrrev_b32_e32 v3, s6, v3
	v_mul_lo_u32 v5, v3, s8
	v_mov_b32_e32 v14, v13
	s_add_u32 s0, s0, 8
	v_sub_u32_e32 v5, v1, v5
	s_addc_u32 s1, s1, 0
	s_add_i32 s7, s7, -1
	v_mad_u64_u32 v[16:17], s[8:9], v5, s11, v[14:15]
	v_mad_u64_u32 v[12:13], s[8:9], v5, s10, v[12:13]
	s_cmp_lg_u32 s7, 0
	v_mov_b32_e32 v1, v3
	v_mov_b32_e32 v13, v16
	s_cbranch_scc1 .LBB14_70
; %bb.71:
	v_mov_b32_e32 v14, v13
	s_cbranch_execnz .LBB14_74
.LBB14_72:
	s_load_dwordx4 s[0:3], s[4:5], 0x4
	s_load_dwordx2 s[6:7], s[4:5], 0xc4
	s_cmp_lt_u32 s33, 2
	s_waitcnt lgkmcnt(0)
	v_mul_hi_u32 v1, s1, v15
	v_add_u32_e32 v1, v15, v1
	v_lshrrev_b32_e32 v1, s2, v1
	v_mul_lo_u32 v3, v1, s0
	v_sub_u32_e32 v3, v15, v3
	v_mul_lo_u32 v14, v3, s7
	v_mul_lo_u32 v12, v3, s6
	s_cbranch_scc1 .LBB14_74
; %bb.73:
	s_load_dwordx4 s[0:3], s[4:5], 0x10
	s_load_dwordx2 s[6:7], s[4:5], 0xcc
	s_waitcnt lgkmcnt(0)
	v_mul_hi_u32 v3, s1, v1
	v_add_u32_e32 v3, v1, v3
	v_lshrrev_b32_e32 v3, s2, v3
	v_mul_lo_u32 v3, v3, s0
	v_sub_u32_e32 v1, v1, v3
	v_mad_u64_u32 v[12:13], s[0:1], v1, s6, v[12:13]
	v_mad_u64_u32 v[14:15], s[0:1], v1, s7, v[14:15]
.LBB14_74:
	s_load_dwordx4 s[0:3], s[4:5], 0x148
	s_load_dwordx2 s[6:7], s[4:5], 0x160
	s_mov_b32 s10, 0x7f800000
	s_waitcnt lgkmcnt(0)
	global_load_dword v1, v2, s[2:3]
	s_waitcnt vmcnt(0)
	v_cmp_nlg_f32_e64 s[12:13], |v1|, s10
	s_and_saveexec_b64 s[8:9], s[12:13]
	s_cbranch_execz .LBB14_76
; %bb.75:
	s_load_dwordx2 s[12:13], s[4:5], 0x158
	v_mov_b32_e32 v2, 0
	v_mov_b32_e32 v3, 1.0
	s_waitcnt lgkmcnt(0)
	global_store_dword v2, v3, s[12:13]
.LBB14_76:
	s_or_b64 exec, exec, s[8:9]
	v_mov_b32_e32 v7, 0
	global_load_dword v3, v6, s[2:3]
	global_load_dword v2, v7, s[6:7]
	s_waitcnt vmcnt(1)
	v_cmp_nlg_f32_e64 s[10:11], |v3|, s10
	s_waitcnt vmcnt(0)
	v_mov_b32_e32 v5, v2
	s_and_saveexec_b64 s[8:9], s[10:11]
	s_cbranch_execz .LBB14_78
; %bb.77:
	s_load_dwordx2 s[10:11], s[4:5], 0x158
	v_mov_b32_e32 v5, 1.0
	s_waitcnt lgkmcnt(0)
	global_store_dword v7, v5, s[10:11]
	global_load_dword v5, v7, s[6:7]
.LBB14_78:
	s_or_b64 exec, exec, s[8:9]
	global_load_dword v6, v10, s[2:3]
	s_mov_b32 s10, 0x7f800000
	s_waitcnt vmcnt(1)
	v_mov_b32_e32 v9, v5
	s_waitcnt vmcnt(0)
	v_cmp_nlg_f32_e64 s[12:13], |v6|, s10
	s_and_saveexec_b64 s[8:9], s[12:13]
	s_cbranch_execz .LBB14_80
; %bb.79:
	s_load_dwordx2 s[12:13], s[4:5], 0x158
	v_mov_b32_e32 v7, 0
	v_mov_b32_e32 v9, 1.0
	s_waitcnt lgkmcnt(0)
	global_store_dword v7, v9, s[12:13]
	global_load_dword v9, v7, s[6:7]
.LBB14_80:
	s_or_b64 exec, exec, s[8:9]
	global_load_dword v7, v14, s[2:3]
	s_waitcnt vmcnt(1)
	v_mov_b32_e32 v10, v9
	s_waitcnt vmcnt(0)
	v_cmp_nlg_f32_e64 s[8:9], |v7|, s10
	s_and_saveexec_b64 s[2:3], s[8:9]
	s_cbranch_execz .LBB14_82
; %bb.81:
	s_load_dwordx2 s[4:5], s[4:5], 0x158
	v_mov_b32_e32 v10, 0
	v_mov_b32_e32 v11, 1.0
	s_waitcnt lgkmcnt(0)
	global_store_dword v10, v11, s[4:5]
	global_load_dword v10, v10, s[6:7]
.LBB14_82:
	s_or_b64 exec, exec, s[2:3]
	v_mul_f32_e32 v11, v6, v9
	v_cmp_eq_f32_e32 vcc, 1.0, v9
	v_cndmask_b32_e32 v6, v11, v6, vcc
	v_mul_f32_e32 v9, v3, v5
	v_cmp_eq_f32_e32 vcc, 1.0, v5
	v_cndmask_b32_e32 v3, v9, v3, vcc
	;; [unrolled: 3-line block ×3, first 2 shown]
	s_waitcnt vmcnt(0)
	v_mul_f32_e32 v2, v7, v10
	v_cmp_eq_f32_e32 vcc, 1.0, v10
	v_cndmask_b32_e32 v2, v2, v7, vcc
	global_store_dword v0, v1, s[0:1]
	global_store_dword v4, v3, s[0:1]
	;; [unrolled: 1-line block ×4, first 2 shown]
	s_endpgm
.LBB14_83:
	s_mov_b32 s55, s54
	v_pk_mov_b32 v[0:1], s[54:55], s[54:55] op_sel:[0,1]
                                        ; implicit-def: $vgpr2
	v_mov_b32_e32 v3, v8
.LBB14_84:
	s_and_b32 s20, s63, 3
	s_cmp_eq_u32 s20, 0
	s_cbranch_scc1 .LBB14_88
; %bb.85:
	s_lshl_b32 s16, s54, 3
	s_add_u32 s16, s16, s4
	s_addc_u32 s17, s5, 0
	s_add_u32 s16, s16, 0xc4
	s_addc_u32 s17, s17, 0
	s_mul_i32 s18, s54, 12
	s_add_u32 s18, s4, s18
	s_addc_u32 s19, s5, 0
.LBB14_86:                              ; =>This Inner Loop Header: Depth=1
	s_load_dwordx2 s[22:23], s[18:19], 0x4
	s_load_dword s21, s[18:19], 0xc
	s_load_dwordx2 s[24:25], s[16:17], 0x0
	v_mov_b32_e32 v2, v1
	s_add_u32 s18, s18, 12
	s_waitcnt lgkmcnt(0)
	v_mul_hi_u32 v1, s23, v3
	v_add_u32_e32 v1, v3, v1
	v_lshrrev_b32_e32 v1, s21, v1
	s_addc_u32 s19, s19, 0
	v_mul_lo_u32 v4, v1, s22
	s_add_u32 s16, s16, 8
	v_sub_u32_e32 v6, v3, v4
	v_mov_b32_e32 v3, v1
	s_addc_u32 s17, s17, 0
	s_add_i32 s20, s20, -1
	v_mad_u64_u32 v[4:5], s[22:23], v6, s25, v[2:3]
	v_mad_u64_u32 v[0:1], s[22:23], v6, s24, v[0:1]
	s_cmp_lg_u32 s20, 0
	v_mov_b32_e32 v1, v4
	s_cbranch_scc1 .LBB14_86
; %bb.87:
	v_mov_b32_e32 v2, v1
.LBB14_88:
	s_cbranch_execnz .LBB14_91
.LBB14_89:
	s_waitcnt lgkmcnt(0)
	v_mul_hi_u32 v0, s37, v8
	v_add_u32_e32 v0, v8, v0
	v_lshrrev_b32_e32 v1, s38, v0
	v_mul_lo_u32 v0, v1, s36
	v_sub_u32_e32 v0, v8, v0
	v_mul_lo_u32 v2, v0, s1
	s_andn2_b64 vcc, exec, s[46:47]
	v_mul_lo_u32 v0, v0, s0
	s_cbranch_vccnz .LBB14_91
; %bb.90:
	v_mul_hi_u32 v3, s44, v1
	v_add_u32_e32 v3, v1, v3
	v_lshrrev_b32_e32 v3, s45, v3
	v_mul_lo_u32 v3, v3, s39
	v_sub_u32_e32 v3, v1, v3
	v_mad_u64_u32 v[0:1], s[16:17], v3, s2, v[0:1]
	v_mad_u64_u32 v[2:3], s[16:17], v3, s3, v[2:3]
.LBB14_91:
	s_waitcnt lgkmcnt(0)
	global_load_dword v1, v2, s[10:11]
	s_mov_b32 s16, 0x7f800000
	s_waitcnt vmcnt(0)
	v_cmp_nlg_f32_e64 s[18:19], |v1|, s16
	s_and_saveexec_b64 s[16:17], s[18:19]
	s_cbranch_execz .LBB14_93
; %bb.92:
	v_mov_b32_e32 v2, 0
	v_mov_b32_e32 v3, 1.0
	global_store_dword v2, v3, s[12:13]
.LBB14_93:
	s_or_b64 exec, exec, s[16:17]
	v_mov_b32_e32 v2, 0
	global_load_dword v2, v2, s[14:15]
	v_add_u32_e32 v8, 0x80, v8
	s_waitcnt vmcnt(0)
	v_mul_f32_e32 v3, v1, v2
	v_cmp_eq_f32_e32 vcc, 1.0, v2
	v_cndmask_b32_e32 v1, v3, v1, vcc
	global_store_dword v0, v1, s[8:9]
	s_or_b64 exec, exec, s[52:53]
	v_cmp_gt_i32_e32 vcc, s61, v8
	s_and_saveexec_b64 s[52:53], vcc
	s_cbranch_execnz .LBB14_17
.LBB14_94:
	s_or_b64 exec, exec, s[52:53]
	v_cmp_gt_i32_e32 vcc, s61, v8
	s_and_saveexec_b64 s[52:53], vcc
	s_cbranch_execz .LBB14_113
.LBB14_95:
	s_andn2_b64 vcc, exec, s[6:7]
	s_cbranch_vccnz .LBB14_101
; %bb.96:
	s_mov_b32 s54, 0
	s_andn2_b64 vcc, exec, s[50:51]
	v_mov_b32_e32 v2, 0
	v_mov_b32_e32 v0, 0
	s_cbranch_vccnz .LBB14_121
; %bb.97:
	s_add_i32 s63, s62, 1
	s_cmp_eq_u32 s60, 2
	s_cbranch_scc1 .LBB14_116
; %bb.98:
	s_and_b32 s54, s63, 28
	s_mov_b32 s55, 0
	v_mov_b32_e32 v0, 0
	s_mov_b64 s[56:57], s[4:5]
	s_mov_b64 s[58:59], s[48:49]
	v_mov_b32_e32 v3, v8
	v_mov_b32_e32 v2, 0
.LBB14_99:                              ; =>This Inner Loop Header: Depth=1
	s_load_dwordx8 s[24:31], s[56:57], 0x4
	s_load_dwordx4 s[40:43], s[56:57], 0x24
	s_load_dwordx8 s[16:23], s[58:59], 0x0
	s_add_u32 s56, s56, 48
	s_addc_u32 s57, s57, 0
	s_waitcnt lgkmcnt(0)
	v_mul_hi_u32 v1, s25, v3
	v_add_u32_e32 v1, v3, v1
	v_lshrrev_b32_e32 v1, s26, v1
	v_mul_lo_u32 v4, v1, s24
	v_mul_hi_u32 v5, s28, v1
	v_sub_u32_e32 v3, v3, v4
	v_add_u32_e32 v4, v1, v5
	v_lshrrev_b32_e32 v4, s29, v4
	v_mul_lo_u32 v6, v4, s27
	v_mul_hi_u32 v7, s31, v4
	v_sub_u32_e32 v1, v1, v6
	v_add_u32_e32 v6, v4, v7
	v_mul_lo_u32 v5, v3, s17
	v_mul_lo_u32 v3, v3, s16
	;; [unrolled: 1-line block ×4, first 2 shown]
	v_lshrrev_b32_e32 v6, s40, v6
	v_add3_u32 v0, v3, v0, v1
	v_mul_hi_u32 v3, s42, v6
	v_add_u32_e32 v3, v6, v3
	v_lshrrev_b32_e32 v3, s43, v3
	s_add_i32 s55, s55, 4
	v_add3_u32 v1, v5, v2, v7
	v_mul_lo_u32 v2, v6, s30
	v_mul_lo_u32 v5, v3, s41
	s_add_u32 s58, s58, 32
	v_sub_u32_e32 v2, v4, v2
	v_sub_u32_e32 v5, v6, v5
	s_addc_u32 s59, s59, 0
	v_mul_lo_u32 v4, v2, s20
	v_mul_lo_u32 v2, v2, s21
	;; [unrolled: 1-line block ×4, first 2 shown]
	s_cmp_eq_u32 s54, s55
	v_add3_u32 v2, v2, v1, v5
	v_add3_u32 v0, v4, v0, v6
	s_cbranch_scc0 .LBB14_99
; %bb.100:
	v_mov_b32_e32 v1, v2
	s_branch .LBB14_117
.LBB14_101:
                                        ; implicit-def: $vgpr2
                                        ; implicit-def: $vgpr0
	s_branch .LBB14_122
.LBB14_102:
	s_mov_b32 s55, s54
	v_pk_mov_b32 v[0:1], s[54:55], s[54:55] op_sel:[0,1]
                                        ; implicit-def: $vgpr2
	v_mov_b32_e32 v3, v8
.LBB14_103:
	s_and_b32 s20, s63, 3
	s_cmp_eq_u32 s20, 0
	s_cbranch_scc1 .LBB14_107
; %bb.104:
	s_lshl_b32 s16, s54, 3
	s_add_u32 s16, s16, s4
	s_addc_u32 s17, s5, 0
	s_add_u32 s16, s16, 0xc4
	s_addc_u32 s17, s17, 0
	s_mul_i32 s18, s54, 12
	s_add_u32 s18, s4, s18
	s_addc_u32 s19, s5, 0
.LBB14_105:                             ; =>This Inner Loop Header: Depth=1
	s_load_dwordx2 s[22:23], s[18:19], 0x4
	s_load_dword s21, s[18:19], 0xc
	s_load_dwordx2 s[24:25], s[16:17], 0x0
	v_mov_b32_e32 v2, v1
	s_add_u32 s18, s18, 12
	s_waitcnt lgkmcnt(0)
	v_mul_hi_u32 v1, s23, v3
	v_add_u32_e32 v1, v3, v1
	v_lshrrev_b32_e32 v1, s21, v1
	s_addc_u32 s19, s19, 0
	v_mul_lo_u32 v4, v1, s22
	s_add_u32 s16, s16, 8
	v_sub_u32_e32 v6, v3, v4
	v_mov_b32_e32 v3, v1
	s_addc_u32 s17, s17, 0
	s_add_i32 s20, s20, -1
	v_mad_u64_u32 v[4:5], s[22:23], v6, s25, v[2:3]
	v_mad_u64_u32 v[0:1], s[22:23], v6, s24, v[0:1]
	s_cmp_lg_u32 s20, 0
	v_mov_b32_e32 v1, v4
	s_cbranch_scc1 .LBB14_105
; %bb.106:
	v_mov_b32_e32 v2, v1
.LBB14_107:
	s_cbranch_execnz .LBB14_110
.LBB14_108:
	s_waitcnt lgkmcnt(0)
	v_mul_hi_u32 v0, s37, v8
	v_add_u32_e32 v0, v8, v0
	v_lshrrev_b32_e32 v1, s38, v0
	v_mul_lo_u32 v0, v1, s36
	v_sub_u32_e32 v0, v8, v0
	v_mul_lo_u32 v2, v0, s1
	s_andn2_b64 vcc, exec, s[46:47]
	v_mul_lo_u32 v0, v0, s0
	s_cbranch_vccnz .LBB14_110
; %bb.109:
	v_mul_hi_u32 v3, s44, v1
	v_add_u32_e32 v3, v1, v3
	v_lshrrev_b32_e32 v3, s45, v3
	v_mul_lo_u32 v3, v3, s39
	v_sub_u32_e32 v3, v1, v3
	v_mad_u64_u32 v[0:1], s[16:17], v3, s2, v[0:1]
	v_mad_u64_u32 v[2:3], s[16:17], v3, s3, v[2:3]
.LBB14_110:
	s_waitcnt lgkmcnt(0)
	global_load_dword v1, v2, s[10:11]
	s_mov_b32 s16, 0x7f800000
	s_waitcnt vmcnt(0)
	v_cmp_nlg_f32_e64 s[18:19], |v1|, s16
	s_and_saveexec_b64 s[16:17], s[18:19]
	s_cbranch_execz .LBB14_112
; %bb.111:
	v_mov_b32_e32 v2, 0
	v_mov_b32_e32 v3, 1.0
	global_store_dword v2, v3, s[12:13]
.LBB14_112:
	s_or_b64 exec, exec, s[16:17]
	v_mov_b32_e32 v2, 0
	global_load_dword v2, v2, s[14:15]
	v_add_u32_e32 v8, 0x80, v8
	s_waitcnt vmcnt(0)
	v_mul_f32_e32 v3, v1, v2
	v_cmp_eq_f32_e32 vcc, 1.0, v2
	v_cndmask_b32_e32 v1, v3, v1, vcc
	global_store_dword v0, v1, s[8:9]
	s_or_b64 exec, exec, s[52:53]
	v_cmp_gt_i32_e32 vcc, s61, v8
	s_and_saveexec_b64 s[52:53], vcc
	s_cbranch_execnz .LBB14_95
.LBB14_113:
	s_or_b64 exec, exec, s[52:53]
	v_cmp_gt_i32_e32 vcc, s61, v8
	s_and_saveexec_b64 s[52:53], vcc
	s_cbranch_execnz .LBB14_127
.LBB14_114:
	s_or_b64 exec, exec, s[52:53]
                                        ; implicit-def: $vgpr15
                                        ; implicit-def: $vgpr8
	s_waitcnt lgkmcnt(0)
	s_andn2_saveexec_b64 s[0:1], s[34:35]
	s_cbranch_execnz .LBB14_9
.LBB14_115:
	s_endpgm
.LBB14_116:
	s_mov_b32 s55, s54
	v_pk_mov_b32 v[0:1], s[54:55], s[54:55] op_sel:[0,1]
                                        ; implicit-def: $vgpr2
	v_mov_b32_e32 v3, v8
.LBB14_117:
	s_and_b32 s20, s63, 3
	s_cmp_eq_u32 s20, 0
	s_cbranch_scc1 .LBB14_121
; %bb.118:
	s_lshl_b32 s16, s54, 3
	s_add_u32 s16, s16, s4
	s_addc_u32 s17, s5, 0
	s_add_u32 s16, s16, 0xc4
	s_addc_u32 s17, s17, 0
	s_mul_i32 s18, s54, 12
	s_add_u32 s18, s4, s18
	s_addc_u32 s19, s5, 0
.LBB14_119:                             ; =>This Inner Loop Header: Depth=1
	s_load_dwordx2 s[22:23], s[18:19], 0x4
	s_load_dword s21, s[18:19], 0xc
	s_load_dwordx2 s[24:25], s[16:17], 0x0
	v_mov_b32_e32 v2, v1
	s_add_u32 s18, s18, 12
	s_waitcnt lgkmcnt(0)
	v_mul_hi_u32 v1, s23, v3
	v_add_u32_e32 v1, v3, v1
	v_lshrrev_b32_e32 v1, s21, v1
	s_addc_u32 s19, s19, 0
	v_mul_lo_u32 v4, v1, s22
	s_add_u32 s16, s16, 8
	v_sub_u32_e32 v6, v3, v4
	v_mov_b32_e32 v3, v1
	s_addc_u32 s17, s17, 0
	s_add_i32 s20, s20, -1
	v_mad_u64_u32 v[4:5], s[22:23], v6, s25, v[2:3]
	v_mad_u64_u32 v[0:1], s[22:23], v6, s24, v[0:1]
	s_cmp_lg_u32 s20, 0
	v_mov_b32_e32 v1, v4
	s_cbranch_scc1 .LBB14_119
; %bb.120:
	v_mov_b32_e32 v2, v1
.LBB14_121:
	s_cbranch_execnz .LBB14_124
.LBB14_122:
	s_waitcnt lgkmcnt(0)
	v_mul_hi_u32 v0, s37, v8
	v_add_u32_e32 v0, v8, v0
	v_lshrrev_b32_e32 v1, s38, v0
	v_mul_lo_u32 v0, v1, s36
	v_sub_u32_e32 v0, v8, v0
	v_mul_lo_u32 v2, v0, s1
	s_andn2_b64 vcc, exec, s[46:47]
	v_mul_lo_u32 v0, v0, s0
	s_cbranch_vccnz .LBB14_124
; %bb.123:
	v_mul_hi_u32 v3, s44, v1
	v_add_u32_e32 v3, v1, v3
	v_lshrrev_b32_e32 v3, s45, v3
	v_mul_lo_u32 v3, v3, s39
	v_sub_u32_e32 v3, v1, v3
	v_mad_u64_u32 v[0:1], s[16:17], v3, s2, v[0:1]
	v_mad_u64_u32 v[2:3], s[16:17], v3, s3, v[2:3]
.LBB14_124:
	s_waitcnt lgkmcnt(0)
	global_load_dword v1, v2, s[10:11]
	s_mov_b32 s16, 0x7f800000
	s_waitcnt vmcnt(0)
	v_cmp_nlg_f32_e64 s[18:19], |v1|, s16
	s_and_saveexec_b64 s[16:17], s[18:19]
	s_cbranch_execz .LBB14_126
; %bb.125:
	v_mov_b32_e32 v2, 0
	v_mov_b32_e32 v3, 1.0
	global_store_dword v2, v3, s[12:13]
.LBB14_126:
	s_or_b64 exec, exec, s[16:17]
	v_mov_b32_e32 v2, 0
	global_load_dword v2, v2, s[14:15]
	v_add_u32_e32 v8, 0x80, v8
	s_waitcnt vmcnt(0)
	v_mul_f32_e32 v3, v1, v2
	v_cmp_eq_f32_e32 vcc, 1.0, v2
	v_cndmask_b32_e32 v1, v3, v1, vcc
	global_store_dword v0, v1, s[8:9]
	s_or_b64 exec, exec, s[52:53]
	v_cmp_gt_i32_e32 vcc, s61, v8
	s_and_saveexec_b64 s[52:53], vcc
	s_cbranch_execz .LBB14_114
.LBB14_127:
	s_andn2_b64 vcc, exec, s[6:7]
	s_cbranch_vccnz .LBB14_133
; %bb.128:
	s_mov_b32 s54, 0
	s_andn2_b64 vcc, exec, s[50:51]
	v_mov_b32_e32 v2, 0
	v_mov_b32_e32 v0, 0
	s_cbranch_vccnz .LBB14_139
; %bb.129:
	s_add_i32 s62, s62, 1
	s_cmp_eq_u32 s60, 2
	s_cbranch_scc1 .LBB14_134
; %bb.130:
	s_and_b32 s54, s62, 28
	s_mov_b32 s55, 0
	v_mov_b32_e32 v0, 0
	s_mov_b64 s[50:51], s[4:5]
	v_mov_b32_e32 v3, v8
	v_mov_b32_e32 v2, 0
.LBB14_131:                             ; =>This Inner Loop Header: Depth=1
	s_load_dwordx8 s[24:31], s[50:51], 0x4
	s_load_dwordx4 s[40:43], s[50:51], 0x24
	s_load_dwordx8 s[16:23], s[48:49], 0x0
	s_add_u32 s50, s50, 48
	s_addc_u32 s51, s51, 0
	s_waitcnt lgkmcnt(0)
	v_mul_hi_u32 v1, s25, v3
	v_add_u32_e32 v1, v3, v1
	v_lshrrev_b32_e32 v1, s26, v1
	v_mul_lo_u32 v4, v1, s24
	v_mul_hi_u32 v5, s28, v1
	v_sub_u32_e32 v3, v3, v4
	v_add_u32_e32 v4, v1, v5
	v_lshrrev_b32_e32 v4, s29, v4
	v_mul_lo_u32 v6, v4, s27
	v_mul_hi_u32 v7, s31, v4
	v_sub_u32_e32 v1, v1, v6
	v_add_u32_e32 v6, v4, v7
	v_mul_lo_u32 v5, v3, s17
	v_mul_lo_u32 v3, v3, s16
	;; [unrolled: 1-line block ×4, first 2 shown]
	v_lshrrev_b32_e32 v6, s40, v6
	v_add3_u32 v0, v3, v0, v1
	v_mul_hi_u32 v3, s42, v6
	v_add_u32_e32 v3, v6, v3
	v_lshrrev_b32_e32 v3, s43, v3
	s_add_i32 s55, s55, 4
	v_add3_u32 v1, v5, v2, v7
	v_mul_lo_u32 v2, v6, s30
	v_mul_lo_u32 v5, v3, s41
	s_add_u32 s48, s48, 32
	v_sub_u32_e32 v2, v4, v2
	v_sub_u32_e32 v5, v6, v5
	s_addc_u32 s49, s49, 0
	v_mul_lo_u32 v4, v2, s20
	v_mul_lo_u32 v2, v2, s21
	v_mul_lo_u32 v6, v5, s22
	v_mul_lo_u32 v5, v5, s23
	s_cmp_eq_u32 s54, s55
	v_add3_u32 v2, v2, v1, v5
	v_add3_u32 v0, v4, v0, v6
	s_cbranch_scc0 .LBB14_131
; %bb.132:
	v_mov_b32_e32 v1, v2
	s_branch .LBB14_135
.LBB14_133:
                                        ; implicit-def: $vgpr2
                                        ; implicit-def: $vgpr0
	s_branch .LBB14_140
.LBB14_134:
	s_mov_b32 s55, s54
	v_pk_mov_b32 v[0:1], s[54:55], s[54:55] op_sel:[0,1]
                                        ; implicit-def: $vgpr2
	v_mov_b32_e32 v3, v8
.LBB14_135:
	s_and_b32 s20, s62, 3
	s_cmp_eq_u32 s20, 0
	s_cbranch_scc1 .LBB14_139
; %bb.136:
	s_lshl_b32 s16, s54, 3
	s_add_u32 s16, s16, s4
	s_addc_u32 s17, s5, 0
	s_add_u32 s16, s16, 0xc4
	s_addc_u32 s17, s17, 0
	s_mul_i32 s18, s54, 12
	s_add_u32 s18, s4, s18
	s_addc_u32 s19, s5, 0
.LBB14_137:                             ; =>This Inner Loop Header: Depth=1
	s_load_dwordx2 s[22:23], s[18:19], 0x4
	s_load_dword s21, s[18:19], 0xc
	s_load_dwordx2 s[24:25], s[16:17], 0x0
	v_mov_b32_e32 v2, v1
	s_add_u32 s18, s18, 12
	s_waitcnt lgkmcnt(0)
	v_mul_hi_u32 v1, s23, v3
	v_add_u32_e32 v1, v3, v1
	v_lshrrev_b32_e32 v1, s21, v1
	s_addc_u32 s19, s19, 0
	v_mul_lo_u32 v4, v1, s22
	s_add_u32 s16, s16, 8
	v_sub_u32_e32 v6, v3, v4
	v_mov_b32_e32 v3, v1
	s_addc_u32 s17, s17, 0
	s_add_i32 s20, s20, -1
	v_mad_u64_u32 v[4:5], s[22:23], v6, s25, v[2:3]
	v_mad_u64_u32 v[0:1], s[22:23], v6, s24, v[0:1]
	s_cmp_lg_u32 s20, 0
	v_mov_b32_e32 v1, v4
	s_cbranch_scc1 .LBB14_137
; %bb.138:
	v_mov_b32_e32 v2, v1
.LBB14_139:
	s_cbranch_execnz .LBB14_142
.LBB14_140:
	s_waitcnt lgkmcnt(0)
	v_mul_hi_u32 v0, s37, v8
	v_add_u32_e32 v0, v8, v0
	v_lshrrev_b32_e32 v1, s38, v0
	v_mul_lo_u32 v0, v1, s36
	v_sub_u32_e32 v0, v8, v0
	v_mul_lo_u32 v2, v0, s1
	s_andn2_b64 vcc, exec, s[46:47]
	v_mul_lo_u32 v0, v0, s0
	s_cbranch_vccnz .LBB14_142
; %bb.141:
	v_mul_hi_u32 v3, s44, v1
	v_add_u32_e32 v3, v1, v3
	v_lshrrev_b32_e32 v3, s45, v3
	v_mul_lo_u32 v3, v3, s39
	v_sub_u32_e32 v3, v1, v3
	v_mad_u64_u32 v[0:1], s[0:1], v3, s2, v[0:1]
	v_mad_u64_u32 v[2:3], s[0:1], v3, s3, v[2:3]
.LBB14_142:
	s_waitcnt lgkmcnt(0)
	global_load_dword v1, v2, s[10:11]
	s_mov_b32 s0, 0x7f800000
	s_waitcnt vmcnt(0)
	v_cmp_nlg_f32_e64 s[2:3], |v1|, s0
	s_and_saveexec_b64 s[0:1], s[2:3]
	s_cbranch_execz .LBB14_144
; %bb.143:
	v_mov_b32_e32 v2, 0
	v_mov_b32_e32 v3, 1.0
	global_store_dword v2, v3, s[12:13]
.LBB14_144:
	s_or_b64 exec, exec, s[0:1]
	v_mov_b32_e32 v2, 0
	global_load_dword v2, v2, s[14:15]
	s_waitcnt vmcnt(0)
	v_mul_f32_e32 v3, v1, v2
	v_cmp_eq_f32_e32 vcc, 1.0, v2
	v_cndmask_b32_e32 v1, v3, v1, vcc
	global_store_dword v0, v1, s[8:9]
	s_or_b64 exec, exec, s[52:53]
                                        ; implicit-def: $vgpr15
                                        ; implicit-def: $vgpr8
	s_andn2_saveexec_b64 s[0:1], s[34:35]
	s_cbranch_execz .LBB14_115
	s_branch .LBB14_9
	.section	.rodata,"a",@progbits
	.p2align	6, 0x0
	.amdhsa_kernel _ZN2at6native32elementwise_kernel_manual_unrollILi128ELi4EZNS0_22gpu_kernel_impl_nocastIZZZNS0_12_GLOBAL__N_139_amp_non_finite_check_and_unscale_cuda_ERNS_6TensorES5_RKS4_ENKUlvE_clEvENKUlvE0_clEvEUlfE_EEvRNS_18TensorIteratorBaseERKT_EUlibE_EEviT1_
		.amdhsa_group_segment_fixed_size 0
		.amdhsa_private_segment_fixed_size 0
		.amdhsa_kernarg_size 368
		.amdhsa_user_sgpr_count 6
		.amdhsa_user_sgpr_private_segment_buffer 1
		.amdhsa_user_sgpr_dispatch_ptr 0
		.amdhsa_user_sgpr_queue_ptr 0
		.amdhsa_user_sgpr_kernarg_segment_ptr 1
		.amdhsa_user_sgpr_dispatch_id 0
		.amdhsa_user_sgpr_flat_scratch_init 0
		.amdhsa_user_sgpr_kernarg_preload_length 0
		.amdhsa_user_sgpr_kernarg_preload_offset 0
		.amdhsa_user_sgpr_private_segment_size 0
		.amdhsa_uses_dynamic_stack 0
		.amdhsa_system_sgpr_private_segment_wavefront_offset 0
		.amdhsa_system_sgpr_workgroup_id_x 1
		.amdhsa_system_sgpr_workgroup_id_y 0
		.amdhsa_system_sgpr_workgroup_id_z 0
		.amdhsa_system_sgpr_workgroup_info 0
		.amdhsa_system_vgpr_workitem_id 0
		.amdhsa_next_free_vgpr 18
		.amdhsa_next_free_sgpr 64
		.amdhsa_accum_offset 20
		.amdhsa_reserve_vcc 1
		.amdhsa_reserve_flat_scratch 0
		.amdhsa_float_round_mode_32 0
		.amdhsa_float_round_mode_16_64 0
		.amdhsa_float_denorm_mode_32 3
		.amdhsa_float_denorm_mode_16_64 3
		.amdhsa_dx10_clamp 1
		.amdhsa_ieee_mode 1
		.amdhsa_fp16_overflow 0
		.amdhsa_tg_split 0
		.amdhsa_exception_fp_ieee_invalid_op 0
		.amdhsa_exception_fp_denorm_src 0
		.amdhsa_exception_fp_ieee_div_zero 0
		.amdhsa_exception_fp_ieee_overflow 0
		.amdhsa_exception_fp_ieee_underflow 0
		.amdhsa_exception_fp_ieee_inexact 0
		.amdhsa_exception_int_div_zero 0
	.end_amdhsa_kernel
	.section	.text._ZN2at6native32elementwise_kernel_manual_unrollILi128ELi4EZNS0_22gpu_kernel_impl_nocastIZZZNS0_12_GLOBAL__N_139_amp_non_finite_check_and_unscale_cuda_ERNS_6TensorES5_RKS4_ENKUlvE_clEvENKUlvE0_clEvEUlfE_EEvRNS_18TensorIteratorBaseERKT_EUlibE_EEviT1_,"axG",@progbits,_ZN2at6native32elementwise_kernel_manual_unrollILi128ELi4EZNS0_22gpu_kernel_impl_nocastIZZZNS0_12_GLOBAL__N_139_amp_non_finite_check_and_unscale_cuda_ERNS_6TensorES5_RKS4_ENKUlvE_clEvENKUlvE0_clEvEUlfE_EEvRNS_18TensorIteratorBaseERKT_EUlibE_EEviT1_,comdat
.Lfunc_end14:
	.size	_ZN2at6native32elementwise_kernel_manual_unrollILi128ELi4EZNS0_22gpu_kernel_impl_nocastIZZZNS0_12_GLOBAL__N_139_amp_non_finite_check_and_unscale_cuda_ERNS_6TensorES5_RKS4_ENKUlvE_clEvENKUlvE0_clEvEUlfE_EEvRNS_18TensorIteratorBaseERKT_EUlibE_EEviT1_, .Lfunc_end14-_ZN2at6native32elementwise_kernel_manual_unrollILi128ELi4EZNS0_22gpu_kernel_impl_nocastIZZZNS0_12_GLOBAL__N_139_amp_non_finite_check_and_unscale_cuda_ERNS_6TensorES5_RKS4_ENKUlvE_clEvENKUlvE0_clEvEUlfE_EEvRNS_18TensorIteratorBaseERKT_EUlibE_EEviT1_
                                        ; -- End function
	.section	.AMDGPU.csdata,"",@progbits
; Kernel info:
; codeLenInByte = 6420
; NumSgprs: 68
; NumVgprs: 18
; NumAgprs: 0
; TotalNumVgprs: 18
; ScratchSize: 0
; MemoryBound: 0
; FloatMode: 240
; IeeeMode: 1
; LDSByteSize: 0 bytes/workgroup (compile time only)
; SGPRBlocks: 8
; VGPRBlocks: 2
; NumSGPRsForWavesPerEU: 68
; NumVGPRsForWavesPerEU: 18
; AccumOffset: 20
; Occupancy: 8
; WaveLimiterHint : 1
; COMPUTE_PGM_RSRC2:SCRATCH_EN: 0
; COMPUTE_PGM_RSRC2:USER_SGPR: 6
; COMPUTE_PGM_RSRC2:TRAP_HANDLER: 0
; COMPUTE_PGM_RSRC2:TGID_X_EN: 1
; COMPUTE_PGM_RSRC2:TGID_Y_EN: 0
; COMPUTE_PGM_RSRC2:TGID_Z_EN: 0
; COMPUTE_PGM_RSRC2:TIDIG_COMP_CNT: 0
; COMPUTE_PGM_RSRC3_GFX90A:ACCUM_OFFSET: 4
; COMPUTE_PGM_RSRC3_GFX90A:TG_SPLIT: 0
	.section	.text._ZN2at6native32elementwise_kernel_manual_unrollILi128ELi4EZNS0_15gpu_kernel_implIZZZNS0_12_GLOBAL__N_139_amp_non_finite_check_and_unscale_cuda_ERNS_6TensorES5_RKS4_ENKUlvE_clEvENKUlvE0_clEvEUlfE_EEvRNS_18TensorIteratorBaseERKT_EUlibE_EEviT1_,"axG",@progbits,_ZN2at6native32elementwise_kernel_manual_unrollILi128ELi4EZNS0_15gpu_kernel_implIZZZNS0_12_GLOBAL__N_139_amp_non_finite_check_and_unscale_cuda_ERNS_6TensorES5_RKS4_ENKUlvE_clEvENKUlvE0_clEvEUlfE_EEvRNS_18TensorIteratorBaseERKT_EUlibE_EEviT1_,comdat
	.globl	_ZN2at6native32elementwise_kernel_manual_unrollILi128ELi4EZNS0_15gpu_kernel_implIZZZNS0_12_GLOBAL__N_139_amp_non_finite_check_and_unscale_cuda_ERNS_6TensorES5_RKS4_ENKUlvE_clEvENKUlvE0_clEvEUlfE_EEvRNS_18TensorIteratorBaseERKT_EUlibE_EEviT1_ ; -- Begin function _ZN2at6native32elementwise_kernel_manual_unrollILi128ELi4EZNS0_15gpu_kernel_implIZZZNS0_12_GLOBAL__N_139_amp_non_finite_check_and_unscale_cuda_ERNS_6TensorES5_RKS4_ENKUlvE_clEvENKUlvE0_clEvEUlfE_EEvRNS_18TensorIteratorBaseERKT_EUlibE_EEviT1_
	.p2align	8
	.type	_ZN2at6native32elementwise_kernel_manual_unrollILi128ELi4EZNS0_15gpu_kernel_implIZZZNS0_12_GLOBAL__N_139_amp_non_finite_check_and_unscale_cuda_ERNS_6TensorES5_RKS4_ENKUlvE_clEvENKUlvE0_clEvEUlfE_EEvRNS_18TensorIteratorBaseERKT_EUlibE_EEviT1_,@function
_ZN2at6native32elementwise_kernel_manual_unrollILi128ELi4EZNS0_15gpu_kernel_implIZZZNS0_12_GLOBAL__N_139_amp_non_finite_check_and_unscale_cuda_ERNS_6TensorES5_RKS4_ENKUlvE_clEvENKUlvE0_clEvEUlfE_EEvRNS_18TensorIteratorBaseERKT_EUlibE_EEviT1_: ; @_ZN2at6native32elementwise_kernel_manual_unrollILi128ELi4EZNS0_15gpu_kernel_implIZZZNS0_12_GLOBAL__N_139_amp_non_finite_check_and_unscale_cuda_ERNS_6TensorES5_RKS4_ENKUlvE_clEvENKUlvE0_clEvEUlfE_EEvRNS_18TensorIteratorBaseERKT_EUlibE_EEviT1_
; %bb.0:
	s_load_dword s33, s[4:5], 0x30
	s_load_dword s42, s[4:5], 0x0
	s_load_dwordx4 s[8:11], s[4:5], 0x8
	s_load_dwordx2 s[2:3], s[4:5], 0x18
	s_load_dwordx4 s[12:15], s[4:5], 0x20
	v_lshl_or_b32 v4, s6, 9, v0
	v_or_b32_e32 v0, 0x180, v4
	s_waitcnt lgkmcnt(0)
	v_lshrrev_b16_e64 v5, 8, s33
	v_cmp_le_i32_e32 vcc, s42, v0
	s_mov_b64 s[4:5], 0
	s_mov_b64 s[16:17], 0
	s_and_saveexec_b64 s[0:1], vcc
	s_xor_b64 s[6:7], exec, s[0:1]
	s_cbranch_execz .LBB15_1035
; %bb.1:
	v_cmp_gt_i32_e32 vcc, s42, v4
	s_mov_b64 s[22:23], -1
	s_mov_b64 s[24:25], 0
	s_mov_b64 s[18:19], 0
	s_and_saveexec_b64 s[20:21], vcc
	s_cbranch_execz .LBB15_254
; %bb.2:
	v_mul_lo_u32 v0, v4, s3
	v_ashrrev_i32_e32 v1, 31, v0
	v_mov_b32_e32 v2, s11
	v_add_co_u32_e32 v0, vcc, s10, v0
	v_addc_co_u32_e32 v1, vcc, v2, v1, vcc
	v_cmp_gt_i16_e32 vcc, 11, v5
	s_cbranch_vccnz .LBB15_9
; %bb.3:
	v_cmp_lt_i16_e32 vcc, 25, v5
	s_cbranch_vccz .LBB15_20
; %bb.4:
	v_cmp_lt_i16_e32 vcc, 28, v5
	s_cbranch_vccz .LBB15_24
	;; [unrolled: 3-line block ×4, first 2 shown]
; %bb.7:
	v_cmp_eq_u16_e32 vcc, 46, v5
	s_cbranch_vccz .LBB15_30
; %bb.8:
	global_load_dword v2, v[0:1], off
	s_mov_b64 s[0:1], -1
	s_waitcnt vmcnt(0)
	v_lshlrev_b32_e32 v2, 16, v2
	s_branch .LBB15_32
.LBB15_9:
                                        ; implicit-def: $vgpr2
	s_mov_b64 s[0:1], 0
	s_cbranch_execnz .LBB15_205
.LBB15_10:
	s_andn2_b64 vcc, exec, s[0:1]
	s_cbranch_vccnz .LBB15_252
.LBB15_11:
	s_mov_b32 s0, 0x7f800000
	s_waitcnt vmcnt(0)
	v_cmp_nlg_f32_e64 s[16:17], |v2|, s0
	s_and_saveexec_b64 s[0:1], s[16:17]
	s_cbranch_execz .LBB15_13
; %bb.12:
	v_mov_b32_e32 v0, 0
	v_mov_b32_e32 v1, 1.0
	global_store_dword v0, v1, s[12:13]
.LBB15_13:
	s_or_b64 exec, exec, s[0:1]
	v_mov_b32_e32 v0, 0
	global_load_dword v3, v0, s[14:15]
	v_mul_lo_u32 v0, v4, s2
	v_mov_b32_e32 v1, s9
	v_mov_b32_e32 v6, 11
	v_ashrrev_i32_e32 v7, 31, v0
	v_add_co_u32_e32 v0, vcc, s8, v0
	v_cmp_lt_i16_sdwa s[0:1], s33, v6 src0_sel:BYTE_0 src1_sel:DWORD
	v_addc_co_u32_e32 v1, vcc, v1, v7, vcc
	s_and_b64 vcc, exec, s[0:1]
	s_waitcnt vmcnt(0)
	v_mul_f32_e32 v6, v2, v3
	v_cmp_eq_f32_e64 s[0:1], 1.0, v3
	v_cndmask_b32_e64 v2, v6, v2, s[0:1]
	s_cbranch_vccnz .LBB15_21
; %bb.14:
	v_mov_b32_e32 v3, 25
	v_cmp_gt_i16_sdwa s[0:1], s33, v3 src0_sel:BYTE_0 src1_sel:DWORD
	s_and_b64 vcc, exec, s[0:1]
	s_cbranch_vccz .LBB15_25
; %bb.15:
	v_mov_b32_e32 v3, 28
	v_cmp_gt_i16_sdwa s[0:1], s33, v3 src0_sel:BYTE_0 src1_sel:DWORD
	s_and_b64 vcc, exec, s[0:1]
	s_cbranch_vccz .LBB15_27
	;; [unrolled: 5-line block ×4, first 2 shown]
; %bb.18:
	v_mov_b32_e32 v3, 46
	v_cmp_eq_u16_sdwa s[16:17], s33, v3 src0_sel:BYTE_0 src1_sel:DWORD
	s_mov_b64 s[22:23], 0
	s_mov_b64 s[0:1], -1
	s_and_b64 vcc, exec, s[16:17]
	s_mov_b64 s[16:17], 0
	s_cbranch_vccz .LBB15_36
; %bb.19:
	v_bfe_u32 v3, v2, 16, 1
	s_movk_i32 s0, 0x7fff
	v_add3_u32 v3, v2, v3, s0
	v_lshrrev_b32_e32 v3, 16, v3
	v_mov_b32_e32 v6, 0x7fc0
	v_cmp_o_f32_e32 vcc, v2, v2
	v_cndmask_b32_e32 v3, v6, v3, vcc
	global_store_dword v[0:1], v3, off
	s_mov_b64 s[16:17], -1
	s_mov_b64 s[0:1], 0
	s_branch .LBB15_36
.LBB15_20:
	s_mov_b64 s[0:1], 0
                                        ; implicit-def: $vgpr2
	s_cbranch_execnz .LBB15_170
	s_branch .LBB15_204
.LBB15_21:
	s_mov_b64 s[0:1], 0
	s_mov_b64 s[16:17], 0
	s_cbranch_execnz .LBB15_105
.LBB15_22:
	s_andn2_b64 vcc, exec, s[16:17]
	s_cbranch_vccnz .LBB15_143
.LBB15_23:
	v_add_u32_e32 v4, 0x80, v4
	s_mov_b64 s[22:23], -1
	s_branch .LBB15_253
.LBB15_24:
	s_mov_b64 s[16:17], -1
	s_mov_b64 s[0:1], 0
                                        ; implicit-def: $vgpr2
	s_branch .LBB15_151
.LBB15_25:
	s_mov_b64 s[22:23], -1
	s_mov_b64 s[0:1], 0
	s_mov_b64 s[16:17], 0
	s_branch .LBB15_63
.LBB15_26:
	s_mov_b64 s[16:17], -1
	s_mov_b64 s[0:1], 0
                                        ; implicit-def: $vgpr2
	s_branch .LBB15_146
.LBB15_27:
	s_mov_b64 s[22:23], -1
	s_mov_b64 s[0:1], 0
	s_mov_b64 s[16:17], 0
	s_branch .LBB15_46
.LBB15_28:
	s_mov_b64 s[16:17], -1
	s_branch .LBB15_31
.LBB15_29:
	s_mov_b64 s[22:23], -1
	s_mov_b64 s[0:1], 0
	s_mov_b64 s[16:17], 0
	s_branch .LBB15_42
.LBB15_30:
	s_mov_b64 s[18:19], -1
.LBB15_31:
	s_mov_b64 s[0:1], 0
                                        ; implicit-def: $vgpr2
.LBB15_32:
	s_and_b64 vcc, exec, s[16:17]
	s_cbranch_vccz .LBB15_145
; %bb.33:
	v_cmp_eq_u16_e32 vcc, 44, v5
	s_cbranch_vccz .LBB15_144
; %bb.34:
	global_load_ubyte v2, v[0:1], off
	s_movk_i32 s16, 0xff
	v_mov_b32_e32 v3, 0x7f800001
	v_mov_b32_e32 v6, 0x400000
	s_mov_b64 s[0:1], -1
	s_mov_b64 s[18:19], 0
	s_waitcnt vmcnt(0)
	v_lshlrev_b32_e32 v7, 23, v2
	v_cmp_ne_u32_e32 vcc, s16, v2
	v_cndmask_b32_e32 v3, v3, v7, vcc
	v_cmp_ne_u32_e32 vcc, 0, v2
	v_cndmask_b32_e32 v2, v6, v3, vcc
	s_branch .LBB15_145
.LBB15_35:
	s_mov_b64 s[22:23], -1
	s_mov_b64 s[0:1], 0
	s_mov_b64 s[16:17], 0
.LBB15_36:
	s_and_b64 vcc, exec, s[22:23]
	s_cbranch_vccz .LBB15_41
; %bb.37:
	v_mov_b32_e32 v3, 44
	v_cmp_eq_u16_sdwa s[22:23], s33, v3 src0_sel:BYTE_0 src1_sel:DWORD
	s_mov_b64 s[0:1], -1
	s_and_b64 vcc, exec, s[22:23]
	s_cbranch_vccz .LBB15_41
; %bb.38:
	v_bfe_u32 v3, v2, 23, 8
	s_movk_i32 s0, 0xff
	v_cmp_ne_u32_e32 vcc, s0, v3
	v_mov_b32_e32 v6, 0xff
	s_and_saveexec_b64 s[16:17], vcc
; %bb.39:
	s_mov_b32 s0, 0x3fffff
	v_and_b32_e32 v7, 0x400000, v2
	v_and_or_b32 v3, v2, s0, v3
	v_cmp_ne_u32_e32 vcc, 0, v7
	v_cmp_ne_u32_e64 s[0:1], 0, v3
	s_and_b64 s[0:1], vcc, s[0:1]
	v_lshrrev_b32_e32 v6, 23, v2
	v_cndmask_b32_e64 v3, 0, 1, s[0:1]
	v_add_u32_e32 v6, v6, v3
; %bb.40:
	s_or_b64 exec, exec, s[16:17]
	s_mov_b64 s[16:17], -1
	s_mov_b64 s[0:1], 0
	global_store_byte v[0:1], v6, off
.LBB15_41:
	s_mov_b64 s[22:23], 0
.LBB15_42:
	s_and_b64 vcc, exec, s[22:23]
	s_cbranch_vccz .LBB15_45
; %bb.43:
	v_mov_b32_e32 v3, 29
	v_cmp_eq_u16_sdwa s[22:23], s33, v3 src0_sel:BYTE_0 src1_sel:DWORD
	s_mov_b64 s[0:1], -1
	s_and_b64 vcc, exec, s[22:23]
	s_cbranch_vccz .LBB15_45
; %bb.44:
	v_trunc_f32_e32 v3, v2
	v_mul_f32_e32 v6, 0x2f800000, v3
	v_floor_f32_e32 v6, v6
	v_fmac_f32_e32 v3, 0xcf800000, v6
	v_cvt_u32_f32_e32 v7, v6
	v_cvt_u32_f32_e32 v6, v3
	s_mov_b64 s[16:17], -1
	s_mov_b64 s[0:1], 0
	s_mov_b64 s[22:23], 0
	global_store_dwordx2 v[0:1], v[6:7], off
	s_branch .LBB15_46
.LBB15_45:
	s_mov_b64 s[22:23], 0
.LBB15_46:
	s_and_b64 vcc, exec, s[22:23]
	s_cbranch_vccz .LBB15_62
; %bb.47:
	v_mov_b32_e32 v3, 27
	v_cmp_lt_i16_sdwa s[22:23], s33, v3 src0_sel:BYTE_0 src1_sel:DWORD
	s_mov_b64 s[16:17], -1
	s_and_b64 vcc, exec, s[22:23]
	s_cbranch_vccnz .LBB15_53
; %bb.48:
	v_cmp_gt_i16_sdwa s[22:23], s33, v3 src0_sel:BYTE_0 src1_sel:DWORD
	v_cvt_u32_f32_e32 v3, v2
	s_and_b64 vcc, exec, s[22:23]
	s_cbranch_vccz .LBB15_50
; %bb.49:
	s_mov_b64 s[16:17], 0
	global_store_dword v[0:1], v3, off
.LBB15_50:
	s_andn2_b64 vcc, exec, s[16:17]
	s_cbranch_vccnz .LBB15_52
; %bb.51:
	global_store_short v[0:1], v3, off
.LBB15_52:
	s_mov_b64 s[16:17], 0
.LBB15_53:
	s_andn2_b64 vcc, exec, s[16:17]
	s_cbranch_vccnz .LBB15_61
; %bb.54:
	v_and_b32_e32 v3, 0x7fffffff, v2
	s_mov_b32 s16, 0x43800000
	v_cmp_gt_u32_e32 vcc, s16, v3
	v_mov_b32_e32 v6, 0x80
	s_and_saveexec_b64 s[16:17], vcc
	s_cbranch_execz .LBB15_60
; %bb.55:
	s_mov_b32 s22, 0x3bffffff
	v_cmp_lt_u32_e32 vcc, s22, v3
	s_mov_b64 s[22:23], 0
                                        ; implicit-def: $vgpr3
	s_and_saveexec_b64 s[26:27], vcc
	s_xor_b64 s[26:27], exec, s[26:27]
	s_cbranch_execz .LBB15_283
; %bb.56:
	v_bfe_u32 v3, v2, 20, 1
	s_mov_b32 s28, 0x487ffff
	v_add3_u32 v3, v2, v3, s28
	s_mov_b64 s[22:23], exec
	v_lshrrev_b32_e32 v3, 20, v3
	s_or_saveexec_b64 s[26:27], s[26:27]
                                        ; implicit-def: $sgpr28
	s_xor_b64 exec, exec, s[26:27]
	s_cbranch_execnz .LBB15_284
.LBB15_57:
	s_or_b64 exec, exec, s[26:27]
	v_mov_b32_e32 v6, s28
	s_and_saveexec_b64 s[26:27], s[22:23]
.LBB15_58:
	v_lshrrev_b32_e32 v6, 24, v2
	s_movk_i32 s22, 0x80
	v_and_or_b32 v6, v6, s22, v3
.LBB15_59:
	s_or_b64 exec, exec, s[26:27]
.LBB15_60:
	s_or_b64 exec, exec, s[16:17]
	global_store_byte v[0:1], v6, off
.LBB15_61:
	s_mov_b64 s[16:17], -1
.LBB15_62:
	s_mov_b64 s[22:23], 0
.LBB15_63:
	s_and_b64 vcc, exec, s[22:23]
	s_cbranch_vccz .LBB15_104
; %bb.64:
	v_mov_b32_e32 v3, 22
	v_cmp_gt_i16_sdwa s[26:27], s33, v3 src0_sel:BYTE_0 src1_sel:DWORD
	s_mov_b64 s[22:23], -1
	s_and_b64 vcc, exec, s[26:27]
	s_cbranch_vccz .LBB15_96
; %bb.65:
	v_mov_b32_e32 v3, 24
	v_cmp_lt_i16_sdwa s[22:23], s33, v3 src0_sel:BYTE_0 src1_sel:DWORD
	s_mov_b64 s[16:17], -1
	s_and_b64 vcc, exec, s[22:23]
	s_cbranch_vccnz .LBB15_85
; %bb.66:
	v_cmp_gt_i16_sdwa s[22:23], s33, v3 src0_sel:BYTE_0 src1_sel:DWORD
	s_and_b64 vcc, exec, s[22:23]
	s_cbranch_vccz .LBB15_74
; %bb.67:
	v_and_b32_e32 v3, 0x7fffffff, v2
	s_mov_b32 s16, 0x47800000
	v_cmp_gt_u32_e32 vcc, s16, v3
	v_mov_b32_e32 v6, 0x80
	s_and_saveexec_b64 s[16:17], vcc
	s_cbranch_execz .LBB15_73
; %bb.68:
	s_mov_b32 s22, 0x37ffffff
	v_cmp_lt_u32_e32 vcc, s22, v3
	s_mov_b64 s[22:23], 0
                                        ; implicit-def: $vgpr3
	s_and_saveexec_b64 s[26:27], vcc
	s_xor_b64 s[26:27], exec, s[26:27]
	s_cbranch_execz .LBB15_287
; %bb.69:
	v_bfe_u32 v3, v2, 21, 1
	s_mov_b32 s28, 0x88fffff
	v_add3_u32 v3, v2, v3, s28
	s_mov_b64 s[22:23], exec
	v_lshrrev_b32_e32 v3, 21, v3
	s_or_saveexec_b64 s[26:27], s[26:27]
                                        ; implicit-def: $sgpr28
	s_xor_b64 exec, exec, s[26:27]
	s_cbranch_execnz .LBB15_288
.LBB15_70:
	s_or_b64 exec, exec, s[26:27]
	v_mov_b32_e32 v6, s28
	s_and_saveexec_b64 s[26:27], s[22:23]
.LBB15_71:
	v_lshrrev_b32_e32 v6, 24, v2
	s_movk_i32 s22, 0x80
	v_and_or_b32 v6, v6, s22, v3
.LBB15_72:
	s_or_b64 exec, exec, s[26:27]
.LBB15_73:
	s_or_b64 exec, exec, s[16:17]
	s_mov_b64 s[16:17], 0
	global_store_byte v[0:1], v6, off
.LBB15_74:
	s_and_b64 vcc, exec, s[16:17]
	s_cbranch_vccz .LBB15_84
; %bb.75:
	v_and_b32_e32 v6, 0x7fffffff, v2
	s_mov_b32 s16, 0x43f00000
	v_cmp_gt_u32_e32 vcc, s16, v6
                                        ; implicit-def: $vgpr3
	s_and_saveexec_b64 s[16:17], vcc
	s_xor_b64 s[16:17], exec, s[16:17]
	s_cbranch_execz .LBB15_81
; %bb.76:
	s_mov_b32 s22, 0x3c7fffff
	v_cmp_lt_u32_e32 vcc, s22, v6
                                        ; implicit-def: $vgpr3
	s_and_saveexec_b64 s[22:23], vcc
	s_xor_b64 s[22:23], exec, s[22:23]
; %bb.77:
	v_bfe_u32 v3, v2, 20, 1
	s_mov_b32 s26, 0x407ffff
	v_add3_u32 v3, v2, v3, s26
	v_lshrrev_b32_e32 v6, 20, v3
	v_and_b32_e32 v3, 0xff00000, v3
	s_mov_b32 s26, 0x7f00000
	v_mov_b32_e32 v7, 0x7e
	v_cmp_ne_u32_e32 vcc, s26, v3
	v_cndmask_b32_e32 v3, v7, v6, vcc
; %bb.78:
	s_andn2_saveexec_b64 s[22:23], s[22:23]
; %bb.79:
	s_mov_b32 s26, 0x46800000
	v_add_f32_e64 v3, |v2|, s26
; %bb.80:
	s_or_b64 exec, exec, s[22:23]
                                        ; implicit-def: $vgpr6
.LBB15_81:
	s_andn2_saveexec_b64 s[16:17], s[16:17]
; %bb.82:
	s_mov_b32 s22, 0x7f800000
	v_mov_b32_e32 v3, 0x7e
	v_mov_b32_e32 v7, 0x7f
	v_cmp_lt_u32_e32 vcc, s22, v6
	v_cndmask_b32_e32 v3, v3, v7, vcc
; %bb.83:
	s_or_b64 exec, exec, s[16:17]
	v_lshrrev_b32_e32 v6, 24, v2
	s_movk_i32 s16, 0x80
	v_and_or_b32 v3, v6, s16, v3
	global_store_byte v[0:1], v3, off
.LBB15_84:
	s_mov_b64 s[16:17], 0
.LBB15_85:
	s_andn2_b64 vcc, exec, s[16:17]
	s_cbranch_vccnz .LBB15_95
; %bb.86:
	v_and_b32_e32 v6, 0x7fffffff, v2
	s_mov_b32 s16, 0x47800000
	v_cmp_gt_u32_e32 vcc, s16, v6
                                        ; implicit-def: $vgpr3
	s_and_saveexec_b64 s[16:17], vcc
	s_xor_b64 s[16:17], exec, s[16:17]
	s_cbranch_execz .LBB15_92
; %bb.87:
	s_mov_b32 s22, 0x387fffff
	v_cmp_lt_u32_e32 vcc, s22, v6
                                        ; implicit-def: $vgpr3
	s_and_saveexec_b64 s[22:23], vcc
	s_xor_b64 s[22:23], exec, s[22:23]
; %bb.88:
	v_bfe_u32 v3, v2, 21, 1
	s_mov_b32 s26, 0x80fffff
	v_add3_u32 v3, v2, v3, s26
	v_lshrrev_b32_e32 v3, 21, v3
; %bb.89:
	s_andn2_saveexec_b64 s[22:23], s[22:23]
; %bb.90:
	s_mov_b32 s26, 0x43000000
	v_add_f32_e64 v3, |v2|, s26
; %bb.91:
	s_or_b64 exec, exec, s[22:23]
                                        ; implicit-def: $vgpr6
.LBB15_92:
	s_andn2_saveexec_b64 s[16:17], s[16:17]
; %bb.93:
	s_mov_b32 s22, 0x7f800000
	v_mov_b32_e32 v3, 0x7c
	v_mov_b32_e32 v7, 0x7f
	v_cmp_lt_u32_e32 vcc, s22, v6
	v_cndmask_b32_e32 v3, v3, v7, vcc
; %bb.94:
	s_or_b64 exec, exec, s[16:17]
	v_lshrrev_b32_e32 v6, 24, v2
	s_movk_i32 s16, 0x80
	v_and_or_b32 v3, v6, s16, v3
	global_store_byte v[0:1], v3, off
.LBB15_95:
	s_mov_b64 s[22:23], 0
	s_mov_b64 s[16:17], -1
.LBB15_96:
	s_andn2_b64 vcc, exec, s[22:23]
	s_cbranch_vccnz .LBB15_104
; %bb.97:
	v_mov_b32_e32 v3, 14
	v_cmp_gt_i16_sdwa s[26:27], s33, v3 src0_sel:BYTE_0 src1_sel:DWORD
	s_mov_b64 s[22:23], -1
	s_and_b64 vcc, exec, s[26:27]
	s_cbranch_vccz .LBB15_101
; %bb.98:
	v_mov_b32_e32 v3, 15
	v_cmp_eq_u16_sdwa s[22:23], s33, v3 src0_sel:BYTE_0 src1_sel:DWORD
	s_mov_b64 s[0:1], -1
	s_and_b64 vcc, exec, s[22:23]
	s_cbranch_vccz .LBB15_100
; %bb.99:
	v_bfe_u32 v3, v2, 16, 1
	s_movk_i32 s0, 0x7fff
	v_add3_u32 v3, v2, v3, s0
	v_lshrrev_b32_e32 v3, 16, v3
	v_mov_b32_e32 v6, 0x7fc0
	v_cmp_o_f32_e32 vcc, v2, v2
	v_cndmask_b32_e32 v3, v6, v3, vcc
	global_store_short v[0:1], v3, off
	s_mov_b64 s[16:17], -1
	s_mov_b64 s[0:1], 0
.LBB15_100:
	s_mov_b64 s[22:23], 0
.LBB15_101:
	s_and_b64 vcc, exec, s[22:23]
	s_cbranch_vccz .LBB15_104
; %bb.102:
	v_mov_b32_e32 v3, 11
	v_cmp_eq_u16_sdwa s[22:23], s33, v3 src0_sel:BYTE_0 src1_sel:DWORD
	s_mov_b64 s[0:1], -1
	s_and_b64 vcc, exec, s[22:23]
	s_cbranch_vccz .LBB15_104
; %bb.103:
	v_cmp_neq_f32_e32 vcc, 0, v2
	v_cndmask_b32_e64 v3, 0, 1, vcc
	s_mov_b64 s[16:17], -1
	s_mov_b64 s[0:1], 0
	global_store_byte v[0:1], v3, off
.LBB15_104:
	s_branch .LBB15_22
.LBB15_105:
	v_mov_b32_e32 v3, 5
	v_cmp_lt_i16_sdwa s[22:23], s33, v3 src0_sel:BYTE_0 src1_sel:DWORD
	s_mov_b64 s[16:17], -1
	s_and_b64 vcc, exec, s[22:23]
	s_cbranch_vccnz .LBB15_126
; %bb.106:
	v_mov_b32_e32 v3, 8
	v_cmp_lt_i16_sdwa s[22:23], s33, v3 src0_sel:BYTE_0 src1_sel:DWORD
	s_and_b64 vcc, exec, s[22:23]
	s_cbranch_vccnz .LBB15_116
; %bb.107:
	v_mov_b32_e32 v3, 9
	v_cmp_lt_i16_sdwa s[22:23], s33, v3 src0_sel:BYTE_0 src1_sel:DWORD
	s_and_b64 vcc, exec, s[22:23]
	s_cbranch_vccnz .LBB15_113
; %bb.108:
	v_cmp_gt_i16_sdwa s[22:23], s33, v3 src0_sel:BYTE_0 src1_sel:DWORD
	s_and_b64 vcc, exec, s[22:23]
	s_cbranch_vccz .LBB15_110
; %bb.109:
	v_mov_b32_e32 v8, 0
	v_cvt_f64_f32_e32 v[6:7], v2
	v_mov_b32_e32 v9, v8
	global_store_dwordx4 v[0:1], v[6:9], off
	s_mov_b64 s[16:17], 0
.LBB15_110:
	s_andn2_b64 vcc, exec, s[16:17]
	s_cbranch_vccnz .LBB15_112
; %bb.111:
	v_mov_b32_e32 v3, 0
	global_store_dwordx2 v[0:1], v[2:3], off
.LBB15_112:
	s_mov_b64 s[16:17], 0
.LBB15_113:
	s_andn2_b64 vcc, exec, s[16:17]
	s_cbranch_vccnz .LBB15_115
; %bb.114:
	v_cvt_f16_f32_e32 v3, v2
	global_store_dword v[0:1], v3, off
.LBB15_115:
	s_mov_b64 s[16:17], 0
.LBB15_116:
	s_andn2_b64 vcc, exec, s[16:17]
	s_cbranch_vccnz .LBB15_125
; %bb.117:
	v_mov_b32_e32 v3, 6
	v_cmp_lt_i16_sdwa s[22:23], s33, v3 src0_sel:BYTE_0 src1_sel:DWORD
	s_mov_b64 s[16:17], -1
	s_and_b64 vcc, exec, s[22:23]
	s_cbranch_vccnz .LBB15_123
; %bb.118:
	v_cmp_gt_i16_sdwa s[22:23], s33, v3 src0_sel:BYTE_0 src1_sel:DWORD
	s_and_b64 vcc, exec, s[22:23]
	s_cbranch_vccz .LBB15_120
; %bb.119:
	v_cvt_f64_f32_e32 v[6:7], v2
	global_store_dwordx2 v[0:1], v[6:7], off
	s_mov_b64 s[16:17], 0
.LBB15_120:
	s_andn2_b64 vcc, exec, s[16:17]
	s_cbranch_vccnz .LBB15_122
; %bb.121:
	global_store_dword v[0:1], v2, off
.LBB15_122:
	s_mov_b64 s[16:17], 0
.LBB15_123:
	s_andn2_b64 vcc, exec, s[16:17]
	s_cbranch_vccnz .LBB15_125
; %bb.124:
	v_cvt_f16_f32_e32 v3, v2
	global_store_short v[0:1], v3, off
.LBB15_125:
	s_mov_b64 s[16:17], 0
.LBB15_126:
	s_andn2_b64 vcc, exec, s[16:17]
	s_cbranch_vccnz .LBB15_142
; %bb.127:
	v_mov_b32_e32 v3, 2
	v_cmp_lt_i16_sdwa s[22:23], s33, v3 src0_sel:BYTE_0 src1_sel:DWORD
	s_mov_b64 s[16:17], -1
	s_and_b64 vcc, exec, s[22:23]
	s_cbranch_vccnz .LBB15_137
; %bb.128:
	v_mov_b32_e32 v3, 3
	v_cmp_lt_i16_sdwa s[22:23], s33, v3 src0_sel:BYTE_0 src1_sel:DWORD
	s_and_b64 vcc, exec, s[22:23]
	s_cbranch_vccnz .LBB15_134
; %bb.129:
	v_cmp_gt_i16_sdwa s[22:23], s33, v3 src0_sel:BYTE_0 src1_sel:DWORD
	s_and_b64 vcc, exec, s[22:23]
	s_cbranch_vccz .LBB15_131
; %bb.130:
	v_trunc_f32_e32 v3, v2
	s_mov_b32 s16, 0x2f800000
	v_mul_f32_e64 v6, |v3|, s16
	v_floor_f32_e32 v6, v6
	s_mov_b32 s16, 0xcf800000
	v_cvt_u32_f32_e32 v7, v6
	v_fma_f32 v6, v6, s16, |v3|
	v_cvt_u32_f32_e32 v6, v6
	v_ashrrev_i32_e32 v3, 31, v3
	v_xor_b32_e32 v7, v7, v3
	s_mov_b64 s[16:17], 0
	v_xor_b32_e32 v6, v6, v3
	v_sub_co_u32_e32 v6, vcc, v6, v3
	v_subb_co_u32_e32 v7, vcc, v7, v3, vcc
	global_store_dwordx2 v[0:1], v[6:7], off
.LBB15_131:
	s_andn2_b64 vcc, exec, s[16:17]
	s_cbranch_vccnz .LBB15_133
; %bb.132:
	v_cvt_i32_f32_e32 v3, v2
	global_store_dword v[0:1], v3, off
.LBB15_133:
	s_mov_b64 s[16:17], 0
.LBB15_134:
	s_andn2_b64 vcc, exec, s[16:17]
	s_cbranch_vccnz .LBB15_136
; %bb.135:
	v_cvt_i32_f32_e32 v3, v2
	global_store_short v[0:1], v3, off
.LBB15_136:
	s_mov_b64 s[16:17], 0
.LBB15_137:
	s_andn2_b64 vcc, exec, s[16:17]
	s_cbranch_vccnz .LBB15_142
; %bb.138:
	v_mov_b32_e32 v3, 0
	v_cmp_gt_i16_sdwa s[22:23], s33, v3 src0_sel:BYTE_0 src1_sel:DWORD
	s_mov_b64 s[16:17], -1
	s_and_b64 vcc, exec, s[22:23]
	s_cbranch_vccz .LBB15_140
; %bb.139:
	v_cvt_i32_f32_e32 v3, v2
	s_mov_b64 s[16:17], 0
	global_store_byte v[0:1], v3, off
.LBB15_140:
	s_andn2_b64 vcc, exec, s[16:17]
	s_cbranch_vccnz .LBB15_142
; %bb.141:
	v_trunc_f32_e32 v2, v2
	s_mov_b32 s16, 0x2f800000
	v_mul_f32_e64 v3, |v2|, s16
	v_floor_f32_e32 v3, v3
	s_mov_b32 s16, 0xcf800000
	v_fma_f32 v3, v3, s16, |v2|
	v_cvt_u32_f32_e32 v3, v3
	v_ashrrev_i32_e32 v2, 31, v2
	v_xor_b32_e32 v3, v3, v2
	v_sub_u32_e32 v2, v3, v2
	global_store_byte v[0:1], v2, off
.LBB15_142:
	s_branch .LBB15_23
.LBB15_143:
	s_mov_b64 s[22:23], 0
                                        ; implicit-def: $vgpr4
	s_branch .LBB15_253
.LBB15_144:
	s_mov_b64 s[18:19], -1
                                        ; implicit-def: $vgpr2
.LBB15_145:
	s_mov_b64 s[16:17], 0
.LBB15_146:
	s_and_b64 vcc, exec, s[16:17]
	s_cbranch_vccz .LBB15_150
; %bb.147:
	v_cmp_eq_u16_e32 vcc, 29, v5
	s_cbranch_vccz .LBB15_149
; %bb.148:
	global_load_dwordx2 v[2:3], v[0:1], off
	s_mov_b64 s[0:1], -1
	s_mov_b64 s[18:19], 0
	s_mov_b64 s[16:17], 0
	s_waitcnt vmcnt(0)
	v_ffbh_u32_e32 v6, v3
	v_min_u32_e32 v6, 32, v6
	v_lshlrev_b64 v[2:3], v6, v[2:3]
	v_min_u32_e32 v2, 1, v2
	v_or_b32_e32 v2, v3, v2
	v_cvt_f32_u32_e32 v2, v2
	v_sub_u32_e32 v3, 32, v6
	v_ldexp_f32 v2, v2, v3
	s_branch .LBB15_151
.LBB15_149:
	s_mov_b64 s[18:19], -1
                                        ; implicit-def: $vgpr2
.LBB15_150:
	s_mov_b64 s[16:17], 0
.LBB15_151:
	s_and_b64 vcc, exec, s[16:17]
	s_cbranch_vccz .LBB15_169
; %bb.152:
	v_cmp_gt_i16_e32 vcc, 27, v5
	s_cbranch_vccnz .LBB15_155
; %bb.153:
	v_cmp_lt_i16_e32 vcc, 27, v5
	s_cbranch_vccz .LBB15_156
; %bb.154:
	global_load_dword v2, v[0:1], off
	s_mov_b64 s[0:1], 0
	s_waitcnt vmcnt(0)
	v_cvt_f32_u32_e32 v2, v2
	s_branch .LBB15_157
.LBB15_155:
	s_mov_b64 s[0:1], -1
                                        ; implicit-def: $vgpr2
	s_branch .LBB15_160
.LBB15_156:
	s_mov_b64 s[0:1], -1
                                        ; implicit-def: $vgpr2
.LBB15_157:
	s_andn2_b64 vcc, exec, s[0:1]
	s_cbranch_vccnz .LBB15_159
; %bb.158:
	global_load_ushort v2, v[0:1], off
	s_waitcnt vmcnt(0)
	v_cvt_f32_u32_e32 v2, v2
.LBB15_159:
	s_mov_b64 s[0:1], 0
.LBB15_160:
	s_andn2_b64 vcc, exec, s[0:1]
	s_cbranch_vccnz .LBB15_168
; %bb.161:
	global_load_ubyte v3, v[0:1], off
	s_movk_i32 s0, 0x7f
                                        ; implicit-def: $sgpr26
	s_waitcnt vmcnt(0)
	v_cmp_lt_i16_e32 vcc, s0, v3
	s_mov_b64 s[0:1], 0
	s_and_saveexec_b64 s[16:17], vcc
	s_xor_b64 s[16:17], exec, s[16:17]
	s_cbranch_execz .LBB15_181
; %bb.162:
	s_movk_i32 s0, 0x80
	v_cmp_eq_u16_e32 vcc, s0, v3
	s_mov_b64 s[0:1], -1
                                        ; implicit-def: $sgpr26
	s_and_saveexec_b64 s[22:23], vcc
; %bb.163:
	s_mov_b32 s26, 0x7f800001
	s_xor_b64 s[0:1], exec, -1
; %bb.164:
	s_or_b64 exec, exec, s[22:23]
	s_and_b64 s[0:1], s[0:1], exec
	s_or_saveexec_b64 s[16:17], s[16:17]
	v_mov_b32_e32 v2, s26
	s_xor_b64 exec, exec, s[16:17]
	s_cbranch_execnz .LBB15_182
.LBB15_165:
	s_or_b64 exec, exec, s[16:17]
	s_and_saveexec_b64 s[16:17], s[0:1]
	s_cbranch_execz .LBB15_167
.LBB15_166:
	v_lshlrev_b32_e32 v2, 24, v3
	v_and_b32_e32 v3, 0xffff, v3
	v_and_b32_e32 v6, 7, v3
	v_ffbh_u32_e32 v8, v6
	v_min_u32_e32 v8, 32, v8
	v_subrev_u32_e32 v9, 28, v8
	v_bfe_u32 v7, v3, 3, 4
	v_lshlrev_b32_e32 v3, v9, v3
	v_sub_u32_e32 v8, 29, v8
	v_and_b32_e32 v3, 7, v3
	v_cmp_eq_u32_e32 vcc, 0, v7
	v_cndmask_b32_e32 v7, v7, v8, vcc
	v_cndmask_b32_e32 v3, v6, v3, vcc
	v_mov_b32_e32 v6, 0x3b800000
	v_lshlrev_b32_e32 v3, 20, v3
	v_and_b32_e32 v2, 0x80000000, v2
	v_lshl_add_u32 v6, v7, 23, v6
	v_or3_b32 v2, v2, v6, v3
.LBB15_167:
	s_or_b64 exec, exec, s[16:17]
.LBB15_168:
	s_mov_b64 s[0:1], -1
.LBB15_169:
	s_branch .LBB15_204
.LBB15_170:
	v_cmp_lt_i16_e32 vcc, 22, v5
	s_cbranch_vccz .LBB15_180
; %bb.171:
	v_cmp_gt_i16_e32 vcc, 24, v5
	s_cbranch_vccnz .LBB15_183
; %bb.172:
	v_cmp_lt_i16_e32 vcc, 24, v5
	s_cbranch_vccz .LBB15_184
; %bb.173:
	global_load_ubyte v3, v[0:1], off
	s_movk_i32 s0, 0x7f
                                        ; implicit-def: $sgpr26
	s_waitcnt vmcnt(0)
	v_cmp_lt_i16_e32 vcc, s0, v3
	s_mov_b64 s[0:1], 0
	s_and_saveexec_b64 s[16:17], vcc
	s_xor_b64 s[16:17], exec, s[16:17]
	s_cbranch_execz .LBB15_196
; %bb.174:
	s_movk_i32 s0, 0x80
	v_cmp_eq_u16_e32 vcc, s0, v3
	s_mov_b64 s[0:1], -1
                                        ; implicit-def: $sgpr26
	s_and_saveexec_b64 s[22:23], vcc
; %bb.175:
	s_mov_b32 s26, 0x7f800001
	s_xor_b64 s[0:1], exec, -1
; %bb.176:
	s_or_b64 exec, exec, s[22:23]
	s_and_b64 s[0:1], s[0:1], exec
	s_or_saveexec_b64 s[16:17], s[16:17]
	v_mov_b32_e32 v2, s26
	s_xor_b64 exec, exec, s[16:17]
	s_cbranch_execnz .LBB15_197
.LBB15_177:
	s_or_b64 exec, exec, s[16:17]
	s_and_saveexec_b64 s[16:17], s[0:1]
	s_cbranch_execz .LBB15_179
.LBB15_178:
	v_lshlrev_b32_e32 v2, 24, v3
	v_and_b32_e32 v3, 0xffff, v3
	v_and_b32_e32 v6, 3, v3
	v_ffbh_u32_e32 v8, v6
	v_min_u32_e32 v8, 32, v8
	v_subrev_u32_e32 v9, 29, v8
	v_bfe_u32 v7, v3, 2, 5
	v_lshlrev_b32_e32 v3, v9, v3
	v_sub_u32_e32 v8, 30, v8
	v_and_b32_e32 v3, 3, v3
	v_cmp_eq_u32_e32 vcc, 0, v7
	v_cndmask_b32_e32 v7, v7, v8, vcc
	v_cndmask_b32_e32 v3, v6, v3, vcc
	v_mov_b32_e32 v6, 0x37800000
	v_lshlrev_b32_e32 v3, 21, v3
	v_and_b32_e32 v2, 0x80000000, v2
	v_lshl_add_u32 v6, v7, 23, v6
	v_or3_b32 v2, v2, v6, v3
.LBB15_179:
	s_or_b64 exec, exec, s[16:17]
	s_mov_b64 s[0:1], 0
	s_branch .LBB15_185
.LBB15_180:
	s_mov_b64 s[16:17], -1
                                        ; implicit-def: $vgpr2
	s_branch .LBB15_191
.LBB15_181:
	s_or_saveexec_b64 s[16:17], s[16:17]
	v_mov_b32_e32 v2, s26
	s_xor_b64 exec, exec, s[16:17]
	s_cbranch_execz .LBB15_165
.LBB15_182:
	v_cmp_ne_u16_e32 vcc, 0, v3
	s_andn2_b64 s[0:1], s[0:1], exec
	s_and_b64 s[22:23], vcc, exec
	v_mov_b32_e32 v2, 0
	s_or_b64 s[0:1], s[0:1], s[22:23]
	s_or_b64 exec, exec, s[16:17]
	s_and_saveexec_b64 s[16:17], s[0:1]
	s_cbranch_execnz .LBB15_166
	s_branch .LBB15_167
.LBB15_183:
	s_mov_b64 s[0:1], -1
                                        ; implicit-def: $vgpr2
	s_branch .LBB15_188
.LBB15_184:
	s_mov_b64 s[0:1], -1
                                        ; implicit-def: $vgpr2
.LBB15_185:
	s_and_b64 vcc, exec, s[0:1]
	s_cbranch_vccz .LBB15_187
; %bb.186:
	global_load_ubyte v2, v[0:1], off
	s_mov_b32 s0, 0x7f800000
	s_waitcnt vmcnt(0)
	v_lshlrev_b32_e32 v2, 24, v2
	v_and_b32_e32 v3, 0x7f000000, v2
	v_ffbh_u32_e32 v6, v3
	v_min_u32_e32 v6, 32, v6
	v_sub_u32_e64 v6, v6, 4 clamp
	v_lshlrev_b32_e32 v8, v6, v3
	v_lshlrev_b32_e32 v6, 23, v6
	v_lshrrev_b32_e32 v8, 4, v8
	v_add_u32_e32 v7, 0x1000000, v3
	v_sub_u32_e32 v6, v8, v6
	v_ashrrev_i32_e32 v7, 8, v7
	v_add_u32_e32 v6, 0x3c000000, v6
	v_and_or_b32 v6, v7, s0, v6
	v_cmp_ne_u32_e32 vcc, 0, v3
	v_cndmask_b32_e32 v3, 0, v6, vcc
	s_brev_b32 s0, 1
	v_and_or_b32 v2, v2, s0, v3
.LBB15_187:
	s_mov_b64 s[0:1], 0
.LBB15_188:
	s_andn2_b64 vcc, exec, s[0:1]
	s_cbranch_vccnz .LBB15_190
; %bb.189:
	global_load_ubyte v2, v[0:1], off
	s_movk_i32 s0, 0x7f00
	s_brev_b32 s1, 16
	s_waitcnt vmcnt(0)
	v_lshlrev_b16_e32 v3, 8, v2
	v_lshlrev_b32_e32 v2, 25, v2
	v_lshrrev_b32_e32 v6, 4, v2
	v_and_or_b32 v7, v3, s0, 0.5
	v_or_b32_e32 v6, 0x70000000, v6
	v_add_f32_e32 v7, -0.5, v7
	v_mul_f32_e32 v6, 0x7800000, v6
	v_cmp_gt_u32_e32 vcc, s1, v2
	v_bfe_i32 v3, v3, 0, 16
	v_cndmask_b32_e32 v2, v6, v7, vcc
	s_brev_b32 s0, 1
	v_and_or_b32 v2, v3, s0, v2
.LBB15_190:
	s_mov_b64 s[16:17], 0
	s_mov_b64 s[0:1], -1
.LBB15_191:
	s_andn2_b64 vcc, exec, s[16:17]
	s_cbranch_vccnz .LBB15_204
; %bb.192:
	v_cmp_lt_i16_e32 vcc, 14, v5
	s_cbranch_vccz .LBB15_195
; %bb.193:
	v_cmp_eq_u16_e32 vcc, 15, v5
	s_cbranch_vccz .LBB15_198
; %bb.194:
	global_load_ushort v2, v[0:1], off
	s_mov_b64 s[0:1], -1
	s_mov_b64 s[18:19], 0
	s_waitcnt vmcnt(0)
	v_lshlrev_b32_e32 v2, 16, v2
	s_branch .LBB15_199
.LBB15_195:
	s_mov_b64 s[16:17], -1
                                        ; implicit-def: $vgpr2
	s_branch .LBB15_200
.LBB15_196:
	s_or_saveexec_b64 s[16:17], s[16:17]
	v_mov_b32_e32 v2, s26
	s_xor_b64 exec, exec, s[16:17]
	s_cbranch_execz .LBB15_177
.LBB15_197:
	v_cmp_ne_u16_e32 vcc, 0, v3
	s_andn2_b64 s[0:1], s[0:1], exec
	s_and_b64 s[22:23], vcc, exec
	v_mov_b32_e32 v2, 0
	s_or_b64 s[0:1], s[0:1], s[22:23]
	s_or_b64 exec, exec, s[16:17]
	s_and_saveexec_b64 s[16:17], s[0:1]
	s_cbranch_execnz .LBB15_178
	s_branch .LBB15_179
.LBB15_198:
	s_mov_b64 s[18:19], -1
                                        ; implicit-def: $vgpr2
.LBB15_199:
	s_mov_b64 s[16:17], 0
.LBB15_200:
	s_and_b64 vcc, exec, s[16:17]
	s_cbranch_vccz .LBB15_204
; %bb.201:
	v_cmp_eq_u16_e32 vcc, 11, v5
	s_cbranch_vccz .LBB15_203
; %bb.202:
	global_load_ubyte v2, v[0:1], off
	s_mov_b64 s[0:1], -1
	s_mov_b64 s[18:19], 0
	s_waitcnt vmcnt(0)
	v_cmp_ne_u16_e32 vcc, 0, v2
	v_cndmask_b32_e64 v2, 0, 1.0, vcc
	s_branch .LBB15_204
.LBB15_203:
	s_mov_b64 s[18:19], -1
                                        ; implicit-def: $vgpr2
.LBB15_204:
	s_branch .LBB15_10
.LBB15_205:
	v_cmp_gt_i16_e32 vcc, 5, v5
	s_cbranch_vccnz .LBB15_210
; %bb.206:
	v_cmp_gt_i16_e32 vcc, 8, v5
	s_cbranch_vccnz .LBB15_211
; %bb.207:
	;; [unrolled: 3-line block ×3, first 2 shown]
	v_cmp_lt_i16_e32 vcc, 9, v5
	s_cbranch_vccz .LBB15_213
; %bb.209:
	global_load_dwordx2 v[2:3], v[0:1], off
	s_mov_b64 s[0:1], 0
	s_waitcnt vmcnt(0)
	v_cvt_f32_f64_e32 v2, v[2:3]
	s_branch .LBB15_214
.LBB15_210:
                                        ; implicit-def: $vgpr2
	s_branch .LBB15_232
.LBB15_211:
	s_mov_b64 s[0:1], -1
                                        ; implicit-def: $vgpr2
	s_branch .LBB15_220
.LBB15_212:
	s_mov_b64 s[0:1], -1
                                        ; implicit-def: $vgpr2
	s_branch .LBB15_217
.LBB15_213:
	s_mov_b64 s[0:1], -1
                                        ; implicit-def: $vgpr2
.LBB15_214:
	s_andn2_b64 vcc, exec, s[0:1]
	s_cbranch_vccnz .LBB15_216
; %bb.215:
	global_load_dword v2, v[0:1], off
.LBB15_216:
	s_mov_b64 s[0:1], 0
.LBB15_217:
	s_andn2_b64 vcc, exec, s[0:1]
	s_cbranch_vccnz .LBB15_219
; %bb.218:
	global_load_dword v2, v[0:1], off
	s_waitcnt vmcnt(0)
	v_cvt_f32_f16_e32 v2, v2
.LBB15_219:
	s_mov_b64 s[0:1], 0
.LBB15_220:
	s_andn2_b64 vcc, exec, s[0:1]
	s_cbranch_vccnz .LBB15_231
; %bb.221:
	v_cmp_gt_i16_e32 vcc, 6, v5
	s_cbranch_vccnz .LBB15_224
; %bb.222:
	v_cmp_lt_i16_e32 vcc, 6, v5
	s_cbranch_vccz .LBB15_225
; %bb.223:
	global_load_dwordx2 v[2:3], v[0:1], off
	s_mov_b64 s[0:1], 0
	s_waitcnt vmcnt(0)
	v_cvt_f32_f64_e32 v2, v[2:3]
	s_branch .LBB15_226
.LBB15_224:
	s_mov_b64 s[0:1], -1
                                        ; implicit-def: $vgpr2
	s_branch .LBB15_229
.LBB15_225:
	s_mov_b64 s[0:1], -1
                                        ; implicit-def: $vgpr2
.LBB15_226:
	s_andn2_b64 vcc, exec, s[0:1]
	s_cbranch_vccnz .LBB15_228
; %bb.227:
	global_load_dword v2, v[0:1], off
.LBB15_228:
	s_mov_b64 s[0:1], 0
.LBB15_229:
	s_andn2_b64 vcc, exec, s[0:1]
	s_cbranch_vccnz .LBB15_231
; %bb.230:
	global_load_ushort v2, v[0:1], off
	s_waitcnt vmcnt(0)
	v_cvt_f32_f16_e32 v2, v2
.LBB15_231:
	s_cbranch_execnz .LBB15_251
.LBB15_232:
	v_cmp_gt_i16_e32 vcc, 2, v5
	s_cbranch_vccnz .LBB15_236
; %bb.233:
	v_cmp_gt_i16_e32 vcc, 3, v5
	s_cbranch_vccnz .LBB15_237
; %bb.234:
	v_cmp_lt_i16_e32 vcc, 3, v5
	s_cbranch_vccz .LBB15_238
; %bb.235:
	global_load_dwordx2 v[2:3], v[0:1], off
	s_mov_b64 s[0:1], 0
	s_waitcnt vmcnt(0)
	v_xor_b32_e32 v7, v2, v3
	v_ffbh_i32_e32 v6, v3
	v_ashrrev_i32_e32 v7, 31, v7
	v_add_u32_e32 v6, -1, v6
	v_add_u32_e32 v7, 32, v7
	v_min_u32_e32 v6, v6, v7
	v_lshlrev_b64 v[2:3], v6, v[2:3]
	v_min_u32_e32 v2, 1, v2
	v_or_b32_e32 v2, v3, v2
	v_cvt_f32_i32_e32 v2, v2
	v_sub_u32_e32 v3, 32, v6
	v_ldexp_f32 v2, v2, v3
	s_branch .LBB15_239
.LBB15_236:
	s_mov_b64 s[0:1], -1
                                        ; implicit-def: $vgpr2
	s_branch .LBB15_245
.LBB15_237:
	s_mov_b64 s[0:1], -1
                                        ; implicit-def: $vgpr2
	s_branch .LBB15_242
.LBB15_238:
	s_mov_b64 s[0:1], -1
                                        ; implicit-def: $vgpr2
.LBB15_239:
	s_andn2_b64 vcc, exec, s[0:1]
	s_cbranch_vccnz .LBB15_241
; %bb.240:
	global_load_dword v2, v[0:1], off
	s_waitcnt vmcnt(0)
	v_cvt_f32_i32_e32 v2, v2
.LBB15_241:
	s_mov_b64 s[0:1], 0
.LBB15_242:
	s_andn2_b64 vcc, exec, s[0:1]
	s_cbranch_vccnz .LBB15_244
; %bb.243:
	global_load_sshort v2, v[0:1], off
	s_waitcnt vmcnt(0)
	v_cvt_f32_i32_e32 v2, v2
.LBB15_244:
	s_mov_b64 s[0:1], 0
.LBB15_245:
	s_andn2_b64 vcc, exec, s[0:1]
	s_cbranch_vccnz .LBB15_251
; %bb.246:
	v_cmp_lt_i16_e32 vcc, 0, v5
	s_cbranch_vccz .LBB15_248
; %bb.247:
	global_load_sbyte v2, v[0:1], off
	s_mov_b64 s[0:1], 0
	s_waitcnt vmcnt(0)
	v_cvt_f32_i32_e32 v2, v2
	s_branch .LBB15_249
.LBB15_248:
	s_mov_b64 s[0:1], -1
                                        ; implicit-def: $vgpr2
.LBB15_249:
	s_andn2_b64 vcc, exec, s[0:1]
	s_cbranch_vccnz .LBB15_251
; %bb.250:
	global_load_ubyte v0, v[0:1], off
	s_waitcnt vmcnt(0)
	v_cvt_f32_ubyte0_e32 v2, v0
.LBB15_251:
	s_branch .LBB15_11
.LBB15_252:
	s_mov_b64 s[0:1], 0
                                        ; implicit-def: $vgpr4
	s_mov_b64 s[22:23], 0
.LBB15_253:
	s_and_b64 s[16:17], s[0:1], exec
	s_and_b64 s[18:19], s[18:19], exec
	s_orn2_b64 s[22:23], s[22:23], exec
.LBB15_254:
	s_or_b64 exec, exec, s[20:21]
	s_mov_b64 s[26:27], 0
	s_mov_b64 s[0:1], 0
                                        ; implicit-def: $vgpr0_vgpr1
                                        ; implicit-def: $vgpr3
	s_and_saveexec_b64 s[20:21], s[22:23]
	s_cbranch_execz .LBB15_263
; %bb.255:
	v_cmp_gt_i32_e32 vcc, s42, v4
	s_mov_b64 s[0:1], -1
	s_mov_b64 s[22:23], s[18:19]
	s_mov_b64 s[24:25], s[16:17]
	s_and_saveexec_b64 s[26:27], vcc
	s_cbranch_execz .LBB15_517
; %bb.256:
	v_mul_lo_u32 v0, v4, s3
	v_ashrrev_i32_e32 v1, 31, v0
	s_waitcnt vmcnt(0)
	v_mov_b32_e32 v2, s11
	v_add_co_u32_e32 v0, vcc, s10, v0
	v_addc_co_u32_e32 v1, vcc, v2, v1, vcc
	v_cmp_gt_i16_e32 vcc, 11, v5
	s_cbranch_vccnz .LBB15_266
; %bb.257:
	v_cmp_lt_i16_e32 vcc, 25, v5
	s_cbranch_vccz .LBB15_277
; %bb.258:
	v_cmp_lt_i16_e32 vcc, 28, v5
	s_cbranch_vccz .LBB15_279
	;; [unrolled: 3-line block ×4, first 2 shown]
; %bb.261:
	v_cmp_eq_u16_e32 vcc, 46, v5
	s_mov_b64 s[24:25], 0
	s_cbranch_vccz .LBB15_289
; %bb.262:
	global_load_dword v2, v[0:1], off
	s_mov_b64 s[22:23], 0
	s_waitcnt vmcnt(0)
	v_lshlrev_b32_e32 v2, 16, v2
	s_branch .LBB15_290
.LBB15_263:
	s_or_b64 exec, exec, s[20:21]
	s_mov_b64 s[20:21], 0
	s_and_saveexec_b64 s[22:23], s[18:19]
	s_cbranch_execnz .LBB15_865
.LBB15_264:
	s_or_b64 exec, exec, s[22:23]
	s_and_saveexec_b64 s[18:19], s[24:25]
	s_xor_b64 s[18:19], exec, s[18:19]
	s_cbranch_execz .LBB15_866
.LBB15_265:
	global_load_ubyte v2, v[0:1], off
	s_or_b64 s[0:1], s[0:1], exec
	s_waitcnt vmcnt(0)
	v_cmp_ne_u16_e32 vcc, 0, v2
	v_cndmask_b32_e64 v3, 0, 1.0, vcc
	s_or_b64 exec, exec, s[18:19]
	s_and_saveexec_b64 s[18:19], s[26:27]
	s_cbranch_execz .LBB15_912
	s_branch .LBB15_867
.LBB15_266:
	s_mov_b64 s[0:1], 0
                                        ; implicit-def: $vgpr2
	s_mov_b64 s[22:23], s[18:19]
	s_cbranch_execnz .LBB15_467
.LBB15_267:
	s_andn2_b64 vcc, exec, s[0:1]
	s_cbranch_vccnz .LBB15_515
.LBB15_268:
	s_mov_b32 s0, 0x7f800000
	s_waitcnt vmcnt(0)
	v_cmp_nlg_f32_e64 s[24:25], |v2|, s0
	s_and_saveexec_b64 s[0:1], s[24:25]
	s_cbranch_execz .LBB15_270
; %bb.269:
	v_mov_b32_e32 v0, 0
	v_mov_b32_e32 v1, 1.0
	global_store_dword v0, v1, s[12:13]
.LBB15_270:
	s_or_b64 exec, exec, s[0:1]
	v_mov_b32_e32 v0, 0
	global_load_dword v3, v0, s[14:15]
	v_mul_lo_u32 v0, v4, s2
	v_mov_b32_e32 v1, s9
	v_mov_b32_e32 v6, 11
	v_ashrrev_i32_e32 v7, 31, v0
	v_add_co_u32_e32 v0, vcc, s8, v0
	v_cmp_lt_i16_sdwa s[0:1], s33, v6 src0_sel:BYTE_0 src1_sel:DWORD
	v_addc_co_u32_e32 v1, vcc, v1, v7, vcc
	s_and_b64 vcc, exec, s[0:1]
	s_waitcnt vmcnt(0)
	v_mul_f32_e32 v6, v2, v3
	v_cmp_eq_f32_e64 s[0:1], 1.0, v3
	v_cndmask_b32_e64 v2, v6, v2, s[0:1]
	s_cbranch_vccnz .LBB15_278
; %bb.271:
	v_mov_b32_e32 v3, 25
	v_cmp_gt_i16_sdwa s[0:1], s33, v3 src0_sel:BYTE_0 src1_sel:DWORD
	s_and_b64 vcc, exec, s[0:1]
	s_cbranch_vccz .LBB15_280
; %bb.272:
	v_mov_b32_e32 v3, 28
	v_cmp_gt_i16_sdwa s[0:1], s33, v3 src0_sel:BYTE_0 src1_sel:DWORD
	s_and_b64 vcc, exec, s[0:1]
	s_cbranch_vccz .LBB15_282
	;; [unrolled: 5-line block ×4, first 2 shown]
; %bb.275:
	v_mov_b32_e32 v3, 46
	v_cmp_eq_u16_sdwa s[24:25], s33, v3 src0_sel:BYTE_0 src1_sel:DWORD
	s_mov_b64 s[28:29], 0
	s_mov_b64 s[0:1], -1
	s_and_b64 vcc, exec, s[24:25]
	s_mov_b64 s[24:25], 0
	s_cbranch_vccz .LBB15_294
; %bb.276:
	v_bfe_u32 v3, v2, 16, 1
	s_movk_i32 s0, 0x7fff
	v_add3_u32 v3, v2, v3, s0
	v_lshrrev_b32_e32 v3, 16, v3
	v_mov_b32_e32 v6, 0x7fc0
	v_cmp_o_f32_e32 vcc, v2, v2
	v_cndmask_b32_e32 v3, v6, v3, vcc
	global_store_dword v[0:1], v3, off
	s_mov_b64 s[24:25], -1
	s_mov_b64 s[0:1], 0
	s_branch .LBB15_294
.LBB15_277:
	s_mov_b64 s[24:25], -1
	s_mov_b64 s[0:1], 0
	s_mov_b64 s[22:23], s[18:19]
                                        ; implicit-def: $vgpr2
	s_branch .LBB15_431
.LBB15_278:
	s_mov_b64 s[28:29], -1
	s_mov_b64 s[24:25], 0
	s_mov_b64 s[0:1], s[16:17]
	s_branch .LBB15_363
.LBB15_279:
	s_mov_b64 s[24:25], -1
	s_mov_b64 s[0:1], 0
	s_mov_b64 s[22:23], s[18:19]
                                        ; implicit-def: $vgpr2
	s_branch .LBB15_412
.LBB15_280:
	s_mov_b64 s[28:29], -1
	s_mov_b64 s[24:25], 0
	s_mov_b64 s[0:1], s[16:17]
	s_branch .LBB15_321
.LBB15_281:
	s_mov_b64 s[24:25], -1
	s_mov_b64 s[0:1], 0
	s_mov_b64 s[22:23], s[18:19]
                                        ; implicit-def: $vgpr2
	s_branch .LBB15_407
.LBB15_282:
	s_mov_b64 s[28:29], -1
	s_mov_b64 s[24:25], 0
	s_mov_b64 s[0:1], s[16:17]
	s_branch .LBB15_304
.LBB15_283:
	s_or_saveexec_b64 s[26:27], s[26:27]
                                        ; implicit-def: $sgpr28
	s_xor_b64 exec, exec, s[26:27]
	s_cbranch_execz .LBB15_57
.LBB15_284:
	s_mov_b32 s28, 0x46000000
	v_add_f32_e64 v3, |v2|, s28
	v_and_b32_e32 v3, 0xff, v3
	v_cmp_ne_u32_e32 vcc, 0, v3
	s_andn2_b64 s[22:23], s[22:23], exec
	s_and_b64 s[30:31], vcc, exec
	s_mov_b32 s28, 0
	s_or_b64 s[22:23], s[22:23], s[30:31]
	s_or_b64 exec, exec, s[26:27]
	v_mov_b32_e32 v6, s28
	s_and_saveexec_b64 s[26:27], s[22:23]
	s_cbranch_execnz .LBB15_58
	s_branch .LBB15_59
.LBB15_285:
	s_mov_b64 s[24:25], -1
	s_mov_b64 s[0:1], 0
	s_mov_b64 s[22:23], s[18:19]
                                        ; implicit-def: $vgpr2
	s_branch .LBB15_290
.LBB15_286:
	s_mov_b64 s[28:29], -1
	s_mov_b64 s[24:25], 0
	s_mov_b64 s[0:1], s[16:17]
	s_branch .LBB15_300
.LBB15_287:
	s_or_saveexec_b64 s[26:27], s[26:27]
                                        ; implicit-def: $sgpr28
	s_xor_b64 exec, exec, s[26:27]
	s_cbranch_execz .LBB15_70
.LBB15_288:
	s_mov_b32 s28, 0x42800000
	v_add_f32_e64 v3, |v2|, s28
	v_and_b32_e32 v3, 0xff, v3
	v_cmp_ne_u32_e32 vcc, 0, v3
	s_andn2_b64 s[22:23], s[22:23], exec
	s_and_b64 s[30:31], vcc, exec
	s_mov_b32 s28, 0
	s_or_b64 s[22:23], s[22:23], s[30:31]
	s_or_b64 exec, exec, s[26:27]
	v_mov_b32_e32 v6, s28
	s_and_saveexec_b64 s[26:27], s[22:23]
	s_cbranch_execnz .LBB15_71
	s_branch .LBB15_72
.LBB15_289:
	s_mov_b64 s[22:23], -1
                                        ; implicit-def: $vgpr2
	s_mov_b64 s[0:1], 0
.LBB15_290:
	s_and_b64 vcc, exec, s[24:25]
	s_cbranch_vccz .LBB15_406
; %bb.291:
	v_cmp_eq_u16_e32 vcc, 44, v5
	s_cbranch_vccz .LBB15_405
; %bb.292:
	global_load_ubyte v2, v[0:1], off
	s_movk_i32 s22, 0xff
	v_mov_b32_e32 v3, 0x7f800001
	v_mov_b32_e32 v6, 0x400000
	s_mov_b64 s[0:1], -1
	s_waitcnt vmcnt(0)
	v_lshlrev_b32_e32 v7, 23, v2
	v_cmp_ne_u32_e32 vcc, s22, v2
	v_cndmask_b32_e32 v3, v3, v7, vcc
	v_cmp_ne_u32_e32 vcc, 0, v2
	v_cndmask_b32_e32 v2, v6, v3, vcc
	s_mov_b64 s[22:23], 0
	s_branch .LBB15_406
.LBB15_293:
	s_mov_b64 s[28:29], -1
	s_mov_b64 s[24:25], 0
	s_mov_b64 s[0:1], s[16:17]
.LBB15_294:
	s_and_b64 vcc, exec, s[28:29]
	s_cbranch_vccz .LBB15_299
; %bb.295:
	v_mov_b32_e32 v3, 44
	v_cmp_eq_u16_sdwa s[28:29], s33, v3 src0_sel:BYTE_0 src1_sel:DWORD
	s_mov_b64 s[0:1], -1
	s_and_b64 vcc, exec, s[28:29]
	s_cbranch_vccz .LBB15_299
; %bb.296:
	v_bfe_u32 v3, v2, 23, 8
	s_movk_i32 s0, 0xff
	v_cmp_ne_u32_e32 vcc, s0, v3
	v_mov_b32_e32 v6, 0xff
	s_and_saveexec_b64 s[24:25], vcc
; %bb.297:
	s_mov_b32 s0, 0x3fffff
	v_and_b32_e32 v7, 0x400000, v2
	v_and_or_b32 v3, v2, s0, v3
	v_cmp_ne_u32_e32 vcc, 0, v7
	v_cmp_ne_u32_e64 s[0:1], 0, v3
	s_and_b64 s[0:1], vcc, s[0:1]
	v_lshrrev_b32_e32 v6, 23, v2
	v_cndmask_b32_e64 v3, 0, 1, s[0:1]
	v_add_u32_e32 v6, v6, v3
; %bb.298:
	s_or_b64 exec, exec, s[24:25]
	s_mov_b64 s[24:25], -1
	s_mov_b64 s[0:1], 0
	global_store_byte v[0:1], v6, off
.LBB15_299:
	s_mov_b64 s[28:29], 0
.LBB15_300:
	s_and_b64 vcc, exec, s[28:29]
	s_cbranch_vccz .LBB15_303
; %bb.301:
	v_mov_b32_e32 v3, 29
	v_cmp_eq_u16_sdwa s[28:29], s33, v3 src0_sel:BYTE_0 src1_sel:DWORD
	s_mov_b64 s[0:1], -1
	s_and_b64 vcc, exec, s[28:29]
	s_cbranch_vccz .LBB15_303
; %bb.302:
	v_trunc_f32_e32 v3, v2
	v_mul_f32_e32 v6, 0x2f800000, v3
	v_floor_f32_e32 v6, v6
	v_fmac_f32_e32 v3, 0xcf800000, v6
	v_cvt_u32_f32_e32 v7, v6
	v_cvt_u32_f32_e32 v6, v3
	s_mov_b64 s[24:25], -1
	s_mov_b64 s[0:1], 0
	s_mov_b64 s[28:29], 0
	global_store_dwordx2 v[0:1], v[6:7], off
	s_branch .LBB15_304
.LBB15_303:
	s_mov_b64 s[28:29], 0
.LBB15_304:
	s_and_b64 vcc, exec, s[28:29]
	s_cbranch_vccz .LBB15_320
; %bb.305:
	v_mov_b32_e32 v3, 27
	v_cmp_lt_i16_sdwa s[28:29], s33, v3 src0_sel:BYTE_0 src1_sel:DWORD
	s_mov_b64 s[24:25], -1
	s_and_b64 vcc, exec, s[28:29]
	s_cbranch_vccnz .LBB15_311
; %bb.306:
	v_cmp_gt_i16_sdwa s[28:29], s33, v3 src0_sel:BYTE_0 src1_sel:DWORD
	v_cvt_u32_f32_e32 v3, v2
	s_and_b64 vcc, exec, s[28:29]
	s_cbranch_vccz .LBB15_308
; %bb.307:
	s_mov_b64 s[24:25], 0
	global_store_dword v[0:1], v3, off
.LBB15_308:
	s_andn2_b64 vcc, exec, s[24:25]
	s_cbranch_vccnz .LBB15_310
; %bb.309:
	global_store_short v[0:1], v3, off
.LBB15_310:
	s_mov_b64 s[24:25], 0
.LBB15_311:
	s_andn2_b64 vcc, exec, s[24:25]
	s_cbranch_vccnz .LBB15_319
; %bb.312:
	v_and_b32_e32 v3, 0x7fffffff, v2
	s_mov_b32 s24, 0x43800000
	v_cmp_gt_u32_e32 vcc, s24, v3
	v_mov_b32_e32 v6, 0x80
	s_and_saveexec_b64 s[24:25], vcc
	s_cbranch_execz .LBB15_318
; %bb.313:
	s_mov_b32 s28, 0x3bffffff
	v_cmp_lt_u32_e32 vcc, s28, v3
	s_mov_b64 s[28:29], 0
                                        ; implicit-def: $vgpr3
	s_and_saveexec_b64 s[30:31], vcc
	s_xor_b64 s[30:31], exec, s[30:31]
	s_cbranch_execz .LBB15_530
; %bb.314:
	v_bfe_u32 v3, v2, 20, 1
	s_mov_b32 s34, 0x487ffff
	v_add3_u32 v3, v2, v3, s34
	s_mov_b64 s[28:29], exec
	v_lshrrev_b32_e32 v3, 20, v3
	s_or_saveexec_b64 s[30:31], s[30:31]
                                        ; implicit-def: $sgpr34
	s_xor_b64 exec, exec, s[30:31]
	s_cbranch_execnz .LBB15_531
.LBB15_315:
	s_or_b64 exec, exec, s[30:31]
	v_mov_b32_e32 v6, s34
	s_and_saveexec_b64 s[30:31], s[28:29]
.LBB15_316:
	v_lshrrev_b32_e32 v6, 24, v2
	s_movk_i32 s28, 0x80
	v_and_or_b32 v6, v6, s28, v3
.LBB15_317:
	s_or_b64 exec, exec, s[30:31]
.LBB15_318:
	s_or_b64 exec, exec, s[24:25]
	global_store_byte v[0:1], v6, off
.LBB15_319:
	s_mov_b64 s[24:25], -1
.LBB15_320:
	s_mov_b64 s[28:29], 0
.LBB15_321:
	s_and_b64 vcc, exec, s[28:29]
	s_cbranch_vccz .LBB15_362
; %bb.322:
	v_mov_b32_e32 v3, 22
	v_cmp_gt_i16_sdwa s[30:31], s33, v3 src0_sel:BYTE_0 src1_sel:DWORD
	s_mov_b64 s[28:29], -1
	s_and_b64 vcc, exec, s[30:31]
	s_cbranch_vccz .LBB15_354
; %bb.323:
	v_mov_b32_e32 v3, 24
	v_cmp_lt_i16_sdwa s[28:29], s33, v3 src0_sel:BYTE_0 src1_sel:DWORD
	s_mov_b64 s[24:25], -1
	s_and_b64 vcc, exec, s[28:29]
	s_cbranch_vccnz .LBB15_343
; %bb.324:
	v_cmp_gt_i16_sdwa s[28:29], s33, v3 src0_sel:BYTE_0 src1_sel:DWORD
	s_and_b64 vcc, exec, s[28:29]
	s_cbranch_vccz .LBB15_332
; %bb.325:
	v_and_b32_e32 v3, 0x7fffffff, v2
	s_mov_b32 s24, 0x47800000
	v_cmp_gt_u32_e32 vcc, s24, v3
	v_mov_b32_e32 v6, 0x80
	s_and_saveexec_b64 s[24:25], vcc
	s_cbranch_execz .LBB15_331
; %bb.326:
	s_mov_b32 s28, 0x37ffffff
	v_cmp_lt_u32_e32 vcc, s28, v3
	s_mov_b64 s[28:29], 0
                                        ; implicit-def: $vgpr3
	s_and_saveexec_b64 s[30:31], vcc
	s_xor_b64 s[30:31], exec, s[30:31]
	s_cbranch_execz .LBB15_533
; %bb.327:
	v_bfe_u32 v3, v2, 21, 1
	s_mov_b32 s34, 0x88fffff
	v_add3_u32 v3, v2, v3, s34
	s_mov_b64 s[28:29], exec
	v_lshrrev_b32_e32 v3, 21, v3
	s_or_saveexec_b64 s[30:31], s[30:31]
                                        ; implicit-def: $sgpr34
	s_xor_b64 exec, exec, s[30:31]
	s_cbranch_execnz .LBB15_534
.LBB15_328:
	s_or_b64 exec, exec, s[30:31]
	v_mov_b32_e32 v6, s34
	s_and_saveexec_b64 s[30:31], s[28:29]
.LBB15_329:
	v_lshrrev_b32_e32 v6, 24, v2
	s_movk_i32 s28, 0x80
	v_and_or_b32 v6, v6, s28, v3
.LBB15_330:
	s_or_b64 exec, exec, s[30:31]
.LBB15_331:
	s_or_b64 exec, exec, s[24:25]
	s_mov_b64 s[24:25], 0
	global_store_byte v[0:1], v6, off
.LBB15_332:
	s_and_b64 vcc, exec, s[24:25]
	s_cbranch_vccz .LBB15_342
; %bb.333:
	v_and_b32_e32 v6, 0x7fffffff, v2
	s_mov_b32 s24, 0x43f00000
	v_cmp_gt_u32_e32 vcc, s24, v6
                                        ; implicit-def: $vgpr3
	s_and_saveexec_b64 s[24:25], vcc
	s_xor_b64 s[24:25], exec, s[24:25]
	s_cbranch_execz .LBB15_339
; %bb.334:
	s_mov_b32 s28, 0x3c7fffff
	v_cmp_lt_u32_e32 vcc, s28, v6
                                        ; implicit-def: $vgpr3
	s_and_saveexec_b64 s[28:29], vcc
	s_xor_b64 s[28:29], exec, s[28:29]
; %bb.335:
	v_bfe_u32 v3, v2, 20, 1
	s_mov_b32 s30, 0x407ffff
	v_add3_u32 v3, v2, v3, s30
	v_lshrrev_b32_e32 v6, 20, v3
	v_and_b32_e32 v3, 0xff00000, v3
	s_mov_b32 s30, 0x7f00000
	v_mov_b32_e32 v7, 0x7e
	v_cmp_ne_u32_e32 vcc, s30, v3
	v_cndmask_b32_e32 v3, v7, v6, vcc
; %bb.336:
	s_andn2_saveexec_b64 s[28:29], s[28:29]
; %bb.337:
	s_mov_b32 s30, 0x46800000
	v_add_f32_e64 v3, |v2|, s30
; %bb.338:
	s_or_b64 exec, exec, s[28:29]
                                        ; implicit-def: $vgpr6
.LBB15_339:
	s_andn2_saveexec_b64 s[24:25], s[24:25]
; %bb.340:
	s_mov_b32 s28, 0x7f800000
	v_mov_b32_e32 v3, 0x7e
	v_mov_b32_e32 v7, 0x7f
	v_cmp_lt_u32_e32 vcc, s28, v6
	v_cndmask_b32_e32 v3, v3, v7, vcc
; %bb.341:
	s_or_b64 exec, exec, s[24:25]
	v_lshrrev_b32_e32 v6, 24, v2
	s_movk_i32 s24, 0x80
	v_and_or_b32 v3, v6, s24, v3
	global_store_byte v[0:1], v3, off
.LBB15_342:
	s_mov_b64 s[24:25], 0
.LBB15_343:
	s_andn2_b64 vcc, exec, s[24:25]
	s_cbranch_vccnz .LBB15_353
; %bb.344:
	v_and_b32_e32 v6, 0x7fffffff, v2
	s_mov_b32 s24, 0x47800000
	v_cmp_gt_u32_e32 vcc, s24, v6
                                        ; implicit-def: $vgpr3
	s_and_saveexec_b64 s[24:25], vcc
	s_xor_b64 s[24:25], exec, s[24:25]
	s_cbranch_execz .LBB15_350
; %bb.345:
	s_mov_b32 s28, 0x387fffff
	v_cmp_lt_u32_e32 vcc, s28, v6
                                        ; implicit-def: $vgpr3
	s_and_saveexec_b64 s[28:29], vcc
	s_xor_b64 s[28:29], exec, s[28:29]
; %bb.346:
	v_bfe_u32 v3, v2, 21, 1
	s_mov_b32 s30, 0x80fffff
	v_add3_u32 v3, v2, v3, s30
	v_lshrrev_b32_e32 v3, 21, v3
; %bb.347:
	s_andn2_saveexec_b64 s[28:29], s[28:29]
; %bb.348:
	s_mov_b32 s30, 0x43000000
	v_add_f32_e64 v3, |v2|, s30
; %bb.349:
	s_or_b64 exec, exec, s[28:29]
                                        ; implicit-def: $vgpr6
.LBB15_350:
	s_andn2_saveexec_b64 s[24:25], s[24:25]
; %bb.351:
	s_mov_b32 s28, 0x7f800000
	v_mov_b32_e32 v3, 0x7c
	v_mov_b32_e32 v7, 0x7f
	v_cmp_lt_u32_e32 vcc, s28, v6
	v_cndmask_b32_e32 v3, v3, v7, vcc
; %bb.352:
	s_or_b64 exec, exec, s[24:25]
	v_lshrrev_b32_e32 v6, 24, v2
	s_movk_i32 s24, 0x80
	v_and_or_b32 v3, v6, s24, v3
	global_store_byte v[0:1], v3, off
.LBB15_353:
	s_mov_b64 s[28:29], 0
	s_mov_b64 s[24:25], -1
.LBB15_354:
	s_andn2_b64 vcc, exec, s[28:29]
	s_cbranch_vccnz .LBB15_362
; %bb.355:
	v_mov_b32_e32 v3, 14
	v_cmp_gt_i16_sdwa s[30:31], s33, v3 src0_sel:BYTE_0 src1_sel:DWORD
	s_mov_b64 s[28:29], -1
	s_and_b64 vcc, exec, s[30:31]
	s_cbranch_vccz .LBB15_359
; %bb.356:
	v_mov_b32_e32 v3, 15
	v_cmp_eq_u16_sdwa s[28:29], s33, v3 src0_sel:BYTE_0 src1_sel:DWORD
	s_mov_b64 s[0:1], -1
	s_and_b64 vcc, exec, s[28:29]
	s_cbranch_vccz .LBB15_358
; %bb.357:
	v_bfe_u32 v3, v2, 16, 1
	s_movk_i32 s0, 0x7fff
	v_add3_u32 v3, v2, v3, s0
	v_lshrrev_b32_e32 v3, 16, v3
	v_mov_b32_e32 v6, 0x7fc0
	v_cmp_o_f32_e32 vcc, v2, v2
	v_cndmask_b32_e32 v3, v6, v3, vcc
	global_store_short v[0:1], v3, off
	s_mov_b64 s[24:25], -1
	s_mov_b64 s[0:1], 0
.LBB15_358:
	s_mov_b64 s[28:29], 0
.LBB15_359:
	s_and_b64 vcc, exec, s[28:29]
	s_cbranch_vccz .LBB15_362
; %bb.360:
	v_mov_b32_e32 v3, 11
	v_cmp_eq_u16_sdwa s[28:29], s33, v3 src0_sel:BYTE_0 src1_sel:DWORD
	s_mov_b64 s[0:1], -1
	s_and_b64 vcc, exec, s[28:29]
	s_cbranch_vccz .LBB15_362
; %bb.361:
	v_cmp_neq_f32_e32 vcc, 0, v2
	v_cndmask_b32_e64 v3, 0, 1, vcc
	s_mov_b64 s[24:25], -1
	s_mov_b64 s[0:1], 0
	global_store_byte v[0:1], v3, off
.LBB15_362:
	s_mov_b64 s[28:29], 0
.LBB15_363:
	s_and_b64 vcc, exec, s[28:29]
	s_cbranch_vccz .LBB15_402
; %bb.364:
	v_mov_b32_e32 v3, 5
	v_cmp_lt_i16_sdwa s[28:29], s33, v3 src0_sel:BYTE_0 src1_sel:DWORD
	s_mov_b64 s[24:25], -1
	s_and_b64 vcc, exec, s[28:29]
	s_cbranch_vccnz .LBB15_385
; %bb.365:
	v_mov_b32_e32 v3, 8
	v_cmp_lt_i16_sdwa s[28:29], s33, v3 src0_sel:BYTE_0 src1_sel:DWORD
	s_and_b64 vcc, exec, s[28:29]
	s_cbranch_vccnz .LBB15_375
; %bb.366:
	v_mov_b32_e32 v3, 9
	v_cmp_lt_i16_sdwa s[28:29], s33, v3 src0_sel:BYTE_0 src1_sel:DWORD
	s_and_b64 vcc, exec, s[28:29]
	s_cbranch_vccnz .LBB15_372
; %bb.367:
	v_cmp_gt_i16_sdwa s[28:29], s33, v3 src0_sel:BYTE_0 src1_sel:DWORD
	s_and_b64 vcc, exec, s[28:29]
	s_cbranch_vccz .LBB15_369
; %bb.368:
	v_mov_b32_e32 v8, 0
	v_cvt_f64_f32_e32 v[6:7], v2
	v_mov_b32_e32 v9, v8
	s_mov_b64 s[24:25], 0
	global_store_dwordx4 v[0:1], v[6:9], off
.LBB15_369:
	s_andn2_b64 vcc, exec, s[24:25]
	s_cbranch_vccnz .LBB15_371
; %bb.370:
	v_mov_b32_e32 v3, 0
	global_store_dwordx2 v[0:1], v[2:3], off
.LBB15_371:
	s_mov_b64 s[24:25], 0
.LBB15_372:
	s_andn2_b64 vcc, exec, s[24:25]
	s_cbranch_vccnz .LBB15_374
; %bb.373:
	v_cvt_f16_f32_e32 v3, v2
	global_store_dword v[0:1], v3, off
.LBB15_374:
	s_mov_b64 s[24:25], 0
.LBB15_375:
	s_andn2_b64 vcc, exec, s[24:25]
	s_cbranch_vccnz .LBB15_384
; %bb.376:
	v_mov_b32_e32 v3, 6
	v_cmp_lt_i16_sdwa s[28:29], s33, v3 src0_sel:BYTE_0 src1_sel:DWORD
	s_mov_b64 s[24:25], -1
	s_and_b64 vcc, exec, s[28:29]
	s_cbranch_vccnz .LBB15_382
; %bb.377:
	v_cmp_gt_i16_sdwa s[28:29], s33, v3 src0_sel:BYTE_0 src1_sel:DWORD
	s_and_b64 vcc, exec, s[28:29]
	s_cbranch_vccz .LBB15_379
; %bb.378:
	v_cvt_f64_f32_e32 v[6:7], v2
	s_mov_b64 s[24:25], 0
	global_store_dwordx2 v[0:1], v[6:7], off
.LBB15_379:
	s_andn2_b64 vcc, exec, s[24:25]
	s_cbranch_vccnz .LBB15_381
; %bb.380:
	global_store_dword v[0:1], v2, off
.LBB15_381:
	s_mov_b64 s[24:25], 0
.LBB15_382:
	s_andn2_b64 vcc, exec, s[24:25]
	s_cbranch_vccnz .LBB15_384
; %bb.383:
	v_cvt_f16_f32_e32 v3, v2
	global_store_short v[0:1], v3, off
.LBB15_384:
	s_mov_b64 s[24:25], 0
.LBB15_385:
	s_andn2_b64 vcc, exec, s[24:25]
	s_cbranch_vccnz .LBB15_401
; %bb.386:
	v_mov_b32_e32 v3, 2
	v_cmp_lt_i16_sdwa s[28:29], s33, v3 src0_sel:BYTE_0 src1_sel:DWORD
	s_mov_b64 s[24:25], -1
	s_and_b64 vcc, exec, s[28:29]
	s_cbranch_vccnz .LBB15_396
; %bb.387:
	v_mov_b32_e32 v3, 3
	v_cmp_lt_i16_sdwa s[28:29], s33, v3 src0_sel:BYTE_0 src1_sel:DWORD
	s_and_b64 vcc, exec, s[28:29]
	s_cbranch_vccnz .LBB15_393
; %bb.388:
	v_cmp_gt_i16_sdwa s[28:29], s33, v3 src0_sel:BYTE_0 src1_sel:DWORD
	s_and_b64 vcc, exec, s[28:29]
	s_cbranch_vccz .LBB15_390
; %bb.389:
	v_trunc_f32_e32 v3, v2
	s_mov_b32 s24, 0x2f800000
	v_mul_f32_e64 v6, |v3|, s24
	v_floor_f32_e32 v6, v6
	s_mov_b32 s24, 0xcf800000
	v_cvt_u32_f32_e32 v7, v6
	v_fma_f32 v6, v6, s24, |v3|
	v_cvt_u32_f32_e32 v6, v6
	v_ashrrev_i32_e32 v3, 31, v3
	v_xor_b32_e32 v7, v7, v3
	s_mov_b64 s[24:25], 0
	v_xor_b32_e32 v6, v6, v3
	v_sub_co_u32_e32 v6, vcc, v6, v3
	v_subb_co_u32_e32 v7, vcc, v7, v3, vcc
	global_store_dwordx2 v[0:1], v[6:7], off
.LBB15_390:
	s_andn2_b64 vcc, exec, s[24:25]
	s_cbranch_vccnz .LBB15_392
; %bb.391:
	v_cvt_i32_f32_e32 v3, v2
	global_store_dword v[0:1], v3, off
.LBB15_392:
	s_mov_b64 s[24:25], 0
.LBB15_393:
	s_andn2_b64 vcc, exec, s[24:25]
	s_cbranch_vccnz .LBB15_395
; %bb.394:
	v_cvt_i32_f32_e32 v3, v2
	global_store_short v[0:1], v3, off
.LBB15_395:
	s_mov_b64 s[24:25], 0
.LBB15_396:
	s_andn2_b64 vcc, exec, s[24:25]
	s_cbranch_vccnz .LBB15_401
; %bb.397:
	v_mov_b32_e32 v3, 0
	v_cmp_gt_i16_sdwa s[28:29], s33, v3 src0_sel:BYTE_0 src1_sel:DWORD
	s_mov_b64 s[24:25], -1
	s_and_b64 vcc, exec, s[28:29]
	s_cbranch_vccz .LBB15_399
; %bb.398:
	v_cvt_i32_f32_e32 v3, v2
	s_mov_b64 s[24:25], 0
	global_store_byte v[0:1], v3, off
.LBB15_399:
	s_andn2_b64 vcc, exec, s[24:25]
	s_cbranch_vccnz .LBB15_401
; %bb.400:
	v_trunc_f32_e32 v2, v2
	s_mov_b32 s24, 0x2f800000
	v_mul_f32_e64 v3, |v2|, s24
	v_floor_f32_e32 v3, v3
	s_mov_b32 s24, 0xcf800000
	v_fma_f32 v3, v3, s24, |v2|
	v_cvt_u32_f32_e32 v3, v3
	v_ashrrev_i32_e32 v2, 31, v2
	v_xor_b32_e32 v3, v3, v2
	v_sub_u32_e32 v2, v3, v2
	global_store_byte v[0:1], v2, off
.LBB15_401:
	s_mov_b64 s[24:25], -1
.LBB15_402:
	s_andn2_b64 vcc, exec, s[24:25]
	s_cbranch_vccnz .LBB15_404
; %bb.403:
	v_add_u32_e32 v4, 0x80, v4
	s_mov_b64 s[28:29], -1
	s_branch .LBB15_516
.LBB15_404:
	s_mov_b64 s[28:29], 0
                                        ; implicit-def: $vgpr4
	s_branch .LBB15_516
.LBB15_405:
	s_mov_b64 s[22:23], -1
                                        ; implicit-def: $vgpr2
.LBB15_406:
	s_mov_b64 s[24:25], 0
.LBB15_407:
	s_and_b64 vcc, exec, s[24:25]
	s_cbranch_vccz .LBB15_411
; %bb.408:
	v_cmp_eq_u16_e32 vcc, 29, v5
	s_cbranch_vccz .LBB15_410
; %bb.409:
	global_load_dwordx2 v[2:3], v[0:1], off
	s_mov_b64 s[0:1], -1
	s_mov_b64 s[22:23], 0
	s_mov_b64 s[24:25], 0
	s_waitcnt vmcnt(0)
	v_ffbh_u32_e32 v6, v3
	v_min_u32_e32 v6, 32, v6
	v_lshlrev_b64 v[2:3], v6, v[2:3]
	v_min_u32_e32 v2, 1, v2
	v_or_b32_e32 v2, v3, v2
	v_cvt_f32_u32_e32 v2, v2
	v_sub_u32_e32 v3, 32, v6
	v_ldexp_f32 v2, v2, v3
	s_branch .LBB15_412
.LBB15_410:
	s_mov_b64 s[22:23], -1
                                        ; implicit-def: $vgpr2
.LBB15_411:
	s_mov_b64 s[24:25], 0
.LBB15_412:
	s_and_b64 vcc, exec, s[24:25]
	s_cbranch_vccz .LBB15_430
; %bb.413:
	v_cmp_gt_i16_e32 vcc, 27, v5
	s_cbranch_vccnz .LBB15_416
; %bb.414:
	v_cmp_lt_i16_e32 vcc, 27, v5
	s_cbranch_vccz .LBB15_417
; %bb.415:
	global_load_dword v2, v[0:1], off
	s_mov_b64 s[0:1], 0
	s_waitcnt vmcnt(0)
	v_cvt_f32_u32_e32 v2, v2
	s_branch .LBB15_418
.LBB15_416:
	s_mov_b64 s[0:1], -1
                                        ; implicit-def: $vgpr2
	s_branch .LBB15_421
.LBB15_417:
	s_mov_b64 s[0:1], -1
                                        ; implicit-def: $vgpr2
.LBB15_418:
	s_andn2_b64 vcc, exec, s[0:1]
	s_cbranch_vccnz .LBB15_420
; %bb.419:
	global_load_ushort v2, v[0:1], off
	s_waitcnt vmcnt(0)
	v_cvt_f32_u32_e32 v2, v2
.LBB15_420:
	s_mov_b64 s[0:1], 0
.LBB15_421:
	s_andn2_b64 vcc, exec, s[0:1]
	s_cbranch_vccnz .LBB15_429
; %bb.422:
	global_load_ubyte v3, v[0:1], off
	s_movk_i32 s0, 0x7f
                                        ; implicit-def: $sgpr30
	s_waitcnt vmcnt(0)
	v_cmp_lt_i16_e32 vcc, s0, v3
	s_mov_b64 s[0:1], 0
	s_and_saveexec_b64 s[24:25], vcc
	s_xor_b64 s[24:25], exec, s[24:25]
	s_cbranch_execz .LBB15_443
; %bb.423:
	s_movk_i32 s0, 0x80
	v_cmp_eq_u16_e32 vcc, s0, v3
	s_mov_b64 s[0:1], -1
                                        ; implicit-def: $sgpr30
	s_and_saveexec_b64 s[28:29], vcc
; %bb.424:
	s_mov_b32 s30, 0x7f800001
	s_xor_b64 s[0:1], exec, -1
; %bb.425:
	s_or_b64 exec, exec, s[28:29]
	s_and_b64 s[0:1], s[0:1], exec
	s_or_saveexec_b64 s[24:25], s[24:25]
	v_mov_b32_e32 v2, s30
	s_xor_b64 exec, exec, s[24:25]
	s_cbranch_execnz .LBB15_444
.LBB15_426:
	s_or_b64 exec, exec, s[24:25]
	s_and_saveexec_b64 s[24:25], s[0:1]
	s_cbranch_execz .LBB15_428
.LBB15_427:
	v_lshlrev_b32_e32 v2, 24, v3
	v_and_b32_e32 v3, 0xffff, v3
	v_and_b32_e32 v6, 7, v3
	v_ffbh_u32_e32 v8, v6
	v_min_u32_e32 v8, 32, v8
	v_subrev_u32_e32 v9, 28, v8
	v_bfe_u32 v7, v3, 3, 4
	v_lshlrev_b32_e32 v3, v9, v3
	v_sub_u32_e32 v8, 29, v8
	v_and_b32_e32 v3, 7, v3
	v_cmp_eq_u32_e32 vcc, 0, v7
	v_cndmask_b32_e32 v7, v7, v8, vcc
	v_cndmask_b32_e32 v3, v6, v3, vcc
	v_mov_b32_e32 v6, 0x3b800000
	v_lshlrev_b32_e32 v3, 20, v3
	v_and_b32_e32 v2, 0x80000000, v2
	v_lshl_add_u32 v6, v7, 23, v6
	v_or3_b32 v2, v2, v6, v3
.LBB15_428:
	s_or_b64 exec, exec, s[24:25]
.LBB15_429:
	s_mov_b64 s[0:1], -1
.LBB15_430:
	s_mov_b64 s[24:25], 0
.LBB15_431:
	s_and_b64 vcc, exec, s[24:25]
	s_cbranch_vccz .LBB15_466
; %bb.432:
	v_cmp_lt_i16_e32 vcc, 22, v5
	s_cbranch_vccz .LBB15_442
; %bb.433:
	v_cmp_gt_i16_e32 vcc, 24, v5
	s_cbranch_vccnz .LBB15_445
; %bb.434:
	v_cmp_lt_i16_e32 vcc, 24, v5
	s_cbranch_vccz .LBB15_446
; %bb.435:
	global_load_ubyte v3, v[0:1], off
	s_movk_i32 s0, 0x7f
                                        ; implicit-def: $sgpr30
	s_waitcnt vmcnt(0)
	v_cmp_lt_i16_e32 vcc, s0, v3
	s_mov_b64 s[0:1], 0
	s_and_saveexec_b64 s[24:25], vcc
	s_xor_b64 s[24:25], exec, s[24:25]
	s_cbranch_execz .LBB15_458
; %bb.436:
	s_movk_i32 s0, 0x80
	v_cmp_eq_u16_e32 vcc, s0, v3
	s_mov_b64 s[0:1], -1
                                        ; implicit-def: $sgpr30
	s_and_saveexec_b64 s[28:29], vcc
; %bb.437:
	s_mov_b32 s30, 0x7f800001
	s_xor_b64 s[0:1], exec, -1
; %bb.438:
	s_or_b64 exec, exec, s[28:29]
	s_and_b64 s[0:1], s[0:1], exec
	s_or_saveexec_b64 s[24:25], s[24:25]
	v_mov_b32_e32 v2, s30
	s_xor_b64 exec, exec, s[24:25]
	s_cbranch_execnz .LBB15_459
.LBB15_439:
	s_or_b64 exec, exec, s[24:25]
	s_and_saveexec_b64 s[24:25], s[0:1]
	s_cbranch_execz .LBB15_441
.LBB15_440:
	v_lshlrev_b32_e32 v2, 24, v3
	v_and_b32_e32 v3, 0xffff, v3
	v_and_b32_e32 v6, 3, v3
	v_ffbh_u32_e32 v8, v6
	v_min_u32_e32 v8, 32, v8
	v_subrev_u32_e32 v9, 29, v8
	v_bfe_u32 v7, v3, 2, 5
	v_lshlrev_b32_e32 v3, v9, v3
	v_sub_u32_e32 v8, 30, v8
	v_and_b32_e32 v3, 3, v3
	v_cmp_eq_u32_e32 vcc, 0, v7
	v_cndmask_b32_e32 v7, v7, v8, vcc
	v_cndmask_b32_e32 v3, v6, v3, vcc
	v_mov_b32_e32 v6, 0x37800000
	v_lshlrev_b32_e32 v3, 21, v3
	v_and_b32_e32 v2, 0x80000000, v2
	v_lshl_add_u32 v6, v7, 23, v6
	v_or3_b32 v2, v2, v6, v3
.LBB15_441:
	s_or_b64 exec, exec, s[24:25]
	s_mov_b64 s[0:1], 0
	s_branch .LBB15_447
.LBB15_442:
	s_mov_b64 s[24:25], -1
                                        ; implicit-def: $vgpr2
	s_branch .LBB15_453
.LBB15_443:
	s_or_saveexec_b64 s[24:25], s[24:25]
	v_mov_b32_e32 v2, s30
	s_xor_b64 exec, exec, s[24:25]
	s_cbranch_execz .LBB15_426
.LBB15_444:
	v_cmp_ne_u16_e32 vcc, 0, v3
	s_andn2_b64 s[0:1], s[0:1], exec
	s_and_b64 s[28:29], vcc, exec
	v_mov_b32_e32 v2, 0
	s_or_b64 s[0:1], s[0:1], s[28:29]
	s_or_b64 exec, exec, s[24:25]
	s_and_saveexec_b64 s[24:25], s[0:1]
	s_cbranch_execnz .LBB15_427
	s_branch .LBB15_428
.LBB15_445:
	s_mov_b64 s[0:1], -1
                                        ; implicit-def: $vgpr2
	s_branch .LBB15_450
.LBB15_446:
	s_mov_b64 s[0:1], -1
                                        ; implicit-def: $vgpr2
.LBB15_447:
	s_and_b64 vcc, exec, s[0:1]
	s_cbranch_vccz .LBB15_449
; %bb.448:
	global_load_ubyte v2, v[0:1], off
	s_mov_b32 s0, 0x7f800000
	s_waitcnt vmcnt(0)
	v_lshlrev_b32_e32 v2, 24, v2
	v_and_b32_e32 v3, 0x7f000000, v2
	v_ffbh_u32_e32 v6, v3
	v_min_u32_e32 v6, 32, v6
	v_sub_u32_e64 v6, v6, 4 clamp
	v_lshlrev_b32_e32 v8, v6, v3
	v_lshlrev_b32_e32 v6, 23, v6
	v_lshrrev_b32_e32 v8, 4, v8
	v_add_u32_e32 v7, 0x1000000, v3
	v_sub_u32_e32 v6, v8, v6
	v_ashrrev_i32_e32 v7, 8, v7
	v_add_u32_e32 v6, 0x3c000000, v6
	v_and_or_b32 v6, v7, s0, v6
	v_cmp_ne_u32_e32 vcc, 0, v3
	v_cndmask_b32_e32 v3, 0, v6, vcc
	s_brev_b32 s0, 1
	v_and_or_b32 v2, v2, s0, v3
.LBB15_449:
	s_mov_b64 s[0:1], 0
.LBB15_450:
	s_andn2_b64 vcc, exec, s[0:1]
	s_cbranch_vccnz .LBB15_452
; %bb.451:
	global_load_ubyte v2, v[0:1], off
	s_movk_i32 s0, 0x7f00
	s_brev_b32 s1, 16
	s_waitcnt vmcnt(0)
	v_lshlrev_b16_e32 v3, 8, v2
	v_lshlrev_b32_e32 v2, 25, v2
	v_lshrrev_b32_e32 v6, 4, v2
	v_and_or_b32 v7, v3, s0, 0.5
	v_or_b32_e32 v6, 0x70000000, v6
	v_add_f32_e32 v7, -0.5, v7
	v_mul_f32_e32 v6, 0x7800000, v6
	v_cmp_gt_u32_e32 vcc, s1, v2
	v_bfe_i32 v3, v3, 0, 16
	v_cndmask_b32_e32 v2, v6, v7, vcc
	s_brev_b32 s0, 1
	v_and_or_b32 v2, v3, s0, v2
.LBB15_452:
	s_mov_b64 s[24:25], 0
	s_mov_b64 s[0:1], -1
.LBB15_453:
	s_andn2_b64 vcc, exec, s[24:25]
	s_cbranch_vccnz .LBB15_466
; %bb.454:
	v_cmp_lt_i16_e32 vcc, 14, v5
	s_cbranch_vccz .LBB15_457
; %bb.455:
	v_cmp_eq_u16_e32 vcc, 15, v5
	s_cbranch_vccz .LBB15_460
; %bb.456:
	global_load_ushort v2, v[0:1], off
	s_mov_b64 s[0:1], -1
	s_mov_b64 s[22:23], 0
	s_waitcnt vmcnt(0)
	v_lshlrev_b32_e32 v2, 16, v2
	s_branch .LBB15_461
.LBB15_457:
	s_mov_b64 s[24:25], -1
                                        ; implicit-def: $vgpr2
	s_branch .LBB15_462
.LBB15_458:
	s_or_saveexec_b64 s[24:25], s[24:25]
	v_mov_b32_e32 v2, s30
	s_xor_b64 exec, exec, s[24:25]
	s_cbranch_execz .LBB15_439
.LBB15_459:
	v_cmp_ne_u16_e32 vcc, 0, v3
	s_andn2_b64 s[0:1], s[0:1], exec
	s_and_b64 s[28:29], vcc, exec
	v_mov_b32_e32 v2, 0
	s_or_b64 s[0:1], s[0:1], s[28:29]
	s_or_b64 exec, exec, s[24:25]
	s_and_saveexec_b64 s[24:25], s[0:1]
	s_cbranch_execnz .LBB15_440
	s_branch .LBB15_441
.LBB15_460:
	s_mov_b64 s[22:23], -1
                                        ; implicit-def: $vgpr2
.LBB15_461:
	s_mov_b64 s[24:25], 0
.LBB15_462:
	s_and_b64 vcc, exec, s[24:25]
	s_cbranch_vccz .LBB15_466
; %bb.463:
	v_cmp_eq_u16_e32 vcc, 11, v5
	s_cbranch_vccz .LBB15_465
; %bb.464:
	global_load_ubyte v2, v[0:1], off
	s_mov_b64 s[0:1], -1
	s_mov_b64 s[22:23], 0
	s_waitcnt vmcnt(0)
	v_cmp_ne_u16_e32 vcc, 0, v2
	v_cndmask_b32_e64 v2, 0, 1.0, vcc
	s_branch .LBB15_466
.LBB15_465:
	s_mov_b64 s[22:23], -1
                                        ; implicit-def: $vgpr2
.LBB15_466:
	s_branch .LBB15_267
.LBB15_467:
	v_cmp_gt_i16_e32 vcc, 5, v5
	s_cbranch_vccnz .LBB15_472
; %bb.468:
	v_cmp_gt_i16_e32 vcc, 8, v5
	s_cbranch_vccnz .LBB15_473
; %bb.469:
	;; [unrolled: 3-line block ×3, first 2 shown]
	v_cmp_lt_i16_e32 vcc, 9, v5
	s_cbranch_vccz .LBB15_475
; %bb.471:
	global_load_dwordx2 v[2:3], v[0:1], off
	s_mov_b64 s[0:1], 0
	s_waitcnt vmcnt(0)
	v_cvt_f32_f64_e32 v2, v[2:3]
	s_branch .LBB15_476
.LBB15_472:
	s_mov_b64 s[0:1], -1
                                        ; implicit-def: $vgpr2
	s_branch .LBB15_494
.LBB15_473:
	s_mov_b64 s[0:1], -1
                                        ; implicit-def: $vgpr2
	s_branch .LBB15_482
.LBB15_474:
	s_mov_b64 s[0:1], -1
                                        ; implicit-def: $vgpr2
	s_branch .LBB15_479
.LBB15_475:
	s_mov_b64 s[0:1], -1
                                        ; implicit-def: $vgpr2
.LBB15_476:
	s_andn2_b64 vcc, exec, s[0:1]
	s_cbranch_vccnz .LBB15_478
; %bb.477:
	global_load_dword v2, v[0:1], off
.LBB15_478:
	s_mov_b64 s[0:1], 0
.LBB15_479:
	s_andn2_b64 vcc, exec, s[0:1]
	s_cbranch_vccnz .LBB15_481
; %bb.480:
	global_load_dword v2, v[0:1], off
	s_waitcnt vmcnt(0)
	v_cvt_f32_f16_e32 v2, v2
.LBB15_481:
	s_mov_b64 s[0:1], 0
.LBB15_482:
	s_andn2_b64 vcc, exec, s[0:1]
	s_cbranch_vccnz .LBB15_493
; %bb.483:
	v_cmp_gt_i16_e32 vcc, 6, v5
	s_cbranch_vccnz .LBB15_486
; %bb.484:
	v_cmp_lt_i16_e32 vcc, 6, v5
	s_cbranch_vccz .LBB15_487
; %bb.485:
	global_load_dwordx2 v[2:3], v[0:1], off
	s_mov_b64 s[0:1], 0
	s_waitcnt vmcnt(0)
	v_cvt_f32_f64_e32 v2, v[2:3]
	s_branch .LBB15_488
.LBB15_486:
	s_mov_b64 s[0:1], -1
                                        ; implicit-def: $vgpr2
	s_branch .LBB15_491
.LBB15_487:
	s_mov_b64 s[0:1], -1
                                        ; implicit-def: $vgpr2
.LBB15_488:
	s_andn2_b64 vcc, exec, s[0:1]
	s_cbranch_vccnz .LBB15_490
; %bb.489:
	global_load_dword v2, v[0:1], off
.LBB15_490:
	s_mov_b64 s[0:1], 0
.LBB15_491:
	s_andn2_b64 vcc, exec, s[0:1]
	s_cbranch_vccnz .LBB15_493
; %bb.492:
	global_load_ushort v2, v[0:1], off
	s_waitcnt vmcnt(0)
	v_cvt_f32_f16_e32 v2, v2
.LBB15_493:
	s_mov_b64 s[0:1], 0
.LBB15_494:
	s_andn2_b64 vcc, exec, s[0:1]
	s_cbranch_vccnz .LBB15_514
; %bb.495:
	v_cmp_gt_i16_e32 vcc, 2, v5
	s_cbranch_vccnz .LBB15_499
; %bb.496:
	v_cmp_gt_i16_e32 vcc, 3, v5
	s_cbranch_vccnz .LBB15_500
; %bb.497:
	v_cmp_lt_i16_e32 vcc, 3, v5
	s_cbranch_vccz .LBB15_501
; %bb.498:
	global_load_dwordx2 v[2:3], v[0:1], off
	s_mov_b64 s[0:1], 0
	s_waitcnt vmcnt(0)
	v_xor_b32_e32 v7, v2, v3
	v_ffbh_i32_e32 v6, v3
	v_ashrrev_i32_e32 v7, 31, v7
	v_add_u32_e32 v6, -1, v6
	v_add_u32_e32 v7, 32, v7
	v_min_u32_e32 v6, v6, v7
	v_lshlrev_b64 v[2:3], v6, v[2:3]
	v_min_u32_e32 v2, 1, v2
	v_or_b32_e32 v2, v3, v2
	v_cvt_f32_i32_e32 v2, v2
	v_sub_u32_e32 v3, 32, v6
	v_ldexp_f32 v2, v2, v3
	s_branch .LBB15_502
.LBB15_499:
	s_mov_b64 s[0:1], -1
                                        ; implicit-def: $vgpr2
	s_branch .LBB15_508
.LBB15_500:
	s_mov_b64 s[0:1], -1
                                        ; implicit-def: $vgpr2
	s_branch .LBB15_505
.LBB15_501:
	s_mov_b64 s[0:1], -1
                                        ; implicit-def: $vgpr2
.LBB15_502:
	s_andn2_b64 vcc, exec, s[0:1]
	s_cbranch_vccnz .LBB15_504
; %bb.503:
	global_load_dword v2, v[0:1], off
	s_waitcnt vmcnt(0)
	v_cvt_f32_i32_e32 v2, v2
.LBB15_504:
	s_mov_b64 s[0:1], 0
.LBB15_505:
	s_andn2_b64 vcc, exec, s[0:1]
	s_cbranch_vccnz .LBB15_507
; %bb.506:
	global_load_sshort v2, v[0:1], off
	s_waitcnt vmcnt(0)
	v_cvt_f32_i32_e32 v2, v2
.LBB15_507:
	s_mov_b64 s[0:1], 0
.LBB15_508:
	s_andn2_b64 vcc, exec, s[0:1]
	s_cbranch_vccnz .LBB15_514
; %bb.509:
	v_cmp_lt_i16_e32 vcc, 0, v5
	s_cbranch_vccz .LBB15_511
; %bb.510:
	global_load_sbyte v2, v[0:1], off
	s_mov_b64 s[0:1], 0
	s_waitcnt vmcnt(0)
	v_cvt_f32_i32_e32 v2, v2
	s_branch .LBB15_512
.LBB15_511:
	s_mov_b64 s[0:1], -1
                                        ; implicit-def: $vgpr2
.LBB15_512:
	s_andn2_b64 vcc, exec, s[0:1]
	s_cbranch_vccnz .LBB15_514
; %bb.513:
	global_load_ubyte v0, v[0:1], off
	s_waitcnt vmcnt(0)
	v_cvt_f32_ubyte0_e32 v2, v0
.LBB15_514:
	s_branch .LBB15_268
.LBB15_515:
	s_mov_b64 s[28:29], 0
                                        ; implicit-def: $vgpr4
	s_mov_b64 s[0:1], s[16:17]
.LBB15_516:
	s_andn2_b64 s[24:25], s[16:17], exec
	s_and_b64 s[0:1], s[0:1], exec
	s_or_b64 s[24:25], s[24:25], s[0:1]
	s_andn2_b64 s[0:1], s[18:19], exec
	s_and_b64 s[22:23], s[22:23], exec
	s_or_b64 s[22:23], s[0:1], s[22:23]
	s_orn2_b64 s[0:1], s[28:29], exec
.LBB15_517:
	s_or_b64 exec, exec, s[26:27]
	s_mov_b64 s[28:29], 0
	s_mov_b64 s[30:31], 0
	;; [unrolled: 1-line block ×3, first 2 shown]
                                        ; implicit-def: $vgpr0_vgpr1
                                        ; implicit-def: $vgpr3
	s_and_saveexec_b64 s[26:27], s[0:1]
	s_cbranch_execz .LBB15_864
; %bb.518:
	v_cmp_gt_i32_e32 vcc, s42, v4
	s_mov_b64 s[38:39], -1
	s_mov_b64 s[0:1], s[22:23]
	s_mov_b64 s[34:35], s[24:25]
	s_and_saveexec_b64 s[28:29], vcc
	s_cbranch_execz .LBB15_778
; %bb.519:
	v_mul_lo_u32 v0, v4, s3
	v_ashrrev_i32_e32 v1, 31, v0
	s_waitcnt vmcnt(0)
	v_mov_b32_e32 v2, s11
	v_add_co_u32_e32 v0, vcc, s10, v0
	v_addc_co_u32_e32 v1, vcc, v2, v1, vcc
	v_cmp_gt_i16_e32 vcc, 11, v5
	s_cbranch_vccnz .LBB15_526
; %bb.520:
	v_cmp_lt_i16_e32 vcc, 25, v5
	s_cbranch_vccz .LBB15_527
; %bb.521:
	v_cmp_lt_i16_e32 vcc, 28, v5
	s_cbranch_vccz .LBB15_528
	;; [unrolled: 3-line block ×4, first 2 shown]
; %bb.524:
	v_cmp_eq_u16_e32 vcc, 46, v5
	s_mov_b64 s[34:35], 0
	s_cbranch_vccz .LBB15_535
; %bb.525:
	global_load_dword v2, v[0:1], off
	s_mov_b64 s[0:1], -1
	s_waitcnt vmcnt(0)
	v_lshlrev_b32_e32 v2, 16, v2
	s_branch .LBB15_536
.LBB15_526:
	s_mov_b64 s[34:35], -1
	s_mov_b64 s[0:1], 0
                                        ; implicit-def: $vgpr2
	s_mov_b64 s[30:31], s[22:23]
	s_branch .LBB15_601
.LBB15_527:
	s_mov_b64 s[34:35], -1
	s_mov_b64 s[0:1], 0
	s_mov_b64 s[30:31], s[22:23]
                                        ; implicit-def: $vgpr2
	s_branch .LBB15_565
.LBB15_528:
	s_mov_b64 s[34:35], -1
	s_mov_b64 s[0:1], 0
	s_mov_b64 s[30:31], s[22:23]
                                        ; implicit-def: $vgpr2
	s_branch .LBB15_546
.LBB15_529:
	s_mov_b64 s[34:35], -1
	s_mov_b64 s[0:1], 0
	s_mov_b64 s[30:31], s[22:23]
                                        ; implicit-def: $vgpr2
	s_branch .LBB15_541
.LBB15_530:
	s_or_saveexec_b64 s[30:31], s[30:31]
                                        ; implicit-def: $sgpr34
	s_xor_b64 exec, exec, s[30:31]
	s_cbranch_execz .LBB15_315
.LBB15_531:
	s_mov_b32 s34, 0x46000000
	v_add_f32_e64 v3, |v2|, s34
	v_and_b32_e32 v3, 0xff, v3
	v_cmp_ne_u32_e32 vcc, 0, v3
	s_andn2_b64 s[28:29], s[28:29], exec
	s_and_b64 s[36:37], vcc, exec
	s_mov_b32 s34, 0
	s_or_b64 s[28:29], s[28:29], s[36:37]
	s_or_b64 exec, exec, s[30:31]
	v_mov_b32_e32 v6, s34
	s_and_saveexec_b64 s[30:31], s[28:29]
	s_cbranch_execnz .LBB15_316
	s_branch .LBB15_317
.LBB15_532:
	s_mov_b64 s[34:35], -1
	s_mov_b64 s[0:1], 0
	s_mov_b64 s[30:31], s[22:23]
                                        ; implicit-def: $vgpr2
	s_branch .LBB15_536
.LBB15_533:
	s_or_saveexec_b64 s[30:31], s[30:31]
                                        ; implicit-def: $sgpr34
	s_xor_b64 exec, exec, s[30:31]
	s_cbranch_execz .LBB15_328
.LBB15_534:
	s_mov_b32 s34, 0x42800000
	v_add_f32_e64 v3, |v2|, s34
	v_and_b32_e32 v3, 0xff, v3
	v_cmp_ne_u32_e32 vcc, 0, v3
	s_andn2_b64 s[28:29], s[28:29], exec
	s_and_b64 s[36:37], vcc, exec
	s_mov_b32 s34, 0
	s_or_b64 s[28:29], s[28:29], s[36:37]
	s_or_b64 exec, exec, s[30:31]
	v_mov_b32_e32 v6, s34
	s_and_saveexec_b64 s[30:31], s[28:29]
	s_cbranch_execnz .LBB15_329
	s_branch .LBB15_330
.LBB15_535:
	s_mov_b64 s[30:31], -1
                                        ; implicit-def: $vgpr2
	s_mov_b64 s[0:1], 0
.LBB15_536:
	s_and_b64 vcc, exec, s[34:35]
	s_cbranch_vccz .LBB15_540
; %bb.537:
	v_cmp_eq_u16_e32 vcc, 44, v5
	s_cbranch_vccz .LBB15_539
; %bb.538:
	global_load_ubyte v2, v[0:1], off
	s_movk_i32 s30, 0xff
	v_mov_b32_e32 v3, 0x7f800001
	v_mov_b32_e32 v6, 0x400000
	s_mov_b64 s[0:1], -1
	s_waitcnt vmcnt(0)
	v_lshlrev_b32_e32 v7, 23, v2
	v_cmp_ne_u32_e32 vcc, s30, v2
	v_cndmask_b32_e32 v3, v3, v7, vcc
	v_cmp_ne_u32_e32 vcc, 0, v2
	v_cndmask_b32_e32 v2, v6, v3, vcc
	s_mov_b64 s[30:31], 0
	s_branch .LBB15_540
.LBB15_539:
	s_mov_b64 s[30:31], -1
                                        ; implicit-def: $vgpr2
.LBB15_540:
	s_mov_b64 s[34:35], 0
.LBB15_541:
	s_and_b64 vcc, exec, s[34:35]
	s_cbranch_vccz .LBB15_545
; %bb.542:
	v_cmp_eq_u16_e32 vcc, 29, v5
	s_cbranch_vccz .LBB15_544
; %bb.543:
	global_load_dwordx2 v[2:3], v[0:1], off
	s_mov_b64 s[0:1], -1
	s_mov_b64 s[30:31], 0
	s_mov_b64 s[34:35], 0
	s_waitcnt vmcnt(0)
	v_ffbh_u32_e32 v6, v3
	v_min_u32_e32 v6, 32, v6
	v_lshlrev_b64 v[2:3], v6, v[2:3]
	v_min_u32_e32 v2, 1, v2
	v_or_b32_e32 v2, v3, v2
	v_cvt_f32_u32_e32 v2, v2
	v_sub_u32_e32 v3, 32, v6
	v_ldexp_f32 v2, v2, v3
	s_branch .LBB15_546
.LBB15_544:
	s_mov_b64 s[30:31], -1
                                        ; implicit-def: $vgpr2
.LBB15_545:
	s_mov_b64 s[34:35], 0
.LBB15_546:
	s_and_b64 vcc, exec, s[34:35]
	s_cbranch_vccz .LBB15_564
; %bb.547:
	v_cmp_gt_i16_e32 vcc, 27, v5
	s_cbranch_vccnz .LBB15_550
; %bb.548:
	v_cmp_lt_i16_e32 vcc, 27, v5
	s_cbranch_vccz .LBB15_551
; %bb.549:
	global_load_dword v2, v[0:1], off
	s_mov_b64 s[0:1], 0
	s_waitcnt vmcnt(0)
	v_cvt_f32_u32_e32 v2, v2
	s_branch .LBB15_552
.LBB15_550:
	s_mov_b64 s[0:1], -1
                                        ; implicit-def: $vgpr2
	s_branch .LBB15_555
.LBB15_551:
	s_mov_b64 s[0:1], -1
                                        ; implicit-def: $vgpr2
.LBB15_552:
	s_andn2_b64 vcc, exec, s[0:1]
	s_cbranch_vccnz .LBB15_554
; %bb.553:
	global_load_ushort v2, v[0:1], off
	s_waitcnt vmcnt(0)
	v_cvt_f32_u32_e32 v2, v2
.LBB15_554:
	s_mov_b64 s[0:1], 0
.LBB15_555:
	s_andn2_b64 vcc, exec, s[0:1]
	s_cbranch_vccnz .LBB15_563
; %bb.556:
	global_load_ubyte v3, v[0:1], off
	s_movk_i32 s0, 0x7f
                                        ; implicit-def: $sgpr38
	s_waitcnt vmcnt(0)
	v_cmp_lt_i16_e32 vcc, s0, v3
	s_mov_b64 s[0:1], 0
	s_and_saveexec_b64 s[34:35], vcc
	s_xor_b64 s[34:35], exec, s[34:35]
	s_cbranch_execz .LBB15_577
; %bb.557:
	s_movk_i32 s0, 0x80
	v_cmp_eq_u16_e32 vcc, s0, v3
	s_mov_b64 s[0:1], -1
                                        ; implicit-def: $sgpr38
	s_and_saveexec_b64 s[36:37], vcc
; %bb.558:
	s_mov_b32 s38, 0x7f800001
	s_xor_b64 s[0:1], exec, -1
; %bb.559:
	s_or_b64 exec, exec, s[36:37]
	s_and_b64 s[0:1], s[0:1], exec
	s_or_saveexec_b64 s[34:35], s[34:35]
	v_mov_b32_e32 v2, s38
	s_xor_b64 exec, exec, s[34:35]
	s_cbranch_execnz .LBB15_578
.LBB15_560:
	s_or_b64 exec, exec, s[34:35]
	s_and_saveexec_b64 s[34:35], s[0:1]
	s_cbranch_execz .LBB15_562
.LBB15_561:
	v_lshlrev_b32_e32 v2, 24, v3
	v_and_b32_e32 v3, 0xffff, v3
	v_and_b32_e32 v6, 7, v3
	v_ffbh_u32_e32 v8, v6
	v_min_u32_e32 v8, 32, v8
	v_subrev_u32_e32 v9, 28, v8
	v_bfe_u32 v7, v3, 3, 4
	v_lshlrev_b32_e32 v3, v9, v3
	v_sub_u32_e32 v8, 29, v8
	v_and_b32_e32 v3, 7, v3
	v_cmp_eq_u32_e32 vcc, 0, v7
	v_cndmask_b32_e32 v7, v7, v8, vcc
	v_cndmask_b32_e32 v3, v6, v3, vcc
	v_mov_b32_e32 v6, 0x3b800000
	v_lshlrev_b32_e32 v3, 20, v3
	v_and_b32_e32 v2, 0x80000000, v2
	v_lshl_add_u32 v6, v7, 23, v6
	v_or3_b32 v2, v2, v6, v3
.LBB15_562:
	s_or_b64 exec, exec, s[34:35]
.LBB15_563:
	s_mov_b64 s[0:1], -1
.LBB15_564:
	s_mov_b64 s[34:35], 0
.LBB15_565:
	s_and_b64 vcc, exec, s[34:35]
	s_cbranch_vccz .LBB15_600
; %bb.566:
	v_cmp_lt_i16_e32 vcc, 22, v5
	s_cbranch_vccz .LBB15_576
; %bb.567:
	v_cmp_gt_i16_e32 vcc, 24, v5
	s_cbranch_vccnz .LBB15_579
; %bb.568:
	v_cmp_lt_i16_e32 vcc, 24, v5
	s_cbranch_vccz .LBB15_580
; %bb.569:
	global_load_ubyte v3, v[0:1], off
	s_movk_i32 s0, 0x7f
                                        ; implicit-def: $sgpr38
	s_waitcnt vmcnt(0)
	v_cmp_lt_i16_e32 vcc, s0, v3
	s_mov_b64 s[0:1], 0
	s_and_saveexec_b64 s[34:35], vcc
	s_xor_b64 s[34:35], exec, s[34:35]
	s_cbranch_execz .LBB15_592
; %bb.570:
	s_movk_i32 s0, 0x80
	v_cmp_eq_u16_e32 vcc, s0, v3
	s_mov_b64 s[0:1], -1
                                        ; implicit-def: $sgpr38
	s_and_saveexec_b64 s[36:37], vcc
; %bb.571:
	s_mov_b32 s38, 0x7f800001
	s_xor_b64 s[0:1], exec, -1
; %bb.572:
	s_or_b64 exec, exec, s[36:37]
	s_and_b64 s[0:1], s[0:1], exec
	s_or_saveexec_b64 s[34:35], s[34:35]
	v_mov_b32_e32 v2, s38
	s_xor_b64 exec, exec, s[34:35]
	s_cbranch_execnz .LBB15_593
.LBB15_573:
	s_or_b64 exec, exec, s[34:35]
	s_and_saveexec_b64 s[34:35], s[0:1]
	s_cbranch_execz .LBB15_575
.LBB15_574:
	v_lshlrev_b32_e32 v2, 24, v3
	v_and_b32_e32 v3, 0xffff, v3
	v_and_b32_e32 v6, 3, v3
	v_ffbh_u32_e32 v8, v6
	v_min_u32_e32 v8, 32, v8
	v_subrev_u32_e32 v9, 29, v8
	v_bfe_u32 v7, v3, 2, 5
	v_lshlrev_b32_e32 v3, v9, v3
	v_sub_u32_e32 v8, 30, v8
	v_and_b32_e32 v3, 3, v3
	v_cmp_eq_u32_e32 vcc, 0, v7
	v_cndmask_b32_e32 v7, v7, v8, vcc
	v_cndmask_b32_e32 v3, v6, v3, vcc
	v_mov_b32_e32 v6, 0x37800000
	v_lshlrev_b32_e32 v3, 21, v3
	v_and_b32_e32 v2, 0x80000000, v2
	v_lshl_add_u32 v6, v7, 23, v6
	v_or3_b32 v2, v2, v6, v3
.LBB15_575:
	s_or_b64 exec, exec, s[34:35]
	s_mov_b64 s[0:1], 0
	s_branch .LBB15_581
.LBB15_576:
	s_mov_b64 s[34:35], -1
                                        ; implicit-def: $vgpr2
	s_branch .LBB15_587
.LBB15_577:
	s_or_saveexec_b64 s[34:35], s[34:35]
	v_mov_b32_e32 v2, s38
	s_xor_b64 exec, exec, s[34:35]
	s_cbranch_execz .LBB15_560
.LBB15_578:
	v_cmp_ne_u16_e32 vcc, 0, v3
	s_andn2_b64 s[0:1], s[0:1], exec
	s_and_b64 s[36:37], vcc, exec
	v_mov_b32_e32 v2, 0
	s_or_b64 s[0:1], s[0:1], s[36:37]
	s_or_b64 exec, exec, s[34:35]
	s_and_saveexec_b64 s[34:35], s[0:1]
	s_cbranch_execnz .LBB15_561
	s_branch .LBB15_562
.LBB15_579:
	s_mov_b64 s[0:1], -1
                                        ; implicit-def: $vgpr2
	s_branch .LBB15_584
.LBB15_580:
	s_mov_b64 s[0:1], -1
                                        ; implicit-def: $vgpr2
.LBB15_581:
	s_and_b64 vcc, exec, s[0:1]
	s_cbranch_vccz .LBB15_583
; %bb.582:
	global_load_ubyte v2, v[0:1], off
	s_mov_b32 s0, 0x7f800000
	s_waitcnt vmcnt(0)
	v_lshlrev_b32_e32 v2, 24, v2
	v_and_b32_e32 v3, 0x7f000000, v2
	v_ffbh_u32_e32 v6, v3
	v_min_u32_e32 v6, 32, v6
	v_sub_u32_e64 v6, v6, 4 clamp
	v_lshlrev_b32_e32 v8, v6, v3
	v_lshlrev_b32_e32 v6, 23, v6
	v_lshrrev_b32_e32 v8, 4, v8
	v_add_u32_e32 v7, 0x1000000, v3
	v_sub_u32_e32 v6, v8, v6
	v_ashrrev_i32_e32 v7, 8, v7
	v_add_u32_e32 v6, 0x3c000000, v6
	v_and_or_b32 v6, v7, s0, v6
	v_cmp_ne_u32_e32 vcc, 0, v3
	v_cndmask_b32_e32 v3, 0, v6, vcc
	s_brev_b32 s0, 1
	v_and_or_b32 v2, v2, s0, v3
.LBB15_583:
	s_mov_b64 s[0:1], 0
.LBB15_584:
	s_andn2_b64 vcc, exec, s[0:1]
	s_cbranch_vccnz .LBB15_586
; %bb.585:
	global_load_ubyte v2, v[0:1], off
	s_movk_i32 s0, 0x7f00
	s_brev_b32 s1, 16
	s_waitcnt vmcnt(0)
	v_lshlrev_b16_e32 v3, 8, v2
	v_lshlrev_b32_e32 v2, 25, v2
	v_lshrrev_b32_e32 v6, 4, v2
	v_and_or_b32 v7, v3, s0, 0.5
	v_or_b32_e32 v6, 0x70000000, v6
	v_add_f32_e32 v7, -0.5, v7
	v_mul_f32_e32 v6, 0x7800000, v6
	v_cmp_gt_u32_e32 vcc, s1, v2
	v_bfe_i32 v3, v3, 0, 16
	v_cndmask_b32_e32 v2, v6, v7, vcc
	s_brev_b32 s0, 1
	v_and_or_b32 v2, v3, s0, v2
.LBB15_586:
	s_mov_b64 s[34:35], 0
	s_mov_b64 s[0:1], -1
.LBB15_587:
	s_andn2_b64 vcc, exec, s[34:35]
	s_cbranch_vccnz .LBB15_600
; %bb.588:
	v_cmp_lt_i16_e32 vcc, 14, v5
	s_cbranch_vccz .LBB15_591
; %bb.589:
	v_cmp_eq_u16_e32 vcc, 15, v5
	s_cbranch_vccz .LBB15_594
; %bb.590:
	global_load_ushort v2, v[0:1], off
	s_mov_b64 s[0:1], -1
	s_mov_b64 s[30:31], 0
	s_waitcnt vmcnt(0)
	v_lshlrev_b32_e32 v2, 16, v2
	s_branch .LBB15_595
.LBB15_591:
	s_mov_b64 s[34:35], -1
                                        ; implicit-def: $vgpr2
	s_branch .LBB15_596
.LBB15_592:
	s_or_saveexec_b64 s[34:35], s[34:35]
	v_mov_b32_e32 v2, s38
	s_xor_b64 exec, exec, s[34:35]
	s_cbranch_execz .LBB15_573
.LBB15_593:
	v_cmp_ne_u16_e32 vcc, 0, v3
	s_andn2_b64 s[0:1], s[0:1], exec
	s_and_b64 s[36:37], vcc, exec
	v_mov_b32_e32 v2, 0
	s_or_b64 s[0:1], s[0:1], s[36:37]
	s_or_b64 exec, exec, s[34:35]
	s_and_saveexec_b64 s[34:35], s[0:1]
	s_cbranch_execnz .LBB15_574
	s_branch .LBB15_575
.LBB15_594:
	s_mov_b64 s[30:31], -1
                                        ; implicit-def: $vgpr2
.LBB15_595:
	s_mov_b64 s[34:35], 0
.LBB15_596:
	s_and_b64 vcc, exec, s[34:35]
	s_cbranch_vccz .LBB15_600
; %bb.597:
	v_cmp_eq_u16_e32 vcc, 11, v5
	s_cbranch_vccz .LBB15_599
; %bb.598:
	global_load_ubyte v2, v[0:1], off
	s_mov_b64 s[0:1], -1
	s_mov_b64 s[30:31], 0
	s_waitcnt vmcnt(0)
	v_cmp_ne_u16_e32 vcc, 0, v2
	v_cndmask_b32_e64 v2, 0, 1.0, vcc
	s_branch .LBB15_600
.LBB15_599:
	s_mov_b64 s[30:31], -1
                                        ; implicit-def: $vgpr2
.LBB15_600:
	s_mov_b64 s[34:35], 0
.LBB15_601:
	s_and_b64 vcc, exec, s[34:35]
	s_cbranch_vccz .LBB15_650
; %bb.602:
	v_cmp_gt_i16_e32 vcc, 5, v5
	s_cbranch_vccnz .LBB15_607
; %bb.603:
	v_cmp_gt_i16_e32 vcc, 8, v5
	s_cbranch_vccnz .LBB15_608
; %bb.604:
	v_cmp_gt_i16_e32 vcc, 9, v5
	s_cbranch_vccnz .LBB15_609
; %bb.605:
	v_cmp_lt_i16_e32 vcc, 9, v5
	s_cbranch_vccz .LBB15_610
; %bb.606:
	global_load_dwordx2 v[2:3], v[0:1], off
	s_mov_b64 s[0:1], 0
	s_waitcnt vmcnt(0)
	v_cvt_f32_f64_e32 v2, v[2:3]
	s_branch .LBB15_611
.LBB15_607:
	s_mov_b64 s[0:1], -1
                                        ; implicit-def: $vgpr2
	s_branch .LBB15_629
.LBB15_608:
	s_mov_b64 s[0:1], -1
                                        ; implicit-def: $vgpr2
	s_branch .LBB15_617
.LBB15_609:
	s_mov_b64 s[0:1], -1
                                        ; implicit-def: $vgpr2
	s_branch .LBB15_614
.LBB15_610:
	s_mov_b64 s[0:1], -1
                                        ; implicit-def: $vgpr2
.LBB15_611:
	s_andn2_b64 vcc, exec, s[0:1]
	s_cbranch_vccnz .LBB15_613
; %bb.612:
	global_load_dword v2, v[0:1], off
.LBB15_613:
	s_mov_b64 s[0:1], 0
.LBB15_614:
	s_andn2_b64 vcc, exec, s[0:1]
	s_cbranch_vccnz .LBB15_616
; %bb.615:
	global_load_dword v2, v[0:1], off
	s_waitcnt vmcnt(0)
	v_cvt_f32_f16_e32 v2, v2
.LBB15_616:
	s_mov_b64 s[0:1], 0
.LBB15_617:
	s_andn2_b64 vcc, exec, s[0:1]
	s_cbranch_vccnz .LBB15_628
; %bb.618:
	v_cmp_gt_i16_e32 vcc, 6, v5
	s_cbranch_vccnz .LBB15_621
; %bb.619:
	v_cmp_lt_i16_e32 vcc, 6, v5
	s_cbranch_vccz .LBB15_622
; %bb.620:
	global_load_dwordx2 v[2:3], v[0:1], off
	s_mov_b64 s[0:1], 0
	s_waitcnt vmcnt(0)
	v_cvt_f32_f64_e32 v2, v[2:3]
	s_branch .LBB15_623
.LBB15_621:
	s_mov_b64 s[0:1], -1
                                        ; implicit-def: $vgpr2
	s_branch .LBB15_626
.LBB15_622:
	s_mov_b64 s[0:1], -1
                                        ; implicit-def: $vgpr2
.LBB15_623:
	s_andn2_b64 vcc, exec, s[0:1]
	s_cbranch_vccnz .LBB15_625
; %bb.624:
	global_load_dword v2, v[0:1], off
.LBB15_625:
	s_mov_b64 s[0:1], 0
.LBB15_626:
	s_andn2_b64 vcc, exec, s[0:1]
	s_cbranch_vccnz .LBB15_628
; %bb.627:
	global_load_ushort v2, v[0:1], off
	s_waitcnt vmcnt(0)
	v_cvt_f32_f16_e32 v2, v2
.LBB15_628:
	s_mov_b64 s[0:1], 0
.LBB15_629:
	s_andn2_b64 vcc, exec, s[0:1]
	s_cbranch_vccnz .LBB15_649
; %bb.630:
	v_cmp_gt_i16_e32 vcc, 2, v5
	s_cbranch_vccnz .LBB15_634
; %bb.631:
	v_cmp_gt_i16_e32 vcc, 3, v5
	s_cbranch_vccnz .LBB15_635
; %bb.632:
	v_cmp_lt_i16_e32 vcc, 3, v5
	s_cbranch_vccz .LBB15_636
; %bb.633:
	global_load_dwordx2 v[2:3], v[0:1], off
	s_mov_b64 s[0:1], 0
	s_waitcnt vmcnt(0)
	v_xor_b32_e32 v7, v2, v3
	v_ffbh_i32_e32 v6, v3
	v_ashrrev_i32_e32 v7, 31, v7
	v_add_u32_e32 v6, -1, v6
	v_add_u32_e32 v7, 32, v7
	v_min_u32_e32 v6, v6, v7
	v_lshlrev_b64 v[2:3], v6, v[2:3]
	v_min_u32_e32 v2, 1, v2
	v_or_b32_e32 v2, v3, v2
	v_cvt_f32_i32_e32 v2, v2
	v_sub_u32_e32 v3, 32, v6
	v_ldexp_f32 v2, v2, v3
	s_branch .LBB15_637
.LBB15_634:
	s_mov_b64 s[0:1], -1
                                        ; implicit-def: $vgpr2
	s_branch .LBB15_643
.LBB15_635:
	s_mov_b64 s[0:1], -1
                                        ; implicit-def: $vgpr2
	s_branch .LBB15_640
.LBB15_636:
	s_mov_b64 s[0:1], -1
                                        ; implicit-def: $vgpr2
.LBB15_637:
	s_andn2_b64 vcc, exec, s[0:1]
	s_cbranch_vccnz .LBB15_639
; %bb.638:
	global_load_dword v2, v[0:1], off
	s_waitcnt vmcnt(0)
	v_cvt_f32_i32_e32 v2, v2
.LBB15_639:
	s_mov_b64 s[0:1], 0
.LBB15_640:
	s_andn2_b64 vcc, exec, s[0:1]
	s_cbranch_vccnz .LBB15_642
; %bb.641:
	global_load_sshort v2, v[0:1], off
	s_waitcnt vmcnt(0)
	v_cvt_f32_i32_e32 v2, v2
.LBB15_642:
	s_mov_b64 s[0:1], 0
.LBB15_643:
	s_andn2_b64 vcc, exec, s[0:1]
	s_cbranch_vccnz .LBB15_649
; %bb.644:
	v_cmp_lt_i16_e32 vcc, 0, v5
	s_cbranch_vccz .LBB15_646
; %bb.645:
	global_load_sbyte v2, v[0:1], off
	s_mov_b64 s[0:1], 0
	s_waitcnt vmcnt(0)
	v_cvt_f32_i32_e32 v2, v2
	s_branch .LBB15_647
.LBB15_646:
	s_mov_b64 s[0:1], -1
                                        ; implicit-def: $vgpr2
.LBB15_647:
	s_andn2_b64 vcc, exec, s[0:1]
	s_cbranch_vccnz .LBB15_649
; %bb.648:
	global_load_ubyte v0, v[0:1], off
	s_waitcnt vmcnt(0)
	v_cvt_f32_ubyte0_e32 v2, v0
.LBB15_649:
	s_mov_b64 s[0:1], -1
.LBB15_650:
	s_andn2_b64 vcc, exec, s[0:1]
	s_cbranch_vccnz .LBB15_660
; %bb.651:
	s_mov_b32 s0, 0x7f800000
	s_waitcnt vmcnt(0)
	v_cmp_nlg_f32_e64 s[34:35], |v2|, s0
	s_and_saveexec_b64 s[0:1], s[34:35]
	s_cbranch_execz .LBB15_653
; %bb.652:
	v_mov_b32_e32 v0, 0
	v_mov_b32_e32 v1, 1.0
	global_store_dword v0, v1, s[12:13]
.LBB15_653:
	s_or_b64 exec, exec, s[0:1]
	v_mov_b32_e32 v0, 0
	global_load_dword v3, v0, s[14:15]
	v_mul_lo_u32 v0, v4, s2
	v_mov_b32_e32 v1, s9
	v_mov_b32_e32 v6, 11
	v_ashrrev_i32_e32 v7, 31, v0
	v_add_co_u32_e32 v0, vcc, s8, v0
	v_cmp_lt_i16_sdwa s[0:1], s33, v6 src0_sel:BYTE_0 src1_sel:DWORD
	v_addc_co_u32_e32 v1, vcc, v1, v7, vcc
	s_and_b64 vcc, exec, s[0:1]
	s_waitcnt vmcnt(0)
	v_mul_f32_e32 v6, v2, v3
	v_cmp_eq_f32_e64 s[0:1], 1.0, v3
	v_cndmask_b32_e64 v2, v6, v2, s[0:1]
	s_cbranch_vccnz .LBB15_661
; %bb.654:
	v_mov_b32_e32 v3, 25
	v_cmp_gt_i16_sdwa s[0:1], s33, v3 src0_sel:BYTE_0 src1_sel:DWORD
	s_and_b64 vcc, exec, s[0:1]
	s_cbranch_vccz .LBB15_662
; %bb.655:
	v_mov_b32_e32 v3, 28
	v_cmp_gt_i16_sdwa s[0:1], s33, v3 src0_sel:BYTE_0 src1_sel:DWORD
	s_and_b64 vcc, exec, s[0:1]
	s_cbranch_vccz .LBB15_663
	;; [unrolled: 5-line block ×4, first 2 shown]
; %bb.658:
	v_mov_b32_e32 v3, 46
	v_cmp_eq_u16_sdwa s[34:35], s33, v3 src0_sel:BYTE_0 src1_sel:DWORD
	s_mov_b64 s[36:37], 0
	s_mov_b64 s[0:1], -1
	s_and_b64 vcc, exec, s[34:35]
	s_mov_b64 s[34:35], 0
	s_cbranch_vccz .LBB15_666
; %bb.659:
	v_bfe_u32 v3, v2, 16, 1
	s_movk_i32 s0, 0x7fff
	v_add3_u32 v3, v2, v3, s0
	v_lshrrev_b32_e32 v3, 16, v3
	v_mov_b32_e32 v6, 0x7fc0
	v_cmp_o_f32_e32 vcc, v2, v2
	v_cndmask_b32_e32 v3, v6, v3, vcc
	global_store_dword v[0:1], v3, off
	s_mov_b64 s[34:35], -1
	s_mov_b64 s[0:1], 0
	s_branch .LBB15_666
.LBB15_660:
	s_mov_b64 s[36:37], 0
                                        ; implicit-def: $vgpr4
	s_mov_b64 s[0:1], s[24:25]
	s_branch .LBB15_777
.LBB15_661:
	s_mov_b64 s[36:37], -1
	s_mov_b64 s[34:35], 0
	s_mov_b64 s[0:1], s[24:25]
	s_branch .LBB15_735
.LBB15_662:
	s_mov_b64 s[36:37], -1
	s_mov_b64 s[34:35], 0
	s_mov_b64 s[0:1], s[24:25]
	s_branch .LBB15_693
.LBB15_663:
	s_mov_b64 s[36:37], -1
	s_mov_b64 s[34:35], 0
	s_mov_b64 s[0:1], s[24:25]
	s_branch .LBB15_676
.LBB15_664:
	s_mov_b64 s[36:37], -1
	s_mov_b64 s[34:35], 0
	s_mov_b64 s[0:1], s[24:25]
	s_branch .LBB15_672
.LBB15_665:
	s_mov_b64 s[36:37], -1
	s_mov_b64 s[34:35], 0
	s_mov_b64 s[0:1], s[24:25]
.LBB15_666:
	s_and_b64 vcc, exec, s[36:37]
	s_cbranch_vccz .LBB15_671
; %bb.667:
	v_mov_b32_e32 v3, 44
	v_cmp_eq_u16_sdwa s[36:37], s33, v3 src0_sel:BYTE_0 src1_sel:DWORD
	s_mov_b64 s[0:1], -1
	s_and_b64 vcc, exec, s[36:37]
	s_cbranch_vccz .LBB15_671
; %bb.668:
	v_bfe_u32 v3, v2, 23, 8
	s_movk_i32 s0, 0xff
	v_cmp_ne_u32_e32 vcc, s0, v3
	v_mov_b32_e32 v6, 0xff
	s_and_saveexec_b64 s[34:35], vcc
; %bb.669:
	s_mov_b32 s0, 0x3fffff
	v_and_b32_e32 v7, 0x400000, v2
	v_and_or_b32 v3, v2, s0, v3
	v_cmp_ne_u32_e32 vcc, 0, v7
	v_cmp_ne_u32_e64 s[0:1], 0, v3
	s_and_b64 s[0:1], vcc, s[0:1]
	v_lshrrev_b32_e32 v6, 23, v2
	v_cndmask_b32_e64 v3, 0, 1, s[0:1]
	v_add_u32_e32 v6, v6, v3
; %bb.670:
	s_or_b64 exec, exec, s[34:35]
	s_mov_b64 s[34:35], -1
	s_mov_b64 s[0:1], 0
	global_store_byte v[0:1], v6, off
.LBB15_671:
	s_mov_b64 s[36:37], 0
.LBB15_672:
	s_and_b64 vcc, exec, s[36:37]
	s_cbranch_vccz .LBB15_675
; %bb.673:
	v_mov_b32_e32 v3, 29
	v_cmp_eq_u16_sdwa s[36:37], s33, v3 src0_sel:BYTE_0 src1_sel:DWORD
	s_mov_b64 s[0:1], -1
	s_and_b64 vcc, exec, s[36:37]
	s_cbranch_vccz .LBB15_675
; %bb.674:
	v_trunc_f32_e32 v3, v2
	v_mul_f32_e32 v6, 0x2f800000, v3
	v_floor_f32_e32 v6, v6
	v_fmac_f32_e32 v3, 0xcf800000, v6
	v_cvt_u32_f32_e32 v7, v6
	v_cvt_u32_f32_e32 v6, v3
	s_mov_b64 s[34:35], -1
	s_mov_b64 s[0:1], 0
	s_mov_b64 s[36:37], 0
	global_store_dwordx2 v[0:1], v[6:7], off
	s_branch .LBB15_676
.LBB15_675:
	s_mov_b64 s[36:37], 0
.LBB15_676:
	s_and_b64 vcc, exec, s[36:37]
	s_cbranch_vccz .LBB15_692
; %bb.677:
	v_mov_b32_e32 v3, 27
	v_cmp_lt_i16_sdwa s[36:37], s33, v3 src0_sel:BYTE_0 src1_sel:DWORD
	s_mov_b64 s[34:35], -1
	s_and_b64 vcc, exec, s[36:37]
	s_cbranch_vccnz .LBB15_683
; %bb.678:
	v_cmp_gt_i16_sdwa s[36:37], s33, v3 src0_sel:BYTE_0 src1_sel:DWORD
	v_cvt_u32_f32_e32 v3, v2
	s_and_b64 vcc, exec, s[36:37]
	s_cbranch_vccz .LBB15_680
; %bb.679:
	s_mov_b64 s[34:35], 0
	global_store_dword v[0:1], v3, off
.LBB15_680:
	s_andn2_b64 vcc, exec, s[34:35]
	s_cbranch_vccnz .LBB15_682
; %bb.681:
	global_store_short v[0:1], v3, off
.LBB15_682:
	s_mov_b64 s[34:35], 0
.LBB15_683:
	s_andn2_b64 vcc, exec, s[34:35]
	s_cbranch_vccnz .LBB15_691
; %bb.684:
	v_and_b32_e32 v3, 0x7fffffff, v2
	s_mov_b32 s34, 0x43800000
	v_cmp_gt_u32_e32 vcc, s34, v3
	v_mov_b32_e32 v6, 0x80
	s_and_saveexec_b64 s[34:35], vcc
	s_cbranch_execz .LBB15_690
; %bb.685:
	s_mov_b32 s36, 0x3bffffff
	v_cmp_lt_u32_e32 vcc, s36, v3
	s_mov_b64 s[36:37], 0
                                        ; implicit-def: $vgpr3
	s_and_saveexec_b64 s[38:39], vcc
	s_xor_b64 s[38:39], exec, s[38:39]
	s_cbranch_execz .LBB15_791
; %bb.686:
	v_bfe_u32 v3, v2, 20, 1
	s_mov_b32 s40, 0x487ffff
	v_add3_u32 v3, v2, v3, s40
	s_mov_b64 s[36:37], exec
	v_lshrrev_b32_e32 v3, 20, v3
	s_or_saveexec_b64 s[38:39], s[38:39]
                                        ; implicit-def: $sgpr40
	s_xor_b64 exec, exec, s[38:39]
	s_cbranch_execnz .LBB15_792
.LBB15_687:
	s_or_b64 exec, exec, s[38:39]
	v_mov_b32_e32 v6, s40
	s_and_saveexec_b64 s[38:39], s[36:37]
.LBB15_688:
	v_lshrrev_b32_e32 v6, 24, v2
	s_movk_i32 s36, 0x80
	v_and_or_b32 v6, v6, s36, v3
.LBB15_689:
	s_or_b64 exec, exec, s[38:39]
.LBB15_690:
	s_or_b64 exec, exec, s[34:35]
	global_store_byte v[0:1], v6, off
.LBB15_691:
	s_mov_b64 s[34:35], -1
.LBB15_692:
	s_mov_b64 s[36:37], 0
.LBB15_693:
	s_and_b64 vcc, exec, s[36:37]
	s_cbranch_vccz .LBB15_734
; %bb.694:
	v_mov_b32_e32 v3, 22
	v_cmp_gt_i16_sdwa s[38:39], s33, v3 src0_sel:BYTE_0 src1_sel:DWORD
	s_mov_b64 s[36:37], -1
	s_and_b64 vcc, exec, s[38:39]
	s_cbranch_vccz .LBB15_726
; %bb.695:
	v_mov_b32_e32 v3, 24
	v_cmp_lt_i16_sdwa s[36:37], s33, v3 src0_sel:BYTE_0 src1_sel:DWORD
	s_mov_b64 s[34:35], -1
	s_and_b64 vcc, exec, s[36:37]
	s_cbranch_vccnz .LBB15_715
; %bb.696:
	v_cmp_gt_i16_sdwa s[36:37], s33, v3 src0_sel:BYTE_0 src1_sel:DWORD
	s_and_b64 vcc, exec, s[36:37]
	s_cbranch_vccz .LBB15_704
; %bb.697:
	v_and_b32_e32 v3, 0x7fffffff, v2
	s_mov_b32 s34, 0x47800000
	v_cmp_gt_u32_e32 vcc, s34, v3
	v_mov_b32_e32 v6, 0x80
	s_and_saveexec_b64 s[34:35], vcc
	s_cbranch_execz .LBB15_703
; %bb.698:
	s_mov_b32 s36, 0x37ffffff
	v_cmp_lt_u32_e32 vcc, s36, v3
	s_mov_b64 s[36:37], 0
                                        ; implicit-def: $vgpr3
	s_and_saveexec_b64 s[38:39], vcc
	s_xor_b64 s[38:39], exec, s[38:39]
	s_cbranch_execz .LBB15_794
; %bb.699:
	v_bfe_u32 v3, v2, 21, 1
	s_mov_b32 s40, 0x88fffff
	v_add3_u32 v3, v2, v3, s40
	s_mov_b64 s[36:37], exec
	v_lshrrev_b32_e32 v3, 21, v3
	s_or_saveexec_b64 s[38:39], s[38:39]
                                        ; implicit-def: $sgpr40
	s_xor_b64 exec, exec, s[38:39]
	s_cbranch_execnz .LBB15_795
.LBB15_700:
	s_or_b64 exec, exec, s[38:39]
	v_mov_b32_e32 v6, s40
	s_and_saveexec_b64 s[38:39], s[36:37]
.LBB15_701:
	v_lshrrev_b32_e32 v6, 24, v2
	s_movk_i32 s36, 0x80
	v_and_or_b32 v6, v6, s36, v3
.LBB15_702:
	s_or_b64 exec, exec, s[38:39]
.LBB15_703:
	s_or_b64 exec, exec, s[34:35]
	s_mov_b64 s[34:35], 0
	global_store_byte v[0:1], v6, off
.LBB15_704:
	s_and_b64 vcc, exec, s[34:35]
	s_cbranch_vccz .LBB15_714
; %bb.705:
	v_and_b32_e32 v6, 0x7fffffff, v2
	s_mov_b32 s34, 0x43f00000
	v_cmp_gt_u32_e32 vcc, s34, v6
                                        ; implicit-def: $vgpr3
	s_and_saveexec_b64 s[34:35], vcc
	s_xor_b64 s[34:35], exec, s[34:35]
	s_cbranch_execz .LBB15_711
; %bb.706:
	s_mov_b32 s36, 0x3c7fffff
	v_cmp_lt_u32_e32 vcc, s36, v6
                                        ; implicit-def: $vgpr3
	s_and_saveexec_b64 s[36:37], vcc
	s_xor_b64 s[36:37], exec, s[36:37]
; %bb.707:
	v_bfe_u32 v3, v2, 20, 1
	s_mov_b32 s38, 0x407ffff
	v_add3_u32 v3, v2, v3, s38
	v_lshrrev_b32_e32 v6, 20, v3
	v_and_b32_e32 v3, 0xff00000, v3
	s_mov_b32 s38, 0x7f00000
	v_mov_b32_e32 v7, 0x7e
	v_cmp_ne_u32_e32 vcc, s38, v3
	v_cndmask_b32_e32 v3, v7, v6, vcc
; %bb.708:
	s_andn2_saveexec_b64 s[36:37], s[36:37]
; %bb.709:
	s_mov_b32 s38, 0x46800000
	v_add_f32_e64 v3, |v2|, s38
; %bb.710:
	s_or_b64 exec, exec, s[36:37]
                                        ; implicit-def: $vgpr6
.LBB15_711:
	s_andn2_saveexec_b64 s[34:35], s[34:35]
; %bb.712:
	s_mov_b32 s36, 0x7f800000
	v_mov_b32_e32 v3, 0x7e
	v_mov_b32_e32 v7, 0x7f
	v_cmp_lt_u32_e32 vcc, s36, v6
	v_cndmask_b32_e32 v3, v3, v7, vcc
; %bb.713:
	s_or_b64 exec, exec, s[34:35]
	v_lshrrev_b32_e32 v6, 24, v2
	s_movk_i32 s34, 0x80
	v_and_or_b32 v3, v6, s34, v3
	global_store_byte v[0:1], v3, off
.LBB15_714:
	s_mov_b64 s[34:35], 0
.LBB15_715:
	s_andn2_b64 vcc, exec, s[34:35]
	s_cbranch_vccnz .LBB15_725
; %bb.716:
	v_and_b32_e32 v6, 0x7fffffff, v2
	s_mov_b32 s34, 0x47800000
	v_cmp_gt_u32_e32 vcc, s34, v6
                                        ; implicit-def: $vgpr3
	s_and_saveexec_b64 s[34:35], vcc
	s_xor_b64 s[34:35], exec, s[34:35]
	s_cbranch_execz .LBB15_722
; %bb.717:
	s_mov_b32 s36, 0x387fffff
	v_cmp_lt_u32_e32 vcc, s36, v6
                                        ; implicit-def: $vgpr3
	s_and_saveexec_b64 s[36:37], vcc
	s_xor_b64 s[36:37], exec, s[36:37]
; %bb.718:
	v_bfe_u32 v3, v2, 21, 1
	s_mov_b32 s38, 0x80fffff
	v_add3_u32 v3, v2, v3, s38
	v_lshrrev_b32_e32 v3, 21, v3
; %bb.719:
	s_andn2_saveexec_b64 s[36:37], s[36:37]
; %bb.720:
	s_mov_b32 s38, 0x43000000
	v_add_f32_e64 v3, |v2|, s38
; %bb.721:
	s_or_b64 exec, exec, s[36:37]
                                        ; implicit-def: $vgpr6
.LBB15_722:
	s_andn2_saveexec_b64 s[34:35], s[34:35]
; %bb.723:
	s_mov_b32 s36, 0x7f800000
	v_mov_b32_e32 v3, 0x7c
	v_mov_b32_e32 v7, 0x7f
	v_cmp_lt_u32_e32 vcc, s36, v6
	v_cndmask_b32_e32 v3, v3, v7, vcc
; %bb.724:
	s_or_b64 exec, exec, s[34:35]
	v_lshrrev_b32_e32 v6, 24, v2
	s_movk_i32 s34, 0x80
	v_and_or_b32 v3, v6, s34, v3
	global_store_byte v[0:1], v3, off
.LBB15_725:
	s_mov_b64 s[36:37], 0
	s_mov_b64 s[34:35], -1
.LBB15_726:
	s_andn2_b64 vcc, exec, s[36:37]
	s_cbranch_vccnz .LBB15_734
; %bb.727:
	v_mov_b32_e32 v3, 14
	v_cmp_gt_i16_sdwa s[38:39], s33, v3 src0_sel:BYTE_0 src1_sel:DWORD
	s_mov_b64 s[36:37], -1
	s_and_b64 vcc, exec, s[38:39]
	s_cbranch_vccz .LBB15_731
; %bb.728:
	v_mov_b32_e32 v3, 15
	v_cmp_eq_u16_sdwa s[36:37], s33, v3 src0_sel:BYTE_0 src1_sel:DWORD
	s_mov_b64 s[0:1], -1
	s_and_b64 vcc, exec, s[36:37]
	s_cbranch_vccz .LBB15_730
; %bb.729:
	v_bfe_u32 v3, v2, 16, 1
	s_movk_i32 s0, 0x7fff
	v_add3_u32 v3, v2, v3, s0
	v_lshrrev_b32_e32 v3, 16, v3
	v_mov_b32_e32 v6, 0x7fc0
	v_cmp_o_f32_e32 vcc, v2, v2
	v_cndmask_b32_e32 v3, v6, v3, vcc
	global_store_short v[0:1], v3, off
	s_mov_b64 s[34:35], -1
	s_mov_b64 s[0:1], 0
.LBB15_730:
	s_mov_b64 s[36:37], 0
.LBB15_731:
	s_and_b64 vcc, exec, s[36:37]
	s_cbranch_vccz .LBB15_734
; %bb.732:
	v_mov_b32_e32 v3, 11
	v_cmp_eq_u16_sdwa s[36:37], s33, v3 src0_sel:BYTE_0 src1_sel:DWORD
	s_mov_b64 s[0:1], -1
	s_and_b64 vcc, exec, s[36:37]
	s_cbranch_vccz .LBB15_734
; %bb.733:
	v_cmp_neq_f32_e32 vcc, 0, v2
	v_cndmask_b32_e64 v3, 0, 1, vcc
	s_mov_b64 s[34:35], -1
	s_mov_b64 s[0:1], 0
	global_store_byte v[0:1], v3, off
.LBB15_734:
	s_mov_b64 s[36:37], 0
.LBB15_735:
	s_and_b64 vcc, exec, s[36:37]
	s_cbranch_vccz .LBB15_774
; %bb.736:
	v_mov_b32_e32 v3, 5
	v_cmp_lt_i16_sdwa s[36:37], s33, v3 src0_sel:BYTE_0 src1_sel:DWORD
	s_mov_b64 s[34:35], -1
	s_and_b64 vcc, exec, s[36:37]
	s_cbranch_vccnz .LBB15_757
; %bb.737:
	v_mov_b32_e32 v3, 8
	v_cmp_lt_i16_sdwa s[36:37], s33, v3 src0_sel:BYTE_0 src1_sel:DWORD
	s_and_b64 vcc, exec, s[36:37]
	s_cbranch_vccnz .LBB15_747
; %bb.738:
	v_mov_b32_e32 v3, 9
	v_cmp_lt_i16_sdwa s[36:37], s33, v3 src0_sel:BYTE_0 src1_sel:DWORD
	s_and_b64 vcc, exec, s[36:37]
	s_cbranch_vccnz .LBB15_744
; %bb.739:
	v_cmp_gt_i16_sdwa s[36:37], s33, v3 src0_sel:BYTE_0 src1_sel:DWORD
	s_and_b64 vcc, exec, s[36:37]
	s_cbranch_vccz .LBB15_741
; %bb.740:
	v_mov_b32_e32 v8, 0
	v_cvt_f64_f32_e32 v[6:7], v2
	v_mov_b32_e32 v9, v8
	s_mov_b64 s[34:35], 0
	global_store_dwordx4 v[0:1], v[6:9], off
.LBB15_741:
	s_andn2_b64 vcc, exec, s[34:35]
	s_cbranch_vccnz .LBB15_743
; %bb.742:
	v_mov_b32_e32 v3, 0
	global_store_dwordx2 v[0:1], v[2:3], off
.LBB15_743:
	s_mov_b64 s[34:35], 0
.LBB15_744:
	s_andn2_b64 vcc, exec, s[34:35]
	s_cbranch_vccnz .LBB15_746
; %bb.745:
	v_cvt_f16_f32_e32 v3, v2
	global_store_dword v[0:1], v3, off
.LBB15_746:
	s_mov_b64 s[34:35], 0
.LBB15_747:
	s_andn2_b64 vcc, exec, s[34:35]
	s_cbranch_vccnz .LBB15_756
; %bb.748:
	v_mov_b32_e32 v3, 6
	v_cmp_lt_i16_sdwa s[36:37], s33, v3 src0_sel:BYTE_0 src1_sel:DWORD
	s_mov_b64 s[34:35], -1
	s_and_b64 vcc, exec, s[36:37]
	s_cbranch_vccnz .LBB15_754
; %bb.749:
	v_cmp_gt_i16_sdwa s[36:37], s33, v3 src0_sel:BYTE_0 src1_sel:DWORD
	s_and_b64 vcc, exec, s[36:37]
	s_cbranch_vccz .LBB15_751
; %bb.750:
	v_cvt_f64_f32_e32 v[6:7], v2
	s_mov_b64 s[34:35], 0
	global_store_dwordx2 v[0:1], v[6:7], off
.LBB15_751:
	s_andn2_b64 vcc, exec, s[34:35]
	s_cbranch_vccnz .LBB15_753
; %bb.752:
	global_store_dword v[0:1], v2, off
.LBB15_753:
	s_mov_b64 s[34:35], 0
.LBB15_754:
	s_andn2_b64 vcc, exec, s[34:35]
	s_cbranch_vccnz .LBB15_756
; %bb.755:
	v_cvt_f16_f32_e32 v3, v2
	global_store_short v[0:1], v3, off
.LBB15_756:
	s_mov_b64 s[34:35], 0
.LBB15_757:
	s_andn2_b64 vcc, exec, s[34:35]
	s_cbranch_vccnz .LBB15_773
; %bb.758:
	v_mov_b32_e32 v3, 2
	v_cmp_lt_i16_sdwa s[36:37], s33, v3 src0_sel:BYTE_0 src1_sel:DWORD
	s_mov_b64 s[34:35], -1
	s_and_b64 vcc, exec, s[36:37]
	s_cbranch_vccnz .LBB15_768
; %bb.759:
	v_mov_b32_e32 v3, 3
	v_cmp_lt_i16_sdwa s[36:37], s33, v3 src0_sel:BYTE_0 src1_sel:DWORD
	s_and_b64 vcc, exec, s[36:37]
	s_cbranch_vccnz .LBB15_765
; %bb.760:
	v_cmp_gt_i16_sdwa s[36:37], s33, v3 src0_sel:BYTE_0 src1_sel:DWORD
	s_and_b64 vcc, exec, s[36:37]
	s_cbranch_vccz .LBB15_762
; %bb.761:
	v_trunc_f32_e32 v3, v2
	s_mov_b32 s34, 0x2f800000
	v_mul_f32_e64 v6, |v3|, s34
	v_floor_f32_e32 v6, v6
	s_mov_b32 s34, 0xcf800000
	v_cvt_u32_f32_e32 v7, v6
	v_fma_f32 v6, v6, s34, |v3|
	v_cvt_u32_f32_e32 v6, v6
	v_ashrrev_i32_e32 v3, 31, v3
	v_xor_b32_e32 v7, v7, v3
	s_mov_b64 s[34:35], 0
	v_xor_b32_e32 v6, v6, v3
	v_sub_co_u32_e32 v6, vcc, v6, v3
	v_subb_co_u32_e32 v7, vcc, v7, v3, vcc
	global_store_dwordx2 v[0:1], v[6:7], off
.LBB15_762:
	s_andn2_b64 vcc, exec, s[34:35]
	s_cbranch_vccnz .LBB15_764
; %bb.763:
	v_cvt_i32_f32_e32 v3, v2
	global_store_dword v[0:1], v3, off
.LBB15_764:
	s_mov_b64 s[34:35], 0
.LBB15_765:
	s_andn2_b64 vcc, exec, s[34:35]
	s_cbranch_vccnz .LBB15_767
; %bb.766:
	v_cvt_i32_f32_e32 v3, v2
	global_store_short v[0:1], v3, off
.LBB15_767:
	s_mov_b64 s[34:35], 0
.LBB15_768:
	s_andn2_b64 vcc, exec, s[34:35]
	s_cbranch_vccnz .LBB15_773
; %bb.769:
	v_mov_b32_e32 v3, 0
	v_cmp_gt_i16_sdwa s[36:37], s33, v3 src0_sel:BYTE_0 src1_sel:DWORD
	s_mov_b64 s[34:35], -1
	s_and_b64 vcc, exec, s[36:37]
	s_cbranch_vccz .LBB15_771
; %bb.770:
	v_cvt_i32_f32_e32 v3, v2
	s_mov_b64 s[34:35], 0
	global_store_byte v[0:1], v3, off
.LBB15_771:
	s_andn2_b64 vcc, exec, s[34:35]
	s_cbranch_vccnz .LBB15_773
; %bb.772:
	v_trunc_f32_e32 v2, v2
	s_mov_b32 s34, 0x2f800000
	v_mul_f32_e64 v3, |v2|, s34
	v_floor_f32_e32 v3, v3
	s_mov_b32 s34, 0xcf800000
	v_fma_f32 v3, v3, s34, |v2|
	v_cvt_u32_f32_e32 v3, v3
	v_ashrrev_i32_e32 v2, 31, v2
	v_xor_b32_e32 v3, v3, v2
	v_sub_u32_e32 v2, v3, v2
	global_store_byte v[0:1], v2, off
.LBB15_773:
	s_mov_b64 s[34:35], -1
.LBB15_774:
	s_andn2_b64 vcc, exec, s[34:35]
	s_cbranch_vccnz .LBB15_776
; %bb.775:
	v_add_u32_e32 v4, 0x80, v4
	s_mov_b64 s[36:37], -1
	s_branch .LBB15_777
.LBB15_776:
	s_mov_b64 s[36:37], 0
                                        ; implicit-def: $vgpr4
.LBB15_777:
	s_andn2_b64 s[34:35], s[24:25], exec
	s_and_b64 s[0:1], s[0:1], exec
	s_or_b64 s[34:35], s[34:35], s[0:1]
	s_andn2_b64 s[0:1], s[22:23], exec
	s_and_b64 s[30:31], s[30:31], exec
	s_or_b64 s[0:1], s[0:1], s[30:31]
	s_orn2_b64 s[38:39], s[36:37], exec
.LBB15_778:
	s_or_b64 exec, exec, s[28:29]
	s_mov_b64 s[36:37], 0
	s_mov_b64 s[30:31], 0
	;; [unrolled: 1-line block ×3, first 2 shown]
                                        ; implicit-def: $vgpr0_vgpr1
                                        ; implicit-def: $vgpr3
	s_and_saveexec_b64 s[28:29], s[38:39]
	s_cbranch_execz .LBB15_863
; %bb.779:
	v_cmp_gt_i32_e32 vcc, s42, v4
	s_mov_b64 s[38:39], 0
	s_mov_b64 s[42:43], s[0:1]
	;; [unrolled: 1-line block ×3, first 2 shown]
                                        ; implicit-def: $vgpr0_vgpr1
                                        ; implicit-def: $vgpr3
	s_and_saveexec_b64 s[30:31], vcc
	s_cbranch_execz .LBB15_862
; %bb.780:
	v_mul_lo_u32 v0, v4, s3
	v_ashrrev_i32_e32 v1, 31, v0
	s_waitcnt vmcnt(0)
	v_mov_b32_e32 v2, s11
	v_add_co_u32_e32 v0, vcc, s10, v0
	v_addc_co_u32_e32 v1, vcc, v2, v1, vcc
	v_cmp_gt_i16_e32 vcc, 11, v5
	s_cbranch_vccnz .LBB15_787
; %bb.781:
	v_cmp_lt_i16_e32 vcc, 25, v5
	s_cbranch_vccz .LBB15_788
; %bb.782:
	v_cmp_lt_i16_e32 vcc, 28, v5
	s_cbranch_vccz .LBB15_789
	;; [unrolled: 3-line block ×4, first 2 shown]
; %bb.785:
	v_cmp_eq_u16_e32 vcc, 46, v5
	s_mov_b64 s[42:43], 0
	s_cbranch_vccz .LBB15_796
; %bb.786:
	global_load_dword v2, v[0:1], off
	s_mov_b64 s[40:41], -1
	s_waitcnt vmcnt(0)
	v_lshlrev_b32_e32 v3, 16, v2
	s_branch .LBB15_798
.LBB15_787:
	s_mov_b64 s[42:43], -1
                                        ; implicit-def: $vgpr3
	s_mov_b64 s[36:37], s[0:1]
	s_branch .LBB15_861
.LBB15_788:
	s_mov_b64 s[42:43], -1
	s_mov_b64 s[36:37], s[0:1]
                                        ; implicit-def: $vgpr3
	s_branch .LBB15_827
.LBB15_789:
	s_mov_b64 s[42:43], -1
	s_mov_b64 s[36:37], s[0:1]
                                        ; implicit-def: $vgpr3
	s_branch .LBB15_808
.LBB15_790:
	s_mov_b64 s[42:43], -1
	s_mov_b64 s[36:37], s[0:1]
                                        ; implicit-def: $vgpr3
	s_branch .LBB15_803
.LBB15_791:
	s_or_saveexec_b64 s[38:39], s[38:39]
                                        ; implicit-def: $sgpr40
	s_xor_b64 exec, exec, s[38:39]
	s_cbranch_execz .LBB15_687
.LBB15_792:
	s_mov_b32 s40, 0x46000000
	v_add_f32_e64 v3, |v2|, s40
	v_and_b32_e32 v3, 0xff, v3
	v_cmp_ne_u32_e32 vcc, 0, v3
	s_andn2_b64 s[36:37], s[36:37], exec
	s_and_b64 s[44:45], vcc, exec
	s_mov_b32 s40, 0
	s_or_b64 s[36:37], s[36:37], s[44:45]
	s_or_b64 exec, exec, s[38:39]
	v_mov_b32_e32 v6, s40
	s_and_saveexec_b64 s[38:39], s[36:37]
	s_cbranch_execnz .LBB15_688
	s_branch .LBB15_689
.LBB15_793:
	s_mov_b64 s[42:43], -1
	s_mov_b64 s[36:37], s[0:1]
	s_branch .LBB15_797
.LBB15_794:
	s_or_saveexec_b64 s[38:39], s[38:39]
                                        ; implicit-def: $sgpr40
	s_xor_b64 exec, exec, s[38:39]
	s_cbranch_execz .LBB15_700
.LBB15_795:
	s_mov_b32 s40, 0x42800000
	v_add_f32_e64 v3, |v2|, s40
	v_and_b32_e32 v3, 0xff, v3
	v_cmp_ne_u32_e32 vcc, 0, v3
	s_andn2_b64 s[36:37], s[36:37], exec
	s_and_b64 s[44:45], vcc, exec
	s_mov_b32 s40, 0
	s_or_b64 s[36:37], s[36:37], s[44:45]
	s_or_b64 exec, exec, s[38:39]
	v_mov_b32_e32 v6, s40
	s_and_saveexec_b64 s[38:39], s[36:37]
	s_cbranch_execnz .LBB15_701
	s_branch .LBB15_702
.LBB15_796:
	s_mov_b64 s[36:37], -1
.LBB15_797:
                                        ; implicit-def: $vgpr3
.LBB15_798:
	s_and_b64 vcc, exec, s[42:43]
	s_cbranch_vccz .LBB15_802
; %bb.799:
	v_cmp_eq_u16_e32 vcc, 44, v5
	s_cbranch_vccz .LBB15_801
; %bb.800:
	global_load_ubyte v2, v[0:1], off
	s_movk_i32 s40, 0xff
	v_mov_b32_e32 v3, 0x7f800001
	v_mov_b32_e32 v6, 0x400000
	s_mov_b64 s[36:37], 0
	s_waitcnt vmcnt(0)
	v_lshlrev_b32_e32 v7, 23, v2
	v_cmp_ne_u32_e32 vcc, s40, v2
	v_cndmask_b32_e32 v3, v3, v7, vcc
	v_cmp_ne_u32_e32 vcc, 0, v2
	v_cndmask_b32_e32 v3, v6, v3, vcc
	s_mov_b64 s[40:41], -1
	s_branch .LBB15_802
.LBB15_801:
	s_mov_b64 s[36:37], -1
                                        ; implicit-def: $vgpr3
.LBB15_802:
	s_mov_b64 s[42:43], 0
.LBB15_803:
	s_and_b64 vcc, exec, s[42:43]
	s_cbranch_vccz .LBB15_807
; %bb.804:
	v_cmp_eq_u16_e32 vcc, 29, v5
	s_cbranch_vccz .LBB15_806
; %bb.805:
	global_load_dwordx2 v[2:3], v[0:1], off
	s_mov_b64 s[36:37], 0
	s_mov_b64 s[40:41], -1
	s_mov_b64 s[42:43], 0
	s_waitcnt vmcnt(0)
	v_ffbh_u32_e32 v6, v3
	v_min_u32_e32 v6, 32, v6
	v_lshlrev_b64 v[2:3], v6, v[2:3]
	v_min_u32_e32 v2, 1, v2
	v_or_b32_e32 v2, v3, v2
	v_cvt_f32_u32_e32 v2, v2
	v_sub_u32_e32 v3, 32, v6
	v_ldexp_f32 v3, v2, v3
	s_branch .LBB15_808
.LBB15_806:
	s_mov_b64 s[36:37], -1
                                        ; implicit-def: $vgpr3
.LBB15_807:
	s_mov_b64 s[42:43], 0
.LBB15_808:
	s_and_b64 vcc, exec, s[42:43]
	s_cbranch_vccz .LBB15_826
; %bb.809:
	v_cmp_gt_i16_e32 vcc, 27, v5
	s_cbranch_vccnz .LBB15_812
; %bb.810:
	v_cmp_lt_i16_e32 vcc, 27, v5
	s_cbranch_vccz .LBB15_813
; %bb.811:
	global_load_dword v2, v[0:1], off
	s_mov_b64 s[40:41], 0
	s_waitcnt vmcnt(0)
	v_cvt_f32_u32_e32 v3, v2
	s_branch .LBB15_814
.LBB15_812:
	s_mov_b64 s[40:41], -1
                                        ; implicit-def: $vgpr3
	s_branch .LBB15_817
.LBB15_813:
	s_mov_b64 s[40:41], -1
                                        ; implicit-def: $vgpr3
.LBB15_814:
	s_andn2_b64 vcc, exec, s[40:41]
	s_cbranch_vccnz .LBB15_816
; %bb.815:
	global_load_ushort v2, v[0:1], off
	s_waitcnt vmcnt(0)
	v_cvt_f32_u32_e32 v3, v2
.LBB15_816:
	s_mov_b64 s[40:41], 0
.LBB15_817:
	s_andn2_b64 vcc, exec, s[40:41]
	s_cbranch_vccnz .LBB15_825
; %bb.818:
	global_load_ubyte v2, v[0:1], off
	s_movk_i32 s40, 0x7f
                                        ; implicit-def: $sgpr46
	s_waitcnt vmcnt(0)
	v_cmp_lt_i16_e32 vcc, s40, v2
	s_mov_b64 s[40:41], 0
	s_and_saveexec_b64 s[42:43], vcc
	s_xor_b64 s[42:43], exec, s[42:43]
	s_cbranch_execz .LBB15_839
; %bb.819:
	s_movk_i32 s40, 0x80
	v_cmp_eq_u16_e32 vcc, s40, v2
	s_mov_b64 s[40:41], -1
                                        ; implicit-def: $sgpr46
	s_and_saveexec_b64 s[44:45], vcc
; %bb.820:
	s_mov_b32 s46, 0x7f800001
	s_xor_b64 s[40:41], exec, -1
; %bb.821:
	s_or_b64 exec, exec, s[44:45]
	s_and_b64 s[40:41], s[40:41], exec
	s_or_saveexec_b64 s[42:43], s[42:43]
	v_mov_b32_e32 v3, s46
	s_xor_b64 exec, exec, s[42:43]
	s_cbranch_execnz .LBB15_840
.LBB15_822:
	s_or_b64 exec, exec, s[42:43]
	s_and_saveexec_b64 s[42:43], s[40:41]
	s_cbranch_execz .LBB15_824
.LBB15_823:
	v_lshlrev_b32_e32 v3, 24, v2
	v_and_b32_e32 v2, 0xffff, v2
	v_and_b32_e32 v6, 7, v2
	v_ffbh_u32_e32 v8, v6
	v_min_u32_e32 v8, 32, v8
	v_subrev_u32_e32 v9, 28, v8
	v_bfe_u32 v7, v2, 3, 4
	v_lshlrev_b32_e32 v2, v9, v2
	v_sub_u32_e32 v8, 29, v8
	v_and_b32_e32 v2, 7, v2
	v_cmp_eq_u32_e32 vcc, 0, v7
	v_cndmask_b32_e32 v7, v7, v8, vcc
	v_cndmask_b32_e32 v2, v6, v2, vcc
	v_mov_b32_e32 v6, 0x3b800000
	v_lshlrev_b32_e32 v2, 20, v2
	v_and_b32_e32 v3, 0x80000000, v3
	v_lshl_add_u32 v6, v7, 23, v6
	v_or3_b32 v3, v3, v6, v2
.LBB15_824:
	s_or_b64 exec, exec, s[42:43]
.LBB15_825:
	s_mov_b64 s[40:41], -1
.LBB15_826:
	s_mov_b64 s[42:43], 0
.LBB15_827:
	s_and_b64 vcc, exec, s[42:43]
	s_cbranch_vccz .LBB15_860
; %bb.828:
	v_cmp_lt_i16_e32 vcc, 22, v5
	s_cbranch_vccz .LBB15_838
; %bb.829:
	v_cmp_gt_i16_e32 vcc, 24, v5
	s_cbranch_vccnz .LBB15_841
; %bb.830:
	v_cmp_lt_i16_e32 vcc, 24, v5
	s_cbranch_vccz .LBB15_842
; %bb.831:
	global_load_ubyte v2, v[0:1], off
	s_movk_i32 s38, 0x7f
                                        ; implicit-def: $sgpr44
	s_waitcnt vmcnt(0)
	v_cmp_lt_i16_e32 vcc, s38, v2
	s_mov_b64 s[38:39], 0
	s_and_saveexec_b64 s[40:41], vcc
	s_xor_b64 s[40:41], exec, s[40:41]
	s_cbranch_execz .LBB15_854
; %bb.832:
	s_movk_i32 s38, 0x80
	v_cmp_eq_u16_e32 vcc, s38, v2
	s_mov_b64 s[38:39], -1
                                        ; implicit-def: $sgpr44
	s_and_saveexec_b64 s[42:43], vcc
; %bb.833:
	s_mov_b32 s44, 0x7f800001
	s_xor_b64 s[38:39], exec, -1
; %bb.834:
	s_or_b64 exec, exec, s[42:43]
	s_and_b64 s[38:39], s[38:39], exec
	s_or_saveexec_b64 s[40:41], s[40:41]
	v_mov_b32_e32 v3, s44
	s_xor_b64 exec, exec, s[40:41]
	s_cbranch_execnz .LBB15_855
.LBB15_835:
	s_or_b64 exec, exec, s[40:41]
	s_and_saveexec_b64 s[40:41], s[38:39]
	s_cbranch_execz .LBB15_837
.LBB15_836:
	v_lshlrev_b32_e32 v3, 24, v2
	v_and_b32_e32 v2, 0xffff, v2
	v_and_b32_e32 v6, 3, v2
	v_ffbh_u32_e32 v8, v6
	v_min_u32_e32 v8, 32, v8
	v_subrev_u32_e32 v9, 29, v8
	v_bfe_u32 v7, v2, 2, 5
	v_lshlrev_b32_e32 v2, v9, v2
	v_sub_u32_e32 v8, 30, v8
	v_and_b32_e32 v2, 3, v2
	v_cmp_eq_u32_e32 vcc, 0, v7
	v_cndmask_b32_e32 v7, v7, v8, vcc
	v_cndmask_b32_e32 v2, v6, v2, vcc
	v_mov_b32_e32 v6, 0x37800000
	v_lshlrev_b32_e32 v2, 21, v2
	v_and_b32_e32 v3, 0x80000000, v3
	v_lshl_add_u32 v6, v7, 23, v6
	v_or3_b32 v3, v3, v6, v2
.LBB15_837:
	s_or_b64 exec, exec, s[40:41]
	s_mov_b64 s[38:39], 0
	s_branch .LBB15_843
.LBB15_838:
	s_mov_b64 s[38:39], -1
                                        ; implicit-def: $vgpr3
	s_branch .LBB15_849
.LBB15_839:
	s_or_saveexec_b64 s[42:43], s[42:43]
	v_mov_b32_e32 v3, s46
	s_xor_b64 exec, exec, s[42:43]
	s_cbranch_execz .LBB15_822
.LBB15_840:
	v_cmp_ne_u16_e32 vcc, 0, v2
	s_andn2_b64 s[40:41], s[40:41], exec
	s_and_b64 s[44:45], vcc, exec
	v_mov_b32_e32 v3, 0
	s_or_b64 s[40:41], s[40:41], s[44:45]
	s_or_b64 exec, exec, s[42:43]
	s_and_saveexec_b64 s[42:43], s[40:41]
	s_cbranch_execnz .LBB15_823
	s_branch .LBB15_824
.LBB15_841:
	s_mov_b64 s[38:39], -1
                                        ; implicit-def: $vgpr3
	s_branch .LBB15_846
.LBB15_842:
	s_mov_b64 s[38:39], -1
                                        ; implicit-def: $vgpr3
.LBB15_843:
	s_and_b64 vcc, exec, s[38:39]
	s_cbranch_vccz .LBB15_845
; %bb.844:
	global_load_ubyte v2, v[0:1], off
	s_mov_b32 s38, 0x7f800000
	s_waitcnt vmcnt(0)
	v_lshlrev_b32_e32 v2, 24, v2
	v_and_b32_e32 v3, 0x7f000000, v2
	v_ffbh_u32_e32 v6, v3
	v_min_u32_e32 v6, 32, v6
	v_sub_u32_e64 v6, v6, 4 clamp
	v_lshlrev_b32_e32 v8, v6, v3
	v_lshlrev_b32_e32 v6, 23, v6
	v_lshrrev_b32_e32 v8, 4, v8
	v_add_u32_e32 v7, 0x1000000, v3
	v_sub_u32_e32 v6, v8, v6
	v_ashrrev_i32_e32 v7, 8, v7
	v_add_u32_e32 v6, 0x3c000000, v6
	v_and_or_b32 v6, v7, s38, v6
	v_cmp_ne_u32_e32 vcc, 0, v3
	v_cndmask_b32_e32 v3, 0, v6, vcc
	s_brev_b32 s38, 1
	v_and_or_b32 v3, v2, s38, v3
.LBB15_845:
	s_mov_b64 s[38:39], 0
.LBB15_846:
	s_andn2_b64 vcc, exec, s[38:39]
	s_cbranch_vccnz .LBB15_848
; %bb.847:
	global_load_ubyte v2, v[0:1], off
	s_movk_i32 s38, 0x7f00
	s_brev_b32 s39, 16
	s_waitcnt vmcnt(0)
	v_lshlrev_b16_e32 v3, 8, v2
	v_lshlrev_b32_e32 v2, 25, v2
	v_lshrrev_b32_e32 v6, 4, v2
	v_and_or_b32 v7, v3, s38, 0.5
	v_or_b32_e32 v6, 0x70000000, v6
	v_add_f32_e32 v7, -0.5, v7
	v_mul_f32_e32 v6, 0x7800000, v6
	v_cmp_gt_u32_e32 vcc, s39, v2
	v_bfe_i32 v3, v3, 0, 16
	v_cndmask_b32_e32 v2, v6, v7, vcc
	s_brev_b32 s38, 1
	v_and_or_b32 v3, v3, s38, v2
.LBB15_848:
	s_mov_b64 s[38:39], 0
	s_mov_b64 s[40:41], -1
.LBB15_849:
	s_andn2_b64 vcc, exec, s[38:39]
	s_mov_b64 s[38:39], 0
	s_cbranch_vccnz .LBB15_860
; %bb.850:
	v_cmp_lt_i16_e32 vcc, 14, v5
	s_cbranch_vccz .LBB15_853
; %bb.851:
	v_cmp_eq_u16_e32 vcc, 15, v5
	s_cbranch_vccz .LBB15_856
; %bb.852:
	global_load_ushort v2, v[0:1], off
	s_mov_b64 s[36:37], 0
	s_mov_b64 s[40:41], -1
	s_waitcnt vmcnt(0)
	v_lshlrev_b32_e32 v3, 16, v2
	s_branch .LBB15_857
.LBB15_853:
	s_mov_b64 s[42:43], -1
                                        ; implicit-def: $vgpr3
	s_branch .LBB15_858
.LBB15_854:
	s_or_saveexec_b64 s[40:41], s[40:41]
	v_mov_b32_e32 v3, s44
	s_xor_b64 exec, exec, s[40:41]
	s_cbranch_execz .LBB15_835
.LBB15_855:
	v_cmp_ne_u16_e32 vcc, 0, v2
	s_andn2_b64 s[38:39], s[38:39], exec
	s_and_b64 s[42:43], vcc, exec
	v_mov_b32_e32 v3, 0
	s_or_b64 s[38:39], s[38:39], s[42:43]
	s_or_b64 exec, exec, s[40:41]
	s_and_saveexec_b64 s[40:41], s[38:39]
	s_cbranch_execnz .LBB15_836
	s_branch .LBB15_837
.LBB15_856:
	s_mov_b64 s[36:37], -1
                                        ; implicit-def: $vgpr3
.LBB15_857:
	s_mov_b64 s[42:43], 0
.LBB15_858:
	s_and_b64 vcc, exec, s[42:43]
	s_cbranch_vccz .LBB15_860
; %bb.859:
	v_cmp_ne_u16_e32 vcc, 11, v5
	s_andn2_b64 s[36:37], s[36:37], exec
	s_and_b64 s[42:43], vcc, exec
	s_mov_b64 s[38:39], -1
	s_or_b64 s[36:37], s[36:37], s[42:43]
                                        ; implicit-def: $vgpr3
.LBB15_860:
	s_mov_b64 s[42:43], 0
.LBB15_861:
	s_and_b64 s[44:45], s[42:43], exec
	s_andn2_b64 s[42:43], s[0:1], exec
	s_and_b64 s[36:37], s[36:37], exec
	s_and_b64 s[40:41], s[40:41], exec
	s_and_b64 s[38:39], s[38:39], exec
	s_or_b64 s[42:43], s[42:43], s[36:37]
.LBB15_862:
	s_or_b64 exec, exec, s[30:31]
	s_and_b64 s[36:37], s[38:39], exec
	s_andn2_b64 s[0:1], s[0:1], exec
	s_and_b64 s[38:39], s[42:43], exec
	s_and_b64 s[40:41], s[40:41], exec
	;; [unrolled: 1-line block ×3, first 2 shown]
	s_or_b64 s[0:1], s[0:1], s[38:39]
.LBB15_863:
	s_or_b64 exec, exec, s[28:29]
	s_andn2_b64 s[24:25], s[24:25], exec
	s_and_b64 s[28:29], s[34:35], exec
	s_andn2_b64 s[22:23], s[22:23], exec
	s_and_b64 s[0:1], s[0:1], exec
	s_or_b64 s[24:25], s[24:25], s[28:29]
	s_and_b64 s[34:35], s[40:41], exec
	s_and_b64 s[30:31], s[30:31], exec
	;; [unrolled: 1-line block ×3, first 2 shown]
	s_or_b64 s[22:23], s[22:23], s[0:1]
.LBB15_864:
	s_or_b64 exec, exec, s[26:27]
	s_andn2_b64 s[0:1], s[16:17], exec
	s_and_b64 s[16:17], s[24:25], exec
	s_andn2_b64 s[18:19], s[18:19], exec
	s_and_b64 s[22:23], s[22:23], exec
	s_or_b64 s[16:17], s[0:1], s[16:17]
	s_and_b64 s[0:1], s[34:35], exec
	s_and_b64 s[26:27], s[30:31], exec
	;; [unrolled: 1-line block ×3, first 2 shown]
	s_or_b64 s[18:19], s[18:19], s[22:23]
	s_or_b64 exec, exec, s[20:21]
	s_mov_b64 s[20:21], 0
	s_and_saveexec_b64 s[22:23], s[18:19]
	s_cbranch_execz .LBB15_264
.LBB15_865:
	s_mov_b64 s[20:21], exec
	s_andn2_b64 s[24:25], s[24:25], exec
	s_trap 2
                                        ; implicit-def: $vgpr3
	s_or_b64 exec, exec, s[22:23]
	s_and_saveexec_b64 s[18:19], s[24:25]
	s_xor_b64 s[18:19], exec, s[18:19]
	s_cbranch_execnz .LBB15_265
.LBB15_866:
	s_or_b64 exec, exec, s[18:19]
	s_and_saveexec_b64 s[18:19], s[26:27]
	s_cbranch_execz .LBB15_912
.LBB15_867:
	v_cmp_gt_i16_e32 vcc, 5, v5
	s_cbranch_vccnz .LBB15_872
; %bb.868:
	v_cmp_gt_i16_e32 vcc, 8, v5
	s_cbranch_vccnz .LBB15_873
; %bb.869:
	;; [unrolled: 3-line block ×3, first 2 shown]
	v_cmp_lt_i16_e32 vcc, 9, v5
	s_cbranch_vccz .LBB15_875
; %bb.871:
	global_load_dwordx2 v[2:3], v[0:1], off
	s_mov_b64 s[22:23], 0
	s_waitcnt vmcnt(0)
	v_cvt_f32_f64_e32 v3, v[2:3]
	s_branch .LBB15_876
.LBB15_872:
                                        ; implicit-def: $vgpr3
	s_branch .LBB15_893
.LBB15_873:
                                        ; implicit-def: $vgpr3
	s_branch .LBB15_882
.LBB15_874:
	s_mov_b64 s[22:23], -1
                                        ; implicit-def: $vgpr3
	s_branch .LBB15_879
.LBB15_875:
	s_mov_b64 s[22:23], -1
                                        ; implicit-def: $vgpr3
.LBB15_876:
	s_andn2_b64 vcc, exec, s[22:23]
	s_cbranch_vccnz .LBB15_878
; %bb.877:
	global_load_dword v3, v[0:1], off
.LBB15_878:
	s_mov_b64 s[22:23], 0
.LBB15_879:
	s_andn2_b64 vcc, exec, s[22:23]
	s_cbranch_vccnz .LBB15_881
; %bb.880:
	global_load_dword v2, v[0:1], off
	s_waitcnt vmcnt(0)
	v_cvt_f32_f16_e32 v3, v2
.LBB15_881:
	s_cbranch_execnz .LBB15_892
.LBB15_882:
	v_cmp_gt_i16_e32 vcc, 6, v5
	s_cbranch_vccnz .LBB15_885
; %bb.883:
	v_cmp_lt_i16_e32 vcc, 6, v5
	s_cbranch_vccz .LBB15_886
; %bb.884:
	global_load_dwordx2 v[2:3], v[0:1], off
	s_mov_b64 s[22:23], 0
	s_waitcnt vmcnt(0)
	v_cvt_f32_f64_e32 v3, v[2:3]
	s_branch .LBB15_887
.LBB15_885:
	s_mov_b64 s[22:23], -1
                                        ; implicit-def: $vgpr3
	s_branch .LBB15_890
.LBB15_886:
	s_mov_b64 s[22:23], -1
                                        ; implicit-def: $vgpr3
.LBB15_887:
	s_andn2_b64 vcc, exec, s[22:23]
	s_cbranch_vccnz .LBB15_889
; %bb.888:
	global_load_dword v3, v[0:1], off
.LBB15_889:
	s_mov_b64 s[22:23], 0
.LBB15_890:
	s_andn2_b64 vcc, exec, s[22:23]
	s_cbranch_vccnz .LBB15_892
; %bb.891:
	global_load_ushort v2, v[0:1], off
	s_waitcnt vmcnt(0)
	v_cvt_f32_f16_e32 v3, v2
.LBB15_892:
	s_cbranch_execnz .LBB15_911
.LBB15_893:
	v_cmp_gt_i16_e32 vcc, 2, v5
	s_cbranch_vccnz .LBB15_897
; %bb.894:
	v_cmp_gt_i16_e32 vcc, 3, v5
	s_cbranch_vccnz .LBB15_898
; %bb.895:
	v_cmp_lt_i16_e32 vcc, 3, v5
	s_cbranch_vccz .LBB15_899
; %bb.896:
	global_load_dwordx2 v[2:3], v[0:1], off
	s_mov_b64 s[22:23], 0
	s_waitcnt vmcnt(0)
	v_xor_b32_e32 v7, v2, v3
	v_ffbh_i32_e32 v6, v3
	v_ashrrev_i32_e32 v7, 31, v7
	v_add_u32_e32 v6, -1, v6
	v_add_u32_e32 v7, 32, v7
	v_min_u32_e32 v6, v6, v7
	v_lshlrev_b64 v[2:3], v6, v[2:3]
	v_min_u32_e32 v2, 1, v2
	v_or_b32_e32 v2, v3, v2
	v_cvt_f32_i32_e32 v2, v2
	v_sub_u32_e32 v3, 32, v6
	v_ldexp_f32 v3, v2, v3
	s_branch .LBB15_900
.LBB15_897:
                                        ; implicit-def: $vgpr3
	s_branch .LBB15_906
.LBB15_898:
	s_mov_b64 s[22:23], -1
                                        ; implicit-def: $vgpr3
	s_branch .LBB15_903
.LBB15_899:
	s_mov_b64 s[22:23], -1
                                        ; implicit-def: $vgpr3
.LBB15_900:
	s_andn2_b64 vcc, exec, s[22:23]
	s_cbranch_vccnz .LBB15_902
; %bb.901:
	global_load_dword v2, v[0:1], off
	s_waitcnt vmcnt(0)
	v_cvt_f32_i32_e32 v3, v2
.LBB15_902:
	s_mov_b64 s[22:23], 0
.LBB15_903:
	s_andn2_b64 vcc, exec, s[22:23]
	s_cbranch_vccnz .LBB15_905
; %bb.904:
	global_load_sshort v2, v[0:1], off
	s_waitcnt vmcnt(0)
	v_cvt_f32_i32_e32 v3, v2
.LBB15_905:
	s_cbranch_execnz .LBB15_911
.LBB15_906:
	v_cmp_lt_i16_e32 vcc, 0, v5
	s_cbranch_vccz .LBB15_908
; %bb.907:
	global_load_sbyte v2, v[0:1], off
	s_mov_b64 s[22:23], 0
	s_waitcnt vmcnt(0)
	v_cvt_f32_i32_e32 v3, v2
	s_branch .LBB15_909
.LBB15_908:
	s_mov_b64 s[22:23], -1
                                        ; implicit-def: $vgpr3
.LBB15_909:
	s_andn2_b64 vcc, exec, s[22:23]
	s_cbranch_vccnz .LBB15_911
; %bb.910:
	global_load_ubyte v0, v[0:1], off
	s_waitcnt vmcnt(0)
	v_cvt_f32_ubyte0_e32 v3, v0
.LBB15_911:
	s_or_b64 s[0:1], s[0:1], exec
.LBB15_912:
	s_or_b64 exec, exec, s[18:19]
	s_mov_b64 s[24:25], 0
	s_mov_b64 s[22:23], 0
                                        ; implicit-def: $vgpr5
                                        ; implicit-def: $vgpr0_vgpr1
                                        ; implicit-def: $vgpr2
	s_and_saveexec_b64 s[18:19], s[0:1]
	s_cbranch_execz .LBB15_932
; %bb.913:
	s_mov_b32 s0, 0x7f800000
	s_waitcnt vmcnt(0)
	v_cmp_nlg_f32_e64 s[22:23], |v3|, s0
	s_and_saveexec_b64 s[0:1], s[22:23]
	s_cbranch_execz .LBB15_915
; %bb.914:
	v_mov_b32_e32 v0, 0
	v_mov_b32_e32 v1, 1.0
	global_store_dword v0, v1, s[12:13]
.LBB15_915:
	s_or_b64 exec, exec, s[0:1]
	v_mov_b32_e32 v0, 0
	global_load_dword v2, v0, s[14:15]
	v_mul_lo_u32 v0, v4, s2
	v_mov_b32_e32 v1, s9
	v_mov_b32_e32 v4, 0xff
	v_ashrrev_i32_e32 v6, 31, v0
	v_add_co_u32_e32 v0, vcc, s8, v0
	v_and_b32_e32 v5, s33, v4
	v_addc_co_u32_e32 v1, vcc, v1, v6, vcc
	v_cmp_gt_i16_e32 vcc, 11, v5
	s_and_b64 vcc, exec, vcc
	s_waitcnt vmcnt(0)
	v_mul_f32_e32 v4, v3, v2
	v_cmp_eq_f32_e64 s[0:1], 1.0, v2
	v_cndmask_b32_e64 v2, v4, v3, s[0:1]
	s_cbranch_vccnz .LBB15_935
; %bb.916:
	v_cmp_lt_i16_e32 vcc, 25, v5
	s_mov_b64 s[24:25], -1
	s_mov_b64 s[0:1], s[16:17]
	s_cbranch_vccz .LBB15_953
; %bb.917:
	v_cmp_lt_i16_e32 vcc, 28, v5
	s_mov_b64 s[22:23], -1
	s_mov_b64 s[0:1], s[16:17]
	s_cbranch_vccz .LBB15_937
; %bb.918:
	v_cmp_lt_i16_e32 vcc, 43, v5
	s_mov_b64 s[0:1], s[16:17]
	s_cbranch_vccz .LBB15_929
; %bb.919:
	v_cmp_lt_i16_e32 vcc, 45, v5
	s_mov_b64 s[0:1], s[16:17]
	s_cbranch_vccz .LBB15_923
; %bb.920:
	v_cmp_eq_u16_e32 vcc, 46, v5
	s_mov_b64 s[0:1], -1
	s_cbranch_vccz .LBB15_922
; %bb.921:
	v_bfe_u32 v3, v2, 16, 1
	s_movk_i32 s0, 0x7fff
	v_add3_u32 v3, v2, v3, s0
	v_lshrrev_b32_e32 v3, 16, v3
	v_mov_b32_e32 v4, 0x7fc0
	v_cmp_o_f32_e32 vcc, v2, v2
	v_cndmask_b32_e32 v3, v4, v3, vcc
	global_store_dword v[0:1], v3, off
	s_mov_b64 s[0:1], 0
.LBB15_922:
	s_mov_b64 s[22:23], 0
.LBB15_923:
	s_and_b64 vcc, exec, s[22:23]
	s_cbranch_vccz .LBB15_928
; %bb.924:
	v_cmp_eq_u16_e32 vcc, 44, v5
	s_mov_b64 s[0:1], -1
	s_cbranch_vccz .LBB15_928
; %bb.925:
	v_bfe_u32 v3, v2, 23, 8
	s_movk_i32 s0, 0xff
	v_cmp_ne_u32_e32 vcc, s0, v3
	v_mov_b32_e32 v4, 0xff
	s_and_saveexec_b64 s[22:23], vcc
; %bb.926:
	s_mov_b32 s0, 0x3fffff
	v_and_b32_e32 v6, 0x400000, v2
	v_and_or_b32 v3, v2, s0, v3
	v_cmp_ne_u32_e32 vcc, 0, v6
	v_cmp_ne_u32_e64 s[0:1], 0, v3
	s_and_b64 s[0:1], vcc, s[0:1]
	v_lshrrev_b32_e32 v4, 23, v2
	v_cndmask_b32_e64 v3, 0, 1, s[0:1]
	v_add_u32_e32 v4, v4, v3
; %bb.927:
	s_or_b64 exec, exec, s[22:23]
	s_mov_b64 s[0:1], 0
	global_store_byte v[0:1], v4, off
.LBB15_928:
	s_mov_b64 s[22:23], 0
.LBB15_929:
	s_and_b64 vcc, exec, s[22:23]
	s_cbranch_vccz .LBB15_936
; %bb.930:
	v_cmp_eq_u16_e32 vcc, 29, v5
	s_mov_b64 s[0:1], -1
	s_cbranch_vccz .LBB15_936
; %bb.931:
	v_trunc_f32_e32 v3, v2
	v_mul_f32_e32 v4, 0x2f800000, v3
	v_floor_f32_e32 v4, v4
	v_fmac_f32_e32 v3, 0xcf800000, v4
	v_cvt_u32_f32_e32 v7, v4
	v_cvt_u32_f32_e32 v6, v3
	s_mov_b64 s[0:1], 0
	s_mov_b64 s[22:23], 0
	global_store_dwordx2 v[0:1], v[6:7], off
	s_branch .LBB15_937
.LBB15_932:
	s_or_b64 exec, exec, s[18:19]
	s_and_saveexec_b64 s[0:1], s[16:17]
	s_cbranch_execnz .LBB15_995
.LBB15_933:
	s_or_b64 exec, exec, s[0:1]
	s_and_saveexec_b64 s[0:1], s[24:25]
	s_xor_b64 s[0:1], exec, s[0:1]
	s_cbranch_execz .LBB15_996
.LBB15_934:
	s_waitcnt vmcnt(0)
	v_cmp_neq_f32_e32 vcc, 0, v2
	v_cndmask_b32_e64 v3, 0, 1, vcc
	global_store_byte v[0:1], v3, off
	s_or_b64 exec, exec, s[0:1]
	s_and_saveexec_b64 s[0:1], s[22:23]
	s_xor_b64 s[0:1], exec, s[0:1]
	s_cbranch_execz .LBB15_1034
	s_branch .LBB15_997
.LBB15_935:
	s_mov_b64 s[22:23], -1
	s_mov_b64 s[0:1], s[16:17]
	s_branch .LBB15_994
.LBB15_936:
	s_mov_b64 s[22:23], 0
.LBB15_937:
	s_and_b64 vcc, exec, s[22:23]
	s_cbranch_vccz .LBB15_952
; %bb.938:
	v_cmp_gt_i16_e32 vcc, 27, v5
	s_mov_b64 s[22:23], -1
	s_cbranch_vccnz .LBB15_944
; %bb.939:
	v_cvt_u32_f32_e32 v3, v2
	v_cmp_lt_i16_e32 vcc, 27, v5
	s_cbranch_vccz .LBB15_941
; %bb.940:
	s_mov_b64 s[22:23], 0
	global_store_dword v[0:1], v3, off
.LBB15_941:
	s_andn2_b64 vcc, exec, s[22:23]
	s_cbranch_vccnz .LBB15_943
; %bb.942:
	global_store_short v[0:1], v3, off
.LBB15_943:
	s_mov_b64 s[22:23], 0
.LBB15_944:
	s_andn2_b64 vcc, exec, s[22:23]
	s_cbranch_vccnz .LBB15_952
; %bb.945:
	v_and_b32_e32 v3, 0x7fffffff, v2
	s_mov_b32 s22, 0x43800000
	v_cmp_gt_u32_e32 vcc, s22, v3
	v_mov_b32_e32 v4, 0x80
	s_and_saveexec_b64 s[22:23], vcc
	s_cbranch_execz .LBB15_951
; %bb.946:
	s_mov_b32 s24, 0x3bffffff
	v_cmp_lt_u32_e32 vcc, s24, v3
	s_mov_b64 s[24:25], 0
                                        ; implicit-def: $vgpr3
	s_and_saveexec_b64 s[26:27], vcc
	s_xor_b64 s[26:27], exec, s[26:27]
	s_cbranch_execz .LBB15_1049
; %bb.947:
	v_bfe_u32 v3, v2, 20, 1
	s_mov_b32 s28, 0x487ffff
	v_add3_u32 v3, v2, v3, s28
	s_mov_b64 s[24:25], exec
	v_lshrrev_b32_e32 v3, 20, v3
	s_or_saveexec_b64 s[26:27], s[26:27]
                                        ; implicit-def: $sgpr28
	s_xor_b64 exec, exec, s[26:27]
	s_cbranch_execnz .LBB15_1050
.LBB15_948:
	s_or_b64 exec, exec, s[26:27]
	v_mov_b32_e32 v4, s28
	s_and_saveexec_b64 s[26:27], s[24:25]
.LBB15_949:
	v_lshrrev_b32_e32 v4, 24, v2
	s_movk_i32 s24, 0x80
	v_and_or_b32 v4, v4, s24, v3
.LBB15_950:
	s_or_b64 exec, exec, s[26:27]
.LBB15_951:
	s_or_b64 exec, exec, s[22:23]
	global_store_byte v[0:1], v4, off
.LBB15_952:
	s_mov_b64 s[24:25], 0
.LBB15_953:
	s_mov_b64 s[22:23], 0
	s_and_b64 vcc, exec, s[24:25]
	s_cbranch_vccz .LBB15_993
; %bb.954:
	v_cmp_lt_i16_e32 vcc, 22, v5
	s_mov_b64 s[24:25], -1
	s_cbranch_vccz .LBB15_986
; %bb.955:
	v_cmp_gt_i16_e32 vcc, 24, v5
	s_cbranch_vccnz .LBB15_975
; %bb.956:
	v_cmp_lt_i16_e32 vcc, 24, v5
	s_cbranch_vccz .LBB15_964
; %bb.957:
	v_and_b32_e32 v3, 0x7fffffff, v2
	s_mov_b32 s24, 0x47800000
	v_cmp_gt_u32_e32 vcc, s24, v3
	v_mov_b32_e32 v4, 0x80
	s_and_saveexec_b64 s[24:25], vcc
	s_cbranch_execz .LBB15_963
; %bb.958:
	s_mov_b32 s26, 0x37ffffff
	v_cmp_lt_u32_e32 vcc, s26, v3
	s_mov_b64 s[26:27], 0
                                        ; implicit-def: $vgpr3
	s_and_saveexec_b64 s[28:29], vcc
	s_xor_b64 s[28:29], exec, s[28:29]
	s_cbranch_execz .LBB15_1176
; %bb.959:
	v_bfe_u32 v3, v2, 21, 1
	s_mov_b32 s30, 0x88fffff
	v_add3_u32 v3, v2, v3, s30
	s_mov_b64 s[26:27], exec
	v_lshrrev_b32_e32 v3, 21, v3
	s_or_saveexec_b64 s[28:29], s[28:29]
                                        ; implicit-def: $sgpr30
	s_xor_b64 exec, exec, s[28:29]
	s_cbranch_execnz .LBB15_1177
.LBB15_960:
	s_or_b64 exec, exec, s[28:29]
	v_mov_b32_e32 v4, s30
	s_and_saveexec_b64 s[28:29], s[26:27]
.LBB15_961:
	v_lshrrev_b32_e32 v4, 24, v2
	s_movk_i32 s26, 0x80
	v_and_or_b32 v4, v4, s26, v3
.LBB15_962:
	s_or_b64 exec, exec, s[28:29]
.LBB15_963:
	s_or_b64 exec, exec, s[24:25]
	s_mov_b64 s[24:25], 0
	global_store_byte v[0:1], v4, off
.LBB15_964:
	s_and_b64 vcc, exec, s[24:25]
	s_cbranch_vccz .LBB15_974
; %bb.965:
	v_and_b32_e32 v4, 0x7fffffff, v2
	s_mov_b32 s24, 0x43f00000
	v_cmp_gt_u32_e32 vcc, s24, v4
                                        ; implicit-def: $vgpr3
	s_and_saveexec_b64 s[24:25], vcc
	s_xor_b64 s[24:25], exec, s[24:25]
	s_cbranch_execz .LBB15_971
; %bb.966:
	s_mov_b32 s26, 0x3c7fffff
	v_cmp_lt_u32_e32 vcc, s26, v4
                                        ; implicit-def: $vgpr3
	s_and_saveexec_b64 s[26:27], vcc
	s_xor_b64 s[26:27], exec, s[26:27]
; %bb.967:
	v_bfe_u32 v3, v2, 20, 1
	s_mov_b32 s28, 0x407ffff
	v_add3_u32 v3, v2, v3, s28
	v_lshrrev_b32_e32 v4, 20, v3
	v_and_b32_e32 v3, 0xff00000, v3
	s_mov_b32 s28, 0x7f00000
	v_mov_b32_e32 v6, 0x7e
	v_cmp_ne_u32_e32 vcc, s28, v3
	v_cndmask_b32_e32 v3, v6, v4, vcc
; %bb.968:
	s_andn2_saveexec_b64 s[26:27], s[26:27]
; %bb.969:
	s_mov_b32 s28, 0x46800000
	v_add_f32_e64 v3, |v2|, s28
; %bb.970:
	s_or_b64 exec, exec, s[26:27]
                                        ; implicit-def: $vgpr4
.LBB15_971:
	s_andn2_saveexec_b64 s[24:25], s[24:25]
; %bb.972:
	s_mov_b32 s26, 0x7f800000
	v_mov_b32_e32 v3, 0x7e
	v_mov_b32_e32 v6, 0x7f
	v_cmp_lt_u32_e32 vcc, s26, v4
	v_cndmask_b32_e32 v3, v3, v6, vcc
; %bb.973:
	s_or_b64 exec, exec, s[24:25]
	v_lshrrev_b32_e32 v4, 24, v2
	s_movk_i32 s24, 0x80
	v_and_or_b32 v3, v4, s24, v3
	global_store_byte v[0:1], v3, off
.LBB15_974:
	s_mov_b64 s[24:25], 0
.LBB15_975:
	s_andn2_b64 vcc, exec, s[24:25]
	s_cbranch_vccnz .LBB15_985
; %bb.976:
	v_and_b32_e32 v4, 0x7fffffff, v2
	s_mov_b32 s24, 0x47800000
	v_cmp_gt_u32_e32 vcc, s24, v4
                                        ; implicit-def: $vgpr3
	s_and_saveexec_b64 s[24:25], vcc
	s_xor_b64 s[24:25], exec, s[24:25]
	s_cbranch_execz .LBB15_982
; %bb.977:
	s_mov_b32 s26, 0x387fffff
	v_cmp_lt_u32_e32 vcc, s26, v4
                                        ; implicit-def: $vgpr3
	s_and_saveexec_b64 s[26:27], vcc
	s_xor_b64 s[26:27], exec, s[26:27]
; %bb.978:
	v_bfe_u32 v3, v2, 21, 1
	s_mov_b32 s28, 0x80fffff
	v_add3_u32 v3, v2, v3, s28
	v_lshrrev_b32_e32 v3, 21, v3
; %bb.979:
	s_andn2_saveexec_b64 s[26:27], s[26:27]
; %bb.980:
	s_mov_b32 s28, 0x43000000
	v_add_f32_e64 v3, |v2|, s28
; %bb.981:
	s_or_b64 exec, exec, s[26:27]
                                        ; implicit-def: $vgpr4
.LBB15_982:
	s_andn2_saveexec_b64 s[24:25], s[24:25]
; %bb.983:
	s_mov_b32 s26, 0x7f800000
	v_mov_b32_e32 v3, 0x7c
	v_mov_b32_e32 v6, 0x7f
	v_cmp_lt_u32_e32 vcc, s26, v4
	v_cndmask_b32_e32 v3, v3, v6, vcc
; %bb.984:
	s_or_b64 exec, exec, s[24:25]
	v_lshrrev_b32_e32 v4, 24, v2
	s_movk_i32 s24, 0x80
	v_and_or_b32 v3, v4, s24, v3
	global_store_byte v[0:1], v3, off
.LBB15_985:
	s_mov_b64 s[24:25], 0
.LBB15_986:
	s_andn2_b64 vcc, exec, s[24:25]
	s_mov_b64 s[24:25], 0
	s_cbranch_vccnz .LBB15_994
; %bb.987:
	v_cmp_lt_i16_e32 vcc, 14, v5
	s_mov_b64 s[26:27], -1
	s_cbranch_vccz .LBB15_991
; %bb.988:
	v_cmp_eq_u16_e32 vcc, 15, v5
	s_mov_b64 s[0:1], -1
	s_cbranch_vccz .LBB15_990
; %bb.989:
	v_bfe_u32 v3, v2, 16, 1
	s_movk_i32 s0, 0x7fff
	v_add3_u32 v3, v2, v3, s0
	v_lshrrev_b32_e32 v3, 16, v3
	v_mov_b32_e32 v4, 0x7fc0
	v_cmp_o_f32_e32 vcc, v2, v2
	v_cndmask_b32_e32 v3, v4, v3, vcc
	global_store_short v[0:1], v3, off
	s_mov_b64 s[0:1], 0
.LBB15_990:
	s_mov_b64 s[26:27], 0
.LBB15_991:
	s_and_b64 vcc, exec, s[26:27]
	s_cbranch_vccz .LBB15_994
; %bb.992:
	v_cmp_ne_u16_e32 vcc, 11, v5
	s_andn2_b64 s[0:1], s[0:1], exec
	s_and_b64 s[26:27], vcc, exec
	s_mov_b64 s[24:25], -1
	s_or_b64 s[0:1], s[0:1], s[26:27]
	s_branch .LBB15_994
.LBB15_993:
	s_mov_b64 s[24:25], 0
.LBB15_994:
	s_andn2_b64 s[16:17], s[16:17], exec
	s_and_b64 s[0:1], s[0:1], exec
	s_and_b64 s[22:23], s[22:23], exec
	;; [unrolled: 1-line block ×3, first 2 shown]
	s_or_b64 s[16:17], s[16:17], s[0:1]
	s_or_b64 exec, exec, s[18:19]
	s_and_saveexec_b64 s[0:1], s[16:17]
	s_cbranch_execz .LBB15_933
.LBB15_995:
	s_or_b64 s[20:21], s[20:21], exec
	s_andn2_b64 s[24:25], s[24:25], exec
	s_trap 2
	s_or_b64 exec, exec, s[0:1]
	s_and_saveexec_b64 s[0:1], s[24:25]
	s_xor_b64 s[0:1], exec, s[0:1]
	s_cbranch_execnz .LBB15_934
.LBB15_996:
	s_or_b64 exec, exec, s[0:1]
	s_and_saveexec_b64 s[0:1], s[22:23]
	s_xor_b64 s[0:1], exec, s[0:1]
	s_cbranch_execz .LBB15_1034
.LBB15_997:
	v_cmp_gt_i16_e32 vcc, 5, v5
	s_mov_b64 s[16:17], -1
	s_cbranch_vccnz .LBB15_1018
; %bb.998:
	v_cmp_gt_i16_e32 vcc, 8, v5
	s_cbranch_vccnz .LBB15_1008
; %bb.999:
	v_cmp_gt_i16_e32 vcc, 9, v5
	s_cbranch_vccnz .LBB15_1005
; %bb.1000:
	v_cmp_lt_i16_e32 vcc, 9, v5
	s_cbranch_vccz .LBB15_1002
; %bb.1001:
	v_mov_b32_e32 v8, 0
	s_waitcnt vmcnt(0)
	v_cvt_f64_f32_e32 v[6:7], v2
	v_mov_b32_e32 v9, v8
	s_mov_b64 s[16:17], 0
	global_store_dwordx4 v[0:1], v[6:9], off
.LBB15_1002:
	s_andn2_b64 vcc, exec, s[16:17]
	s_cbranch_vccnz .LBB15_1004
; %bb.1003:
	s_waitcnt vmcnt(0)
	v_mov_b32_e32 v3, 0
	global_store_dwordx2 v[0:1], v[2:3], off
.LBB15_1004:
	s_mov_b64 s[16:17], 0
.LBB15_1005:
	s_andn2_b64 vcc, exec, s[16:17]
	s_cbranch_vccnz .LBB15_1007
; %bb.1006:
	s_waitcnt vmcnt(0)
	v_cvt_f16_f32_e32 v3, v2
	global_store_dword v[0:1], v3, off
.LBB15_1007:
	s_mov_b64 s[16:17], 0
.LBB15_1008:
	s_andn2_b64 vcc, exec, s[16:17]
	s_cbranch_vccnz .LBB15_1017
; %bb.1009:
	v_cmp_gt_i16_e32 vcc, 6, v5
	s_mov_b64 s[16:17], -1
	s_cbranch_vccnz .LBB15_1015
; %bb.1010:
	v_cmp_lt_i16_e32 vcc, 6, v5
	s_cbranch_vccz .LBB15_1012
; %bb.1011:
	s_waitcnt vmcnt(0)
	v_cvt_f64_f32_e32 v[6:7], v2
	s_mov_b64 s[16:17], 0
	global_store_dwordx2 v[0:1], v[6:7], off
.LBB15_1012:
	s_andn2_b64 vcc, exec, s[16:17]
	s_cbranch_vccnz .LBB15_1014
; %bb.1013:
	s_waitcnt vmcnt(0)
	global_store_dword v[0:1], v2, off
.LBB15_1014:
	s_mov_b64 s[16:17], 0
.LBB15_1015:
	s_andn2_b64 vcc, exec, s[16:17]
	s_cbranch_vccnz .LBB15_1017
; %bb.1016:
	s_waitcnt vmcnt(0)
	v_cvt_f16_f32_e32 v3, v2
	global_store_short v[0:1], v3, off
.LBB15_1017:
	s_mov_b64 s[16:17], 0
.LBB15_1018:
	s_andn2_b64 vcc, exec, s[16:17]
	s_cbranch_vccnz .LBB15_1034
; %bb.1019:
	v_cmp_gt_i16_e32 vcc, 2, v5
	s_mov_b64 s[16:17], -1
	s_cbranch_vccnz .LBB15_1029
; %bb.1020:
	v_cmp_gt_i16_e32 vcc, 3, v5
	s_cbranch_vccnz .LBB15_1026
; %bb.1021:
	v_cmp_lt_i16_e32 vcc, 3, v5
	s_cbranch_vccz .LBB15_1023
; %bb.1022:
	s_waitcnt vmcnt(0)
	v_trunc_f32_e32 v3, v2
	s_mov_b32 s16, 0x2f800000
	v_mul_f32_e64 v4, |v3|, s16
	v_floor_f32_e32 v4, v4
	s_mov_b32 s16, 0xcf800000
	v_cvt_u32_f32_e32 v6, v4
	v_fma_f32 v4, v4, s16, |v3|
	v_cvt_u32_f32_e32 v4, v4
	v_ashrrev_i32_e32 v3, 31, v3
	v_xor_b32_e32 v7, v6, v3
	s_mov_b64 s[16:17], 0
	v_xor_b32_e32 v4, v4, v3
	v_sub_co_u32_e32 v6, vcc, v4, v3
	v_subb_co_u32_e32 v7, vcc, v7, v3, vcc
	global_store_dwordx2 v[0:1], v[6:7], off
.LBB15_1023:
	s_andn2_b64 vcc, exec, s[16:17]
	s_cbranch_vccnz .LBB15_1025
; %bb.1024:
	s_waitcnt vmcnt(0)
	v_cvt_i32_f32_e32 v3, v2
	global_store_dword v[0:1], v3, off
.LBB15_1025:
	s_mov_b64 s[16:17], 0
.LBB15_1026:
	s_andn2_b64 vcc, exec, s[16:17]
	s_cbranch_vccnz .LBB15_1028
; %bb.1027:
	s_waitcnt vmcnt(0)
	v_cvt_i32_f32_e32 v3, v2
	global_store_short v[0:1], v3, off
.LBB15_1028:
	s_mov_b64 s[16:17], 0
.LBB15_1029:
	s_andn2_b64 vcc, exec, s[16:17]
	s_cbranch_vccnz .LBB15_1034
; %bb.1030:
	v_cmp_lt_i16_e32 vcc, 0, v5
	s_mov_b64 s[16:17], -1
	s_cbranch_vccz .LBB15_1032
; %bb.1031:
	s_waitcnt vmcnt(0)
	v_cvt_i32_f32_e32 v3, v2
	s_mov_b64 s[16:17], 0
	global_store_byte v[0:1], v3, off
.LBB15_1032:
	s_andn2_b64 vcc, exec, s[16:17]
	s_cbranch_vccnz .LBB15_1034
; %bb.1033:
	s_waitcnt vmcnt(0)
	v_trunc_f32_e32 v2, v2
	s_mov_b32 s16, 0x2f800000
	v_mul_f32_e64 v3, |v2|, s16
	v_floor_f32_e32 v3, v3
	s_mov_b32 s16, 0xcf800000
	v_fma_f32 v3, v3, s16, |v2|
	v_cvt_u32_f32_e32 v3, v3
	v_ashrrev_i32_e32 v2, 31, v2
	v_xor_b32_e32 v3, v3, v2
	v_sub_u32_e32 v2, v3, v2
	global_store_byte v[0:1], v2, off
.LBB15_1034:
	s_or_b64 exec, exec, s[0:1]
	s_and_b64 s[16:17], s[20:21], exec
                                        ; implicit-def: $vgpr4
                                        ; implicit-def: $vgpr5
.LBB15_1035:
	s_or_saveexec_b64 s[6:7], s[6:7]
	s_mov_b64 s[0:1], 0
                                        ; implicit-def: $vgpr6
                                        ; implicit-def: $vgpr0_vgpr1
                                        ; implicit-def: $vgpr2
	s_xor_b64 exec, exec, s[6:7]
	s_cbranch_execz .LBB15_2011
; %bb.1036:
	v_mul_lo_u32 v6, s3, v4
	v_ashrrev_i32_e32 v1, 31, v6
	s_waitcnt vmcnt(0)
	v_mov_b32_e32 v2, s11
	v_add_co_u32_e32 v0, vcc, s10, v6
	v_addc_co_u32_e32 v1, vcc, v2, v1, vcc
	v_cmp_gt_i16_e64 s[0:1], 11, v5
	s_and_b64 vcc, exec, s[0:1]
	s_cbranch_vccnz .LBB15_1043
; %bb.1037:
	v_cmp_lt_i16_e32 vcc, 25, v5
	s_mov_b64 s[20:21], 0
	s_cbranch_vccz .LBB15_1045
; %bb.1038:
	v_cmp_lt_i16_e32 vcc, 28, v5
	s_cbranch_vccz .LBB15_1046
; %bb.1039:
	v_cmp_lt_i16_e32 vcc, 43, v5
	;; [unrolled: 3-line block ×3, first 2 shown]
	s_cbranch_vccz .LBB15_1048
; %bb.1041:
	v_cmp_eq_u16_e32 vcc, 46, v5
	s_mov_b64 s[18:19], 0
	s_cbranch_vccz .LBB15_1051
; %bb.1042:
	global_load_dword v2, v[0:1], off
	s_mov_b64 s[22:23], -1
	s_waitcnt vmcnt(0)
	v_lshlrev_b32_e32 v2, 16, v2
	s_branch .LBB15_1052
.LBB15_1043:
	s_mov_b64 s[22:23], 0
                                        ; implicit-def: $vgpr2
	s_mov_b64 s[18:19], s[16:17]
	s_cbranch_execnz .LBB15_1115
.LBB15_1044:
	s_andn2_b64 vcc, exec, s[22:23]
	s_cbranch_vccz .LBB15_1160
	s_branch .LBB15_2009
.LBB15_1045:
	s_mov_b64 s[22:23], 0
                                        ; implicit-def: $vgpr2
	s_cbranch_execnz .LBB15_1080
	s_branch .LBB15_1111
.LBB15_1046:
	s_mov_b64 s[18:19], -1
	s_mov_b64 s[22:23], 0
                                        ; implicit-def: $vgpr2
	s_branch .LBB15_1061
.LBB15_1047:
	s_mov_b64 s[22:23], 0
                                        ; implicit-def: $vgpr2
	s_cbranch_execnz .LBB15_1057
	s_branch .LBB15_1060
.LBB15_1048:
	s_mov_b64 s[18:19], -1
	s_mov_b64 s[22:23], 0
                                        ; implicit-def: $vgpr2
	s_branch .LBB15_1052
.LBB15_1049:
	s_or_saveexec_b64 s[26:27], s[26:27]
                                        ; implicit-def: $sgpr28
	s_xor_b64 exec, exec, s[26:27]
	s_cbranch_execz .LBB15_948
.LBB15_1050:
	s_mov_b32 s28, 0x46000000
	v_add_f32_e64 v3, |v2|, s28
	v_and_b32_e32 v3, 0xff, v3
	v_cmp_ne_u32_e32 vcc, 0, v3
	s_andn2_b64 s[24:25], s[24:25], exec
	s_and_b64 s[30:31], vcc, exec
	s_mov_b32 s28, 0
	s_or_b64 s[24:25], s[24:25], s[30:31]
	s_or_b64 exec, exec, s[26:27]
	v_mov_b32_e32 v4, s28
	s_and_saveexec_b64 s[26:27], s[24:25]
	s_cbranch_execnz .LBB15_949
	s_branch .LBB15_950
.LBB15_1051:
	s_mov_b64 s[4:5], -1
                                        ; implicit-def: $vgpr2
	s_mov_b64 s[22:23], 0
.LBB15_1052:
	s_and_b64 vcc, exec, s[18:19]
	s_cbranch_vccz .LBB15_1055
; %bb.1053:
	v_cmp_eq_u16_e32 vcc, 44, v5
	s_cbranch_vccz .LBB15_1056
; %bb.1054:
	global_load_ubyte v2, v[0:1], off
	s_movk_i32 s18, 0xff
	v_mov_b32_e32 v3, 0x7f800001
	v_mov_b32_e32 v7, 0x400000
	s_mov_b64 s[4:5], 0
	s_mov_b64 s[22:23], -1
	s_waitcnt vmcnt(0)
	v_lshlrev_b32_e32 v8, 23, v2
	v_cmp_ne_u32_e32 vcc, s18, v2
	v_cndmask_b32_e32 v3, v3, v8, vcc
	v_cmp_ne_u32_e32 vcc, 0, v2
	v_cndmask_b32_e32 v2, v7, v3, vcc
.LBB15_1055:
	s_branch .LBB15_1060
.LBB15_1056:
	s_mov_b64 s[4:5], -1
                                        ; implicit-def: $vgpr2
	s_branch .LBB15_1060
.LBB15_1057:
	v_cmp_eq_u16_e32 vcc, 29, v5
	s_cbranch_vccz .LBB15_1059
; %bb.1058:
	global_load_dwordx2 v[2:3], v[0:1], off
	s_mov_b64 s[4:5], 0
	s_mov_b64 s[22:23], -1
	s_mov_b64 s[18:19], 0
	s_waitcnt vmcnt(0)
	v_ffbh_u32_e32 v7, v3
	v_min_u32_e32 v7, 32, v7
	v_lshlrev_b64 v[2:3], v7, v[2:3]
	v_min_u32_e32 v2, 1, v2
	v_or_b32_e32 v2, v3, v2
	v_cvt_f32_u32_e32 v2, v2
	v_sub_u32_e32 v3, 32, v7
	v_ldexp_f32 v2, v2, v3
	s_branch .LBB15_1061
.LBB15_1059:
	s_mov_b64 s[4:5], -1
                                        ; implicit-def: $vgpr2
.LBB15_1060:
	s_mov_b64 s[18:19], 0
.LBB15_1061:
	s_and_b64 vcc, exec, s[18:19]
	s_cbranch_vccz .LBB15_1079
; %bb.1062:
	v_cmp_gt_i16_e32 vcc, 27, v5
	s_cbranch_vccnz .LBB15_1065
; %bb.1063:
	v_cmp_lt_i16_e32 vcc, 27, v5
	s_cbranch_vccz .LBB15_1066
; %bb.1064:
	global_load_dword v2, v[0:1], off
	s_mov_b64 s[18:19], 0
	s_waitcnt vmcnt(0)
	v_cvt_f32_u32_e32 v2, v2
	s_branch .LBB15_1067
.LBB15_1065:
	s_mov_b64 s[18:19], -1
                                        ; implicit-def: $vgpr2
	s_branch .LBB15_1070
.LBB15_1066:
	s_mov_b64 s[18:19], -1
                                        ; implicit-def: $vgpr2
.LBB15_1067:
	s_andn2_b64 vcc, exec, s[18:19]
	s_cbranch_vccnz .LBB15_1069
; %bb.1068:
	global_load_ushort v2, v[0:1], off
	s_waitcnt vmcnt(0)
	v_cvt_f32_u32_e32 v2, v2
.LBB15_1069:
	s_mov_b64 s[18:19], 0
.LBB15_1070:
	s_andn2_b64 vcc, exec, s[18:19]
	s_cbranch_vccnz .LBB15_1078
; %bb.1071:
	global_load_ubyte v3, v[0:1], off
	s_movk_i32 s18, 0x7f
                                        ; implicit-def: $sgpr26
	s_waitcnt vmcnt(0)
	v_cmp_lt_i16_e32 vcc, s18, v3
	s_mov_b64 s[18:19], 0
	s_and_saveexec_b64 s[22:23], vcc
	s_xor_b64 s[22:23], exec, s[22:23]
	s_cbranch_execz .LBB15_1091
; %bb.1072:
	s_movk_i32 s18, 0x80
	v_cmp_eq_u16_e32 vcc, s18, v3
	s_mov_b64 s[18:19], -1
                                        ; implicit-def: $sgpr26
	s_and_saveexec_b64 s[24:25], vcc
; %bb.1073:
	s_mov_b32 s26, 0x7f800001
	s_xor_b64 s[18:19], exec, -1
; %bb.1074:
	s_or_b64 exec, exec, s[24:25]
	s_and_b64 s[18:19], s[18:19], exec
	s_or_saveexec_b64 s[22:23], s[22:23]
	v_mov_b32_e32 v2, s26
	s_xor_b64 exec, exec, s[22:23]
	s_cbranch_execnz .LBB15_1092
.LBB15_1075:
	s_or_b64 exec, exec, s[22:23]
	s_and_saveexec_b64 s[22:23], s[18:19]
	s_cbranch_execz .LBB15_1077
.LBB15_1076:
	v_lshlrev_b32_e32 v2, 24, v3
	v_and_b32_e32 v3, 0xffff, v3
	v_and_b32_e32 v7, 7, v3
	v_ffbh_u32_e32 v9, v7
	v_min_u32_e32 v9, 32, v9
	v_subrev_u32_e32 v10, 28, v9
	v_bfe_u32 v8, v3, 3, 4
	v_lshlrev_b32_e32 v3, v10, v3
	v_sub_u32_e32 v9, 29, v9
	v_and_b32_e32 v3, 7, v3
	v_cmp_eq_u32_e32 vcc, 0, v8
	v_cndmask_b32_e32 v8, v8, v9, vcc
	v_cndmask_b32_e32 v3, v7, v3, vcc
	v_mov_b32_e32 v7, 0x3b800000
	v_lshlrev_b32_e32 v3, 20, v3
	v_and_b32_e32 v2, 0x80000000, v2
	v_lshl_add_u32 v7, v8, 23, v7
	v_or3_b32 v2, v2, v7, v3
.LBB15_1077:
	s_or_b64 exec, exec, s[22:23]
.LBB15_1078:
	s_mov_b64 s[22:23], -1
.LBB15_1079:
	s_branch .LBB15_1111
.LBB15_1080:
	v_cmp_lt_i16_e32 vcc, 22, v5
	s_cbranch_vccz .LBB15_1090
; %bb.1081:
	v_cmp_gt_i16_e32 vcc, 24, v5
	s_cbranch_vccnz .LBB15_1093
; %bb.1082:
	v_cmp_lt_i16_e32 vcc, 24, v5
	s_cbranch_vccz .LBB15_1094
; %bb.1083:
	global_load_ubyte v3, v[0:1], off
	s_movk_i32 s18, 0x7f
                                        ; implicit-def: $sgpr24
	s_waitcnt vmcnt(0)
	v_cmp_lt_i16_e32 vcc, s18, v3
	s_mov_b64 s[18:19], 0
	s_and_saveexec_b64 s[20:21], vcc
	s_xor_b64 s[20:21], exec, s[20:21]
	s_cbranch_execz .LBB15_1105
; %bb.1084:
	s_movk_i32 s18, 0x80
	v_cmp_eq_u16_e32 vcc, s18, v3
	s_mov_b64 s[18:19], -1
                                        ; implicit-def: $sgpr24
	s_and_saveexec_b64 s[22:23], vcc
; %bb.1085:
	s_mov_b32 s24, 0x7f800001
	s_xor_b64 s[18:19], exec, -1
; %bb.1086:
	s_or_b64 exec, exec, s[22:23]
	s_and_b64 s[18:19], s[18:19], exec
	s_or_saveexec_b64 s[20:21], s[20:21]
	v_mov_b32_e32 v2, s24
	s_xor_b64 exec, exec, s[20:21]
	s_cbranch_execnz .LBB15_1106
.LBB15_1087:
	s_or_b64 exec, exec, s[20:21]
	s_and_saveexec_b64 s[20:21], s[18:19]
	s_cbranch_execz .LBB15_1089
.LBB15_1088:
	v_lshlrev_b32_e32 v2, 24, v3
	v_and_b32_e32 v3, 0xffff, v3
	v_and_b32_e32 v7, 3, v3
	v_ffbh_u32_e32 v9, v7
	v_min_u32_e32 v9, 32, v9
	v_subrev_u32_e32 v10, 29, v9
	v_bfe_u32 v8, v3, 2, 5
	v_lshlrev_b32_e32 v3, v10, v3
	v_sub_u32_e32 v9, 30, v9
	v_and_b32_e32 v3, 3, v3
	v_cmp_eq_u32_e32 vcc, 0, v8
	v_cndmask_b32_e32 v8, v8, v9, vcc
	v_cndmask_b32_e32 v3, v7, v3, vcc
	v_mov_b32_e32 v7, 0x37800000
	v_lshlrev_b32_e32 v3, 21, v3
	v_and_b32_e32 v2, 0x80000000, v2
	v_lshl_add_u32 v7, v8, 23, v7
	v_or3_b32 v2, v2, v7, v3
.LBB15_1089:
	s_or_b64 exec, exec, s[20:21]
	s_mov_b64 s[18:19], 0
	s_branch .LBB15_1095
.LBB15_1090:
                                        ; implicit-def: $vgpr2
	s_mov_b64 s[20:21], 0
	s_branch .LBB15_1101
.LBB15_1091:
	s_or_saveexec_b64 s[22:23], s[22:23]
	v_mov_b32_e32 v2, s26
	s_xor_b64 exec, exec, s[22:23]
	s_cbranch_execz .LBB15_1075
.LBB15_1092:
	v_cmp_ne_u16_e32 vcc, 0, v3
	s_andn2_b64 s[18:19], s[18:19], exec
	s_and_b64 s[24:25], vcc, exec
	v_mov_b32_e32 v2, 0
	s_or_b64 s[18:19], s[18:19], s[24:25]
	s_or_b64 exec, exec, s[22:23]
	s_and_saveexec_b64 s[22:23], s[18:19]
	s_cbranch_execnz .LBB15_1076
	s_branch .LBB15_1077
.LBB15_1093:
	s_mov_b64 s[18:19], -1
                                        ; implicit-def: $vgpr2
	s_branch .LBB15_1098
.LBB15_1094:
	s_mov_b64 s[18:19], -1
                                        ; implicit-def: $vgpr2
.LBB15_1095:
	s_and_b64 vcc, exec, s[18:19]
	s_cbranch_vccz .LBB15_1097
; %bb.1096:
	global_load_ubyte v2, v[0:1], off
	s_mov_b32 s18, 0x7f800000
	s_waitcnt vmcnt(0)
	v_lshlrev_b32_e32 v2, 24, v2
	v_and_b32_e32 v3, 0x7f000000, v2
	v_ffbh_u32_e32 v7, v3
	v_min_u32_e32 v7, 32, v7
	v_sub_u32_e64 v7, v7, 4 clamp
	v_lshlrev_b32_e32 v9, v7, v3
	v_lshlrev_b32_e32 v7, 23, v7
	v_lshrrev_b32_e32 v9, 4, v9
	v_add_u32_e32 v8, 0x1000000, v3
	v_sub_u32_e32 v7, v9, v7
	v_ashrrev_i32_e32 v8, 8, v8
	v_add_u32_e32 v7, 0x3c000000, v7
	v_and_or_b32 v7, v8, s18, v7
	v_cmp_ne_u32_e32 vcc, 0, v3
	v_cndmask_b32_e32 v3, 0, v7, vcc
	s_brev_b32 s18, 1
	v_and_or_b32 v2, v2, s18, v3
.LBB15_1097:
	s_mov_b64 s[18:19], 0
.LBB15_1098:
	s_andn2_b64 vcc, exec, s[18:19]
	s_cbranch_vccnz .LBB15_1100
; %bb.1099:
	global_load_ubyte v2, v[0:1], off
	s_movk_i32 s18, 0x7f00
	s_brev_b32 s19, 16
	s_waitcnt vmcnt(0)
	v_lshlrev_b16_e32 v3, 8, v2
	v_lshlrev_b32_e32 v2, 25, v2
	v_lshrrev_b32_e32 v7, 4, v2
	v_and_or_b32 v8, v3, s18, 0.5
	v_or_b32_e32 v7, 0x70000000, v7
	v_add_f32_e32 v8, -0.5, v8
	v_mul_f32_e32 v7, 0x7800000, v7
	v_cmp_gt_u32_e32 vcc, s19, v2
	v_bfe_i32 v3, v3, 0, 16
	v_cndmask_b32_e32 v2, v7, v8, vcc
	s_brev_b32 s18, 1
	v_and_or_b32 v2, v3, s18, v2
.LBB15_1100:
	s_mov_b64 s[22:23], -1
	s_mov_b64 s[20:21], 0
	s_cbranch_execnz .LBB15_1111
.LBB15_1101:
	v_cmp_lt_i16_e32 vcc, 14, v5
	s_cbranch_vccz .LBB15_1104
; %bb.1102:
	v_cmp_eq_u16_e32 vcc, 15, v5
	s_cbranch_vccz .LBB15_1107
; %bb.1103:
	global_load_ushort v2, v[0:1], off
	s_mov_b64 s[4:5], 0
	s_mov_b64 s[22:23], -1
	s_waitcnt vmcnt(0)
	v_lshlrev_b32_e32 v2, 16, v2
	s_branch .LBB15_1108
.LBB15_1104:
	s_mov_b64 s[18:19], -1
                                        ; implicit-def: $vgpr2
	s_branch .LBB15_1109
.LBB15_1105:
	s_or_saveexec_b64 s[20:21], s[20:21]
	v_mov_b32_e32 v2, s24
	s_xor_b64 exec, exec, s[20:21]
	s_cbranch_execz .LBB15_1087
.LBB15_1106:
	v_cmp_ne_u16_e32 vcc, 0, v3
	s_andn2_b64 s[18:19], s[18:19], exec
	s_and_b64 s[22:23], vcc, exec
	v_mov_b32_e32 v2, 0
	s_or_b64 s[18:19], s[18:19], s[22:23]
	s_or_b64 exec, exec, s[20:21]
	s_and_saveexec_b64 s[20:21], s[18:19]
	s_cbranch_execnz .LBB15_1088
	s_branch .LBB15_1089
.LBB15_1107:
	s_mov_b64 s[4:5], -1
                                        ; implicit-def: $vgpr2
.LBB15_1108:
	s_mov_b64 s[18:19], 0
.LBB15_1109:
	s_and_b64 vcc, exec, s[18:19]
	s_cbranch_vccz .LBB15_1111
; %bb.1110:
	v_cmp_ne_u16_e64 s[4:5], 11, v5
	s_mov_b64 s[20:21], -1
                                        ; implicit-def: $vgpr2
.LBB15_1111:
	s_and_b64 vcc, exec, s[4:5]
	s_mov_b64 s[18:19], s[16:17]
	s_cbranch_vccnz .LBB15_1174
; %bb.1112:
	s_andn2_b64 vcc, exec, s[20:21]
	s_cbranch_vccnz .LBB15_1114
.LBB15_1113:
	global_load_ubyte v2, v[0:1], off
	s_mov_b64 s[22:23], -1
	s_waitcnt vmcnt(0)
	v_cmp_ne_u16_e32 vcc, 0, v2
	v_cndmask_b32_e64 v2, 0, 1.0, vcc
.LBB15_1114:
	s_branch .LBB15_1044
.LBB15_1115:
	v_cmp_gt_i16_e32 vcc, 5, v5
	s_cbranch_vccnz .LBB15_1120
; %bb.1116:
	v_cmp_gt_i16_e32 vcc, 8, v5
	s_cbranch_vccnz .LBB15_1121
; %bb.1117:
	;; [unrolled: 3-line block ×3, first 2 shown]
	v_cmp_lt_i16_e32 vcc, 9, v5
	s_cbranch_vccz .LBB15_1123
; %bb.1119:
	global_load_dwordx2 v[2:3], v[0:1], off
	s_mov_b64 s[4:5], 0
	s_waitcnt vmcnt(0)
	v_cvt_f32_f64_e32 v2, v[2:3]
	s_branch .LBB15_1124
.LBB15_1120:
                                        ; implicit-def: $vgpr2
	s_branch .LBB15_1141
.LBB15_1121:
                                        ; implicit-def: $vgpr2
	s_branch .LBB15_1130
.LBB15_1122:
	s_mov_b64 s[4:5], -1
                                        ; implicit-def: $vgpr2
	s_branch .LBB15_1127
.LBB15_1123:
	s_mov_b64 s[4:5], -1
                                        ; implicit-def: $vgpr2
.LBB15_1124:
	s_andn2_b64 vcc, exec, s[4:5]
	s_cbranch_vccnz .LBB15_1126
; %bb.1125:
	global_load_dword v2, v[0:1], off
.LBB15_1126:
	s_mov_b64 s[4:5], 0
.LBB15_1127:
	s_andn2_b64 vcc, exec, s[4:5]
	s_cbranch_vccnz .LBB15_1129
; %bb.1128:
	global_load_dword v2, v[0:1], off
	s_waitcnt vmcnt(0)
	v_cvt_f32_f16_e32 v2, v2
.LBB15_1129:
	s_cbranch_execnz .LBB15_1140
.LBB15_1130:
	v_cmp_gt_i16_e32 vcc, 6, v5
	s_cbranch_vccnz .LBB15_1133
; %bb.1131:
	v_cmp_lt_i16_e32 vcc, 6, v5
	s_cbranch_vccz .LBB15_1134
; %bb.1132:
	global_load_dwordx2 v[2:3], v[0:1], off
	s_mov_b64 s[4:5], 0
	s_waitcnt vmcnt(0)
	v_cvt_f32_f64_e32 v2, v[2:3]
	s_branch .LBB15_1135
.LBB15_1133:
	s_mov_b64 s[4:5], -1
                                        ; implicit-def: $vgpr2
	s_branch .LBB15_1138
.LBB15_1134:
	s_mov_b64 s[4:5], -1
                                        ; implicit-def: $vgpr2
.LBB15_1135:
	s_andn2_b64 vcc, exec, s[4:5]
	s_cbranch_vccnz .LBB15_1137
; %bb.1136:
	global_load_dword v2, v[0:1], off
.LBB15_1137:
	s_mov_b64 s[4:5], 0
.LBB15_1138:
	s_andn2_b64 vcc, exec, s[4:5]
	s_cbranch_vccnz .LBB15_1140
; %bb.1139:
	global_load_ushort v2, v[0:1], off
	s_waitcnt vmcnt(0)
	v_cvt_f32_f16_e32 v2, v2
.LBB15_1140:
	s_cbranch_execnz .LBB15_1159
.LBB15_1141:
	v_cmp_gt_i16_e32 vcc, 2, v5
	s_cbranch_vccnz .LBB15_1145
; %bb.1142:
	v_cmp_gt_i16_e32 vcc, 3, v5
	s_cbranch_vccnz .LBB15_1146
; %bb.1143:
	v_cmp_lt_i16_e32 vcc, 3, v5
	s_cbranch_vccz .LBB15_1147
; %bb.1144:
	global_load_dwordx2 v[2:3], v[0:1], off
	s_mov_b64 s[4:5], 0
	s_waitcnt vmcnt(0)
	v_xor_b32_e32 v8, v2, v3
	v_ffbh_i32_e32 v7, v3
	v_ashrrev_i32_e32 v8, 31, v8
	v_add_u32_e32 v7, -1, v7
	v_add_u32_e32 v8, 32, v8
	v_min_u32_e32 v7, v7, v8
	v_lshlrev_b64 v[2:3], v7, v[2:3]
	v_min_u32_e32 v2, 1, v2
	v_or_b32_e32 v2, v3, v2
	v_cvt_f32_i32_e32 v2, v2
	v_sub_u32_e32 v3, 32, v7
	v_ldexp_f32 v2, v2, v3
	s_branch .LBB15_1148
.LBB15_1145:
                                        ; implicit-def: $vgpr2
	s_branch .LBB15_1154
.LBB15_1146:
	s_mov_b64 s[4:5], -1
                                        ; implicit-def: $vgpr2
	s_branch .LBB15_1151
.LBB15_1147:
	s_mov_b64 s[4:5], -1
                                        ; implicit-def: $vgpr2
.LBB15_1148:
	s_andn2_b64 vcc, exec, s[4:5]
	s_cbranch_vccnz .LBB15_1150
; %bb.1149:
	global_load_dword v2, v[0:1], off
	s_waitcnt vmcnt(0)
	v_cvt_f32_i32_e32 v2, v2
.LBB15_1150:
	s_mov_b64 s[4:5], 0
.LBB15_1151:
	s_andn2_b64 vcc, exec, s[4:5]
	s_cbranch_vccnz .LBB15_1153
; %bb.1152:
	global_load_sshort v2, v[0:1], off
	s_waitcnt vmcnt(0)
	v_cvt_f32_i32_e32 v2, v2
.LBB15_1153:
	s_cbranch_execnz .LBB15_1159
.LBB15_1154:
	v_cmp_lt_i16_e32 vcc, 0, v5
	s_cbranch_vccz .LBB15_1156
; %bb.1155:
	global_load_sbyte v2, v[0:1], off
	s_mov_b64 s[4:5], 0
	s_waitcnt vmcnt(0)
	v_cvt_f32_i32_e32 v2, v2
	s_branch .LBB15_1157
.LBB15_1156:
	s_mov_b64 s[4:5], -1
                                        ; implicit-def: $vgpr2
.LBB15_1157:
	s_andn2_b64 vcc, exec, s[4:5]
	s_cbranch_vccnz .LBB15_1159
; %bb.1158:
	global_load_ubyte v0, v[0:1], off
	s_waitcnt vmcnt(0)
	v_cvt_f32_ubyte0_e32 v2, v0
.LBB15_1159:
.LBB15_1160:
	s_mov_b32 s4, 0x7f800000
	s_waitcnt vmcnt(0)
	v_cmp_nlg_f32_e64 s[20:21], |v2|, s4
	s_and_saveexec_b64 s[4:5], s[20:21]
	s_cbranch_execz .LBB15_1162
; %bb.1161:
	v_mov_b32_e32 v0, 0
	v_mov_b32_e32 v1, 1.0
	global_store_dword v0, v1, s[12:13]
.LBB15_1162:
	s_or_b64 exec, exec, s[4:5]
	v_mov_b32_e32 v0, 0
	global_load_dword v3, v0, s[14:15]
	s_lshl_b32 s3, s3, 7
	v_add_u32_e32 v7, s3, v6
	v_ashrrev_i32_e32 v1, 31, v7
	v_mov_b32_e32 v6, s11
	v_add_co_u32_e32 v0, vcc, s10, v7
	v_addc_co_u32_e32 v1, vcc, v6, v1, vcc
	s_and_b64 vcc, exec, s[0:1]
	s_cbranch_vccnz .LBB15_1169
; %bb.1163:
	v_cmp_lt_i16_e32 vcc, 25, v5
	s_mov_b64 s[20:21], 0
	s_cbranch_vccz .LBB15_1171
; %bb.1164:
	v_cmp_lt_i16_e32 vcc, 28, v5
	s_cbranch_vccz .LBB15_1172
; %bb.1165:
	v_cmp_lt_i16_e32 vcc, 43, v5
	;; [unrolled: 3-line block ×3, first 2 shown]
	s_cbranch_vccz .LBB15_1175
; %bb.1167:
	v_cmp_eq_u16_e32 vcc, 46, v5
	s_mov_b64 s[24:25], 0
	s_cbranch_vccz .LBB15_1178
; %bb.1168:
	global_load_dword v6, v[0:1], off
	s_mov_b64 s[4:5], 0
	s_mov_b64 s[22:23], -1
	s_waitcnt vmcnt(0)
	v_lshlrev_b32_e32 v6, 16, v6
	s_branch .LBB15_1179
.LBB15_1169:
	s_mov_b64 s[22:23], 0
                                        ; implicit-def: $vgpr6
	s_cbranch_execnz .LBB15_1244
.LBB15_1170:
	s_andn2_b64 vcc, exec, s[22:23]
	s_cbranch_vccnz .LBB15_2009
	s_branch .LBB15_1291
.LBB15_1171:
	s_mov_b64 s[22:23], 0
	s_mov_b64 s[4:5], 0
                                        ; implicit-def: $vgpr6
	s_cbranch_execnz .LBB15_1208
	s_branch .LBB15_1240
.LBB15_1172:
	s_mov_b64 s[24:25], -1
	s_mov_b64 s[22:23], 0
	s_mov_b64 s[4:5], 0
                                        ; implicit-def: $vgpr6
	s_branch .LBB15_1189
.LBB15_1173:
	s_mov_b64 s[24:25], -1
	s_mov_b64 s[22:23], 0
	s_mov_b64 s[4:5], 0
                                        ; implicit-def: $vgpr6
	s_branch .LBB15_1184
.LBB15_1174:
	s_or_b64 s[18:19], s[16:17], exec
	s_trap 2
                                        ; implicit-def: $vgpr2
	s_cbranch_execz .LBB15_1113
	s_branch .LBB15_1114
.LBB15_1175:
	s_mov_b64 s[24:25], -1
	s_mov_b64 s[22:23], 0
	s_mov_b64 s[4:5], 0
                                        ; implicit-def: $vgpr6
	s_branch .LBB15_1179
.LBB15_1176:
	s_or_saveexec_b64 s[28:29], s[28:29]
                                        ; implicit-def: $sgpr30
	s_xor_b64 exec, exec, s[28:29]
	s_cbranch_execz .LBB15_960
.LBB15_1177:
	s_mov_b32 s30, 0x42800000
	v_add_f32_e64 v3, |v2|, s30
	v_and_b32_e32 v3, 0xff, v3
	v_cmp_ne_u32_e32 vcc, 0, v3
	s_andn2_b64 s[26:27], s[26:27], exec
	s_and_b64 s[34:35], vcc, exec
	s_mov_b32 s30, 0
	s_or_b64 s[26:27], s[26:27], s[34:35]
	s_or_b64 exec, exec, s[28:29]
	v_mov_b32_e32 v4, s30
	s_and_saveexec_b64 s[28:29], s[26:27]
	s_cbranch_execnz .LBB15_961
	s_branch .LBB15_962
.LBB15_1178:
	s_mov_b64 s[4:5], -1
                                        ; implicit-def: $vgpr6
	s_mov_b64 s[22:23], 0
.LBB15_1179:
	s_and_b64 vcc, exec, s[24:25]
	s_cbranch_vccz .LBB15_1183
; %bb.1180:
	v_cmp_eq_u16_e32 vcc, 44, v5
	s_cbranch_vccz .LBB15_1182
; %bb.1181:
	global_load_ubyte v6, v[0:1], off
	s_movk_i32 s22, 0xff
	v_mov_b32_e32 v8, 0x7f800001
	v_mov_b32_e32 v9, 0x400000
	s_mov_b64 s[4:5], 0
	s_waitcnt vmcnt(0)
	v_lshlrev_b32_e32 v10, 23, v6
	v_cmp_ne_u32_e32 vcc, s22, v6
	v_cndmask_b32_e32 v8, v8, v10, vcc
	v_cmp_ne_u32_e32 vcc, 0, v6
	v_cndmask_b32_e32 v6, v9, v8, vcc
	s_mov_b64 s[22:23], -1
	s_branch .LBB15_1183
.LBB15_1182:
	s_mov_b64 s[4:5], -1
                                        ; implicit-def: $vgpr6
.LBB15_1183:
	s_mov_b64 s[24:25], 0
.LBB15_1184:
	s_and_b64 vcc, exec, s[24:25]
	s_cbranch_vccz .LBB15_1188
; %bb.1185:
	v_cmp_eq_u16_e32 vcc, 29, v5
	s_cbranch_vccz .LBB15_1187
; %bb.1186:
	global_load_dwordx2 v[8:9], v[0:1], off
	s_mov_b64 s[4:5], 0
	s_mov_b64 s[22:23], -1
	s_mov_b64 s[24:25], 0
	s_waitcnt vmcnt(0)
	v_ffbh_u32_e32 v6, v9
	v_min_u32_e32 v6, 32, v6
	v_lshlrev_b64 v[8:9], v6, v[8:9]
	v_min_u32_e32 v8, 1, v8
	v_or_b32_e32 v8, v9, v8
	v_cvt_f32_u32_e32 v8, v8
	v_sub_u32_e32 v6, 32, v6
	v_ldexp_f32 v6, v8, v6
	s_branch .LBB15_1189
.LBB15_1187:
	s_mov_b64 s[4:5], -1
                                        ; implicit-def: $vgpr6
.LBB15_1188:
	s_mov_b64 s[24:25], 0
.LBB15_1189:
	s_and_b64 vcc, exec, s[24:25]
	s_cbranch_vccz .LBB15_1207
; %bb.1190:
	v_cmp_gt_i16_e32 vcc, 27, v5
	s_cbranch_vccnz .LBB15_1193
; %bb.1191:
	v_cmp_lt_i16_e32 vcc, 27, v5
	s_cbranch_vccz .LBB15_1194
; %bb.1192:
	global_load_dword v6, v[0:1], off
	s_mov_b64 s[22:23], 0
	s_waitcnt vmcnt(0)
	v_cvt_f32_u32_e32 v6, v6
	s_branch .LBB15_1195
.LBB15_1193:
	s_mov_b64 s[22:23], -1
                                        ; implicit-def: $vgpr6
	s_branch .LBB15_1198
.LBB15_1194:
	s_mov_b64 s[22:23], -1
                                        ; implicit-def: $vgpr6
.LBB15_1195:
	s_andn2_b64 vcc, exec, s[22:23]
	s_cbranch_vccnz .LBB15_1197
; %bb.1196:
	global_load_ushort v6, v[0:1], off
	s_waitcnt vmcnt(0)
	v_cvt_f32_u32_e32 v6, v6
.LBB15_1197:
	s_mov_b64 s[22:23], 0
.LBB15_1198:
	s_andn2_b64 vcc, exec, s[22:23]
	s_cbranch_vccnz .LBB15_1206
; %bb.1199:
	global_load_ubyte v8, v[0:1], off
	s_movk_i32 s22, 0x7f
                                        ; implicit-def: $sgpr28
	s_waitcnt vmcnt(0)
	v_cmp_lt_i16_e32 vcc, s22, v8
	s_mov_b64 s[22:23], 0
	s_and_saveexec_b64 s[24:25], vcc
	s_xor_b64 s[24:25], exec, s[24:25]
	s_cbranch_execz .LBB15_1219
; %bb.1200:
	s_movk_i32 s22, 0x80
	v_cmp_eq_u16_e32 vcc, s22, v8
	s_mov_b64 s[22:23], -1
                                        ; implicit-def: $sgpr28
	s_and_saveexec_b64 s[26:27], vcc
; %bb.1201:
	s_mov_b32 s28, 0x7f800001
	s_xor_b64 s[22:23], exec, -1
; %bb.1202:
	s_or_b64 exec, exec, s[26:27]
	s_and_b64 s[22:23], s[22:23], exec
	s_or_saveexec_b64 s[24:25], s[24:25]
	v_mov_b32_e32 v6, s28
	s_xor_b64 exec, exec, s[24:25]
	s_cbranch_execnz .LBB15_1220
.LBB15_1203:
	s_or_b64 exec, exec, s[24:25]
	s_and_saveexec_b64 s[24:25], s[22:23]
	s_cbranch_execz .LBB15_1205
.LBB15_1204:
	v_lshlrev_b32_e32 v6, 24, v8
	v_and_b32_e32 v8, 0xffff, v8
	v_and_b32_e32 v9, 7, v8
	v_ffbh_u32_e32 v11, v9
	v_min_u32_e32 v11, 32, v11
	v_subrev_u32_e32 v12, 28, v11
	v_bfe_u32 v10, v8, 3, 4
	v_lshlrev_b32_e32 v8, v12, v8
	v_sub_u32_e32 v11, 29, v11
	v_and_b32_e32 v8, 7, v8
	v_cmp_eq_u32_e32 vcc, 0, v10
	v_cndmask_b32_e32 v10, v10, v11, vcc
	v_cndmask_b32_e32 v8, v9, v8, vcc
	v_mov_b32_e32 v9, 0x3b800000
	v_lshlrev_b32_e32 v8, 20, v8
	v_and_b32_e32 v6, 0x80000000, v6
	v_lshl_add_u32 v9, v10, 23, v9
	v_or3_b32 v6, v6, v9, v8
.LBB15_1205:
	s_or_b64 exec, exec, s[24:25]
.LBB15_1206:
	s_mov_b64 s[22:23], -1
.LBB15_1207:
	s_branch .LBB15_1240
.LBB15_1208:
	v_cmp_lt_i16_e32 vcc, 22, v5
	s_cbranch_vccz .LBB15_1218
; %bb.1209:
	v_cmp_gt_i16_e32 vcc, 24, v5
	s_cbranch_vccnz .LBB15_1221
; %bb.1210:
	v_cmp_lt_i16_e32 vcc, 24, v5
	s_cbranch_vccz .LBB15_1222
; %bb.1211:
	global_load_ubyte v8, v[0:1], off
	s_movk_i32 s20, 0x7f
                                        ; implicit-def: $sgpr26
	s_waitcnt vmcnt(0)
	v_cmp_lt_i16_e32 vcc, s20, v8
	s_mov_b64 s[20:21], 0
	s_and_saveexec_b64 s[22:23], vcc
	s_xor_b64 s[22:23], exec, s[22:23]
	s_cbranch_execz .LBB15_1234
; %bb.1212:
	s_movk_i32 s20, 0x80
	v_cmp_eq_u16_e32 vcc, s20, v8
	s_mov_b64 s[20:21], -1
                                        ; implicit-def: $sgpr26
	s_and_saveexec_b64 s[24:25], vcc
; %bb.1213:
	s_mov_b32 s26, 0x7f800001
	s_xor_b64 s[20:21], exec, -1
; %bb.1214:
	s_or_b64 exec, exec, s[24:25]
	s_and_b64 s[20:21], s[20:21], exec
	s_or_saveexec_b64 s[22:23], s[22:23]
	v_mov_b32_e32 v6, s26
	s_xor_b64 exec, exec, s[22:23]
	s_cbranch_execnz .LBB15_1235
.LBB15_1215:
	s_or_b64 exec, exec, s[22:23]
	s_and_saveexec_b64 s[22:23], s[20:21]
	s_cbranch_execz .LBB15_1217
.LBB15_1216:
	v_lshlrev_b32_e32 v6, 24, v8
	v_and_b32_e32 v8, 0xffff, v8
	v_and_b32_e32 v9, 3, v8
	v_ffbh_u32_e32 v11, v9
	v_min_u32_e32 v11, 32, v11
	v_subrev_u32_e32 v12, 29, v11
	v_bfe_u32 v10, v8, 2, 5
	v_lshlrev_b32_e32 v8, v12, v8
	v_sub_u32_e32 v11, 30, v11
	v_and_b32_e32 v8, 3, v8
	v_cmp_eq_u32_e32 vcc, 0, v10
	v_cndmask_b32_e32 v10, v10, v11, vcc
	v_cndmask_b32_e32 v8, v9, v8, vcc
	v_mov_b32_e32 v9, 0x37800000
	v_lshlrev_b32_e32 v8, 21, v8
	v_and_b32_e32 v6, 0x80000000, v6
	v_lshl_add_u32 v9, v10, 23, v9
	v_or3_b32 v6, v6, v9, v8
.LBB15_1217:
	s_or_b64 exec, exec, s[22:23]
	s_mov_b64 s[20:21], 0
	s_branch .LBB15_1223
.LBB15_1218:
	s_mov_b64 s[20:21], -1
                                        ; implicit-def: $vgpr6
	s_branch .LBB15_1229
.LBB15_1219:
	s_or_saveexec_b64 s[24:25], s[24:25]
	v_mov_b32_e32 v6, s28
	s_xor_b64 exec, exec, s[24:25]
	s_cbranch_execz .LBB15_1203
.LBB15_1220:
	v_cmp_ne_u16_e32 vcc, 0, v8
	s_andn2_b64 s[22:23], s[22:23], exec
	s_and_b64 s[26:27], vcc, exec
	v_mov_b32_e32 v6, 0
	s_or_b64 s[22:23], s[22:23], s[26:27]
	s_or_b64 exec, exec, s[24:25]
	s_and_saveexec_b64 s[24:25], s[22:23]
	s_cbranch_execnz .LBB15_1204
	s_branch .LBB15_1205
.LBB15_1221:
	s_mov_b64 s[20:21], -1
                                        ; implicit-def: $vgpr6
	s_branch .LBB15_1226
.LBB15_1222:
	s_mov_b64 s[20:21], -1
                                        ; implicit-def: $vgpr6
.LBB15_1223:
	s_and_b64 vcc, exec, s[20:21]
	s_cbranch_vccz .LBB15_1225
; %bb.1224:
	global_load_ubyte v6, v[0:1], off
	s_mov_b32 s20, 0x7f800000
	s_waitcnt vmcnt(0)
	v_lshlrev_b32_e32 v6, 24, v6
	v_and_b32_e32 v8, 0x7f000000, v6
	v_ffbh_u32_e32 v9, v8
	v_min_u32_e32 v9, 32, v9
	v_sub_u32_e64 v9, v9, 4 clamp
	v_lshlrev_b32_e32 v11, v9, v8
	v_lshlrev_b32_e32 v9, 23, v9
	v_lshrrev_b32_e32 v11, 4, v11
	v_add_u32_e32 v10, 0x1000000, v8
	v_sub_u32_e32 v9, v11, v9
	v_ashrrev_i32_e32 v10, 8, v10
	v_add_u32_e32 v9, 0x3c000000, v9
	v_and_or_b32 v9, v10, s20, v9
	v_cmp_ne_u32_e32 vcc, 0, v8
	v_cndmask_b32_e32 v8, 0, v9, vcc
	s_brev_b32 s20, 1
	v_and_or_b32 v6, v6, s20, v8
.LBB15_1225:
	s_mov_b64 s[20:21], 0
.LBB15_1226:
	s_andn2_b64 vcc, exec, s[20:21]
	s_cbranch_vccnz .LBB15_1228
; %bb.1227:
	global_load_ubyte v6, v[0:1], off
	s_movk_i32 s20, 0x7f00
	s_brev_b32 s21, 16
	s_waitcnt vmcnt(0)
	v_lshlrev_b16_e32 v8, 8, v6
	v_lshlrev_b32_e32 v6, 25, v6
	v_lshrrev_b32_e32 v9, 4, v6
	v_and_or_b32 v10, v8, s20, 0.5
	v_or_b32_e32 v9, 0x70000000, v9
	v_add_f32_e32 v10, -0.5, v10
	v_mul_f32_e32 v9, 0x7800000, v9
	v_cmp_gt_u32_e32 vcc, s21, v6
	v_bfe_i32 v8, v8, 0, 16
	v_cndmask_b32_e32 v6, v9, v10, vcc
	s_brev_b32 s20, 1
	v_and_or_b32 v6, v8, s20, v6
.LBB15_1228:
	s_mov_b64 s[20:21], 0
	s_mov_b64 s[22:23], -1
.LBB15_1229:
	s_andn2_b64 vcc, exec, s[20:21]
	s_mov_b64 s[20:21], 0
	s_cbranch_vccnz .LBB15_1240
; %bb.1230:
	v_cmp_lt_i16_e32 vcc, 14, v5
	s_cbranch_vccz .LBB15_1233
; %bb.1231:
	v_cmp_eq_u16_e32 vcc, 15, v5
	s_cbranch_vccz .LBB15_1236
; %bb.1232:
	global_load_ushort v6, v[0:1], off
	s_mov_b64 s[4:5], 0
	s_mov_b64 s[22:23], -1
	s_waitcnt vmcnt(0)
	v_lshlrev_b32_e32 v6, 16, v6
	s_branch .LBB15_1237
.LBB15_1233:
	s_mov_b64 s[24:25], -1
                                        ; implicit-def: $vgpr6
	s_branch .LBB15_1238
.LBB15_1234:
	s_or_saveexec_b64 s[22:23], s[22:23]
	v_mov_b32_e32 v6, s26
	s_xor_b64 exec, exec, s[22:23]
	s_cbranch_execz .LBB15_1215
.LBB15_1235:
	v_cmp_ne_u16_e32 vcc, 0, v8
	s_andn2_b64 s[20:21], s[20:21], exec
	s_and_b64 s[24:25], vcc, exec
	v_mov_b32_e32 v6, 0
	s_or_b64 s[20:21], s[20:21], s[24:25]
	s_or_b64 exec, exec, s[22:23]
	s_and_saveexec_b64 s[22:23], s[20:21]
	s_cbranch_execnz .LBB15_1216
	s_branch .LBB15_1217
.LBB15_1236:
	s_mov_b64 s[4:5], -1
                                        ; implicit-def: $vgpr6
.LBB15_1237:
	s_mov_b64 s[24:25], 0
.LBB15_1238:
	s_and_b64 vcc, exec, s[24:25]
	s_cbranch_vccz .LBB15_1240
; %bb.1239:
	v_cmp_ne_u16_e64 s[4:5], 11, v5
	s_mov_b64 s[20:21], -1
                                        ; implicit-def: $vgpr6
.LBB15_1240:
	s_and_b64 vcc, exec, s[4:5]
	s_cbranch_vccnz .LBB15_1305
; %bb.1241:
	s_andn2_b64 vcc, exec, s[20:21]
	s_cbranch_vccnz .LBB15_1243
.LBB15_1242:
	global_load_ubyte v6, v[0:1], off
	s_mov_b64 s[22:23], -1
	s_waitcnt vmcnt(0)
	v_cmp_ne_u16_e32 vcc, 0, v6
	v_cndmask_b32_e64 v6, 0, 1.0, vcc
.LBB15_1243:
	s_branch .LBB15_1170
.LBB15_1244:
	v_cmp_gt_i16_e32 vcc, 5, v5
	s_cbranch_vccnz .LBB15_1249
; %bb.1245:
	v_cmp_gt_i16_e32 vcc, 8, v5
	s_cbranch_vccnz .LBB15_1250
; %bb.1246:
	;; [unrolled: 3-line block ×3, first 2 shown]
	v_cmp_lt_i16_e32 vcc, 9, v5
	s_cbranch_vccz .LBB15_1252
; %bb.1248:
	global_load_dwordx2 v[8:9], v[0:1], off
	s_mov_b64 s[4:5], 0
	s_waitcnt vmcnt(0)
	v_cvt_f32_f64_e32 v6, v[8:9]
	s_branch .LBB15_1253
.LBB15_1249:
                                        ; implicit-def: $vgpr6
	s_branch .LBB15_1271
.LBB15_1250:
	s_mov_b64 s[4:5], -1
                                        ; implicit-def: $vgpr6
	s_branch .LBB15_1259
.LBB15_1251:
	s_mov_b64 s[4:5], -1
                                        ; implicit-def: $vgpr6
	s_branch .LBB15_1256
.LBB15_1252:
	s_mov_b64 s[4:5], -1
                                        ; implicit-def: $vgpr6
.LBB15_1253:
	s_andn2_b64 vcc, exec, s[4:5]
	s_cbranch_vccnz .LBB15_1255
; %bb.1254:
	global_load_dword v6, v[0:1], off
.LBB15_1255:
	s_mov_b64 s[4:5], 0
.LBB15_1256:
	s_andn2_b64 vcc, exec, s[4:5]
	s_cbranch_vccnz .LBB15_1258
; %bb.1257:
	global_load_dword v6, v[0:1], off
	s_waitcnt vmcnt(0)
	v_cvt_f32_f16_e32 v6, v6
.LBB15_1258:
	s_mov_b64 s[4:5], 0
.LBB15_1259:
	s_andn2_b64 vcc, exec, s[4:5]
	s_cbranch_vccnz .LBB15_1270
; %bb.1260:
	v_cmp_gt_i16_e32 vcc, 6, v5
	s_cbranch_vccnz .LBB15_1263
; %bb.1261:
	v_cmp_lt_i16_e32 vcc, 6, v5
	s_cbranch_vccz .LBB15_1264
; %bb.1262:
	global_load_dwordx2 v[8:9], v[0:1], off
	s_mov_b64 s[4:5], 0
	s_waitcnt vmcnt(0)
	v_cvt_f32_f64_e32 v6, v[8:9]
	s_branch .LBB15_1265
.LBB15_1263:
	s_mov_b64 s[4:5], -1
                                        ; implicit-def: $vgpr6
	s_branch .LBB15_1268
.LBB15_1264:
	s_mov_b64 s[4:5], -1
                                        ; implicit-def: $vgpr6
.LBB15_1265:
	s_andn2_b64 vcc, exec, s[4:5]
	s_cbranch_vccnz .LBB15_1267
; %bb.1266:
	global_load_dword v6, v[0:1], off
.LBB15_1267:
	s_mov_b64 s[4:5], 0
.LBB15_1268:
	s_andn2_b64 vcc, exec, s[4:5]
	s_cbranch_vccnz .LBB15_1270
; %bb.1269:
	global_load_ushort v6, v[0:1], off
	s_waitcnt vmcnt(0)
	v_cvt_f32_f16_e32 v6, v6
.LBB15_1270:
	s_cbranch_execnz .LBB15_1290
.LBB15_1271:
	v_cmp_gt_i16_e32 vcc, 2, v5
	s_cbranch_vccnz .LBB15_1275
; %bb.1272:
	v_cmp_gt_i16_e32 vcc, 3, v5
	s_cbranch_vccnz .LBB15_1276
; %bb.1273:
	v_cmp_lt_i16_e32 vcc, 3, v5
	s_cbranch_vccz .LBB15_1277
; %bb.1274:
	global_load_dwordx2 v[8:9], v[0:1], off
	s_mov_b64 s[4:5], 0
	s_waitcnt vmcnt(0)
	v_xor_b32_e32 v10, v8, v9
	v_ffbh_i32_e32 v6, v9
	v_ashrrev_i32_e32 v10, 31, v10
	v_add_u32_e32 v6, -1, v6
	v_add_u32_e32 v10, 32, v10
	v_min_u32_e32 v6, v6, v10
	v_lshlrev_b64 v[8:9], v6, v[8:9]
	v_min_u32_e32 v8, 1, v8
	v_or_b32_e32 v8, v9, v8
	v_cvt_f32_i32_e32 v8, v8
	v_sub_u32_e32 v6, 32, v6
	v_ldexp_f32 v6, v8, v6
	s_branch .LBB15_1278
.LBB15_1275:
	s_mov_b64 s[4:5], -1
                                        ; implicit-def: $vgpr6
	s_branch .LBB15_1284
.LBB15_1276:
	s_mov_b64 s[4:5], -1
                                        ; implicit-def: $vgpr6
	s_branch .LBB15_1281
.LBB15_1277:
	s_mov_b64 s[4:5], -1
                                        ; implicit-def: $vgpr6
.LBB15_1278:
	s_andn2_b64 vcc, exec, s[4:5]
	s_cbranch_vccnz .LBB15_1280
; %bb.1279:
	global_load_dword v6, v[0:1], off
	s_waitcnt vmcnt(0)
	v_cvt_f32_i32_e32 v6, v6
.LBB15_1280:
	s_mov_b64 s[4:5], 0
.LBB15_1281:
	s_andn2_b64 vcc, exec, s[4:5]
	s_cbranch_vccnz .LBB15_1283
; %bb.1282:
	global_load_sshort v6, v[0:1], off
	s_waitcnt vmcnt(0)
	v_cvt_f32_i32_e32 v6, v6
.LBB15_1283:
	s_mov_b64 s[4:5], 0
.LBB15_1284:
	s_andn2_b64 vcc, exec, s[4:5]
	s_cbranch_vccnz .LBB15_1290
; %bb.1285:
	v_cmp_lt_i16_e32 vcc, 0, v5
	s_cbranch_vccz .LBB15_1287
; %bb.1286:
	global_load_sbyte v6, v[0:1], off
	s_mov_b64 s[4:5], 0
	s_waitcnt vmcnt(0)
	v_cvt_f32_i32_e32 v6, v6
	s_branch .LBB15_1288
.LBB15_1287:
	s_mov_b64 s[4:5], -1
                                        ; implicit-def: $vgpr6
.LBB15_1288:
	s_andn2_b64 vcc, exec, s[4:5]
	s_cbranch_vccnz .LBB15_1290
; %bb.1289:
	global_load_ubyte v0, v[0:1], off
	s_waitcnt vmcnt(0)
	v_cvt_f32_ubyte0_e32 v6, v0
.LBB15_1290:
.LBB15_1291:
	s_mov_b32 s4, 0x7f800000
	s_waitcnt vmcnt(0)
	v_cmp_nlg_f32_e64 s[20:21], |v6|, s4
	v_mov_b32_e32 v9, v3
	s_and_saveexec_b64 s[4:5], s[20:21]
	s_cbranch_execz .LBB15_1293
; %bb.1292:
	v_mov_b32_e32 v0, 0
	v_mov_b32_e32 v1, 1.0
	global_store_dword v0, v1, s[12:13]
	global_load_dword v9, v0, s[14:15]
.LBB15_1293:
	s_or_b64 exec, exec, s[4:5]
	v_add_u32_e32 v8, s3, v7
	v_ashrrev_i32_e32 v1, 31, v8
	v_mov_b32_e32 v7, s11
	v_add_co_u32_e32 v0, vcc, s10, v8
	v_addc_co_u32_e32 v1, vcc, v7, v1, vcc
	s_and_b64 vcc, exec, s[0:1]
	s_cbranch_vccnz .LBB15_1300
; %bb.1294:
	v_cmp_lt_i16_e32 vcc, 25, v5
	s_mov_b64 s[20:21], 0
	s_cbranch_vccz .LBB15_1302
; %bb.1295:
	v_cmp_lt_i16_e32 vcc, 28, v5
	s_cbranch_vccz .LBB15_1303
; %bb.1296:
	v_cmp_lt_i16_e32 vcc, 43, v5
	;; [unrolled: 3-line block ×3, first 2 shown]
	s_cbranch_vccz .LBB15_1306
; %bb.1298:
	v_cmp_eq_u16_e32 vcc, 46, v5
	s_mov_b64 s[24:25], 0
	s_cbranch_vccz .LBB15_1307
; %bb.1299:
	global_load_dword v7, v[0:1], off
	s_mov_b64 s[4:5], 0
	s_mov_b64 s[22:23], -1
	s_waitcnt vmcnt(0)
	v_lshlrev_b32_e32 v7, 16, v7
	s_branch .LBB15_1308
.LBB15_1300:
	s_mov_b64 s[22:23], 0
                                        ; implicit-def: $vgpr7
	s_cbranch_execnz .LBB15_1374
.LBB15_1301:
	s_andn2_b64 vcc, exec, s[22:23]
	s_cbranch_vccnz .LBB15_2009
	s_branch .LBB15_1422
.LBB15_1302:
	s_mov_b64 s[24:25], -1
	s_mov_b64 s[22:23], 0
	s_mov_b64 s[4:5], 0
                                        ; implicit-def: $vgpr7
	s_branch .LBB15_1337
.LBB15_1303:
	s_mov_b64 s[24:25], -1
	s_mov_b64 s[22:23], 0
	s_mov_b64 s[4:5], 0
                                        ; implicit-def: $vgpr7
	s_branch .LBB15_1318
.LBB15_1304:
	s_mov_b64 s[24:25], -1
	s_mov_b64 s[22:23], 0
	s_mov_b64 s[4:5], 0
                                        ; implicit-def: $vgpr7
	s_branch .LBB15_1313
.LBB15_1305:
	s_trap 2
	s_or_b64 s[18:19], s[18:19], exec
                                        ; implicit-def: $vgpr6
	s_cbranch_execz .LBB15_1242
	s_branch .LBB15_1243
.LBB15_1306:
	s_mov_b64 s[24:25], -1
	s_mov_b64 s[22:23], 0
	s_mov_b64 s[4:5], 0
                                        ; implicit-def: $vgpr7
	s_branch .LBB15_1308
.LBB15_1307:
	s_mov_b64 s[4:5], -1
                                        ; implicit-def: $vgpr7
	s_mov_b64 s[22:23], 0
.LBB15_1308:
	s_and_b64 vcc, exec, s[24:25]
	s_cbranch_vccz .LBB15_1312
; %bb.1309:
	v_cmp_eq_u16_e32 vcc, 44, v5
	s_cbranch_vccz .LBB15_1311
; %bb.1310:
	global_load_ubyte v7, v[0:1], off
	s_movk_i32 s22, 0xff
	v_mov_b32_e32 v10, 0x7f800001
	v_mov_b32_e32 v11, 0x400000
	s_mov_b64 s[4:5], 0
	s_waitcnt vmcnt(0)
	v_lshlrev_b32_e32 v12, 23, v7
	v_cmp_ne_u32_e32 vcc, s22, v7
	v_cndmask_b32_e32 v10, v10, v12, vcc
	v_cmp_ne_u32_e32 vcc, 0, v7
	v_cndmask_b32_e32 v7, v11, v10, vcc
	s_mov_b64 s[22:23], -1
	s_branch .LBB15_1312
.LBB15_1311:
	s_mov_b64 s[4:5], -1
                                        ; implicit-def: $vgpr7
.LBB15_1312:
	s_mov_b64 s[24:25], 0
.LBB15_1313:
	s_and_b64 vcc, exec, s[24:25]
	s_cbranch_vccz .LBB15_1317
; %bb.1314:
	v_cmp_eq_u16_e32 vcc, 29, v5
	s_cbranch_vccz .LBB15_1316
; %bb.1315:
	global_load_dwordx2 v[10:11], v[0:1], off
	s_mov_b64 s[4:5], 0
	s_mov_b64 s[22:23], -1
	s_mov_b64 s[24:25], 0
	s_waitcnt vmcnt(0)
	v_ffbh_u32_e32 v7, v11
	v_min_u32_e32 v7, 32, v7
	v_lshlrev_b64 v[10:11], v7, v[10:11]
	v_min_u32_e32 v10, 1, v10
	v_or_b32_e32 v10, v11, v10
	v_cvt_f32_u32_e32 v10, v10
	v_sub_u32_e32 v7, 32, v7
	v_ldexp_f32 v7, v10, v7
	s_branch .LBB15_1318
.LBB15_1316:
	s_mov_b64 s[4:5], -1
                                        ; implicit-def: $vgpr7
.LBB15_1317:
	s_mov_b64 s[24:25], 0
.LBB15_1318:
	s_and_b64 vcc, exec, s[24:25]
	s_cbranch_vccz .LBB15_1336
; %bb.1319:
	v_cmp_gt_i16_e32 vcc, 27, v5
	s_cbranch_vccnz .LBB15_1322
; %bb.1320:
	v_cmp_lt_i16_e32 vcc, 27, v5
	s_cbranch_vccz .LBB15_1323
; %bb.1321:
	global_load_dword v7, v[0:1], off
	s_mov_b64 s[22:23], 0
	s_waitcnt vmcnt(0)
	v_cvt_f32_u32_e32 v7, v7
	s_branch .LBB15_1324
.LBB15_1322:
	s_mov_b64 s[22:23], -1
                                        ; implicit-def: $vgpr7
	s_branch .LBB15_1327
.LBB15_1323:
	s_mov_b64 s[22:23], -1
                                        ; implicit-def: $vgpr7
.LBB15_1324:
	s_andn2_b64 vcc, exec, s[22:23]
	s_cbranch_vccnz .LBB15_1326
; %bb.1325:
	global_load_ushort v7, v[0:1], off
	s_waitcnt vmcnt(0)
	v_cvt_f32_u32_e32 v7, v7
.LBB15_1326:
	s_mov_b64 s[22:23], 0
.LBB15_1327:
	s_andn2_b64 vcc, exec, s[22:23]
	s_cbranch_vccnz .LBB15_1335
; %bb.1328:
	global_load_ubyte v10, v[0:1], off
	s_movk_i32 s22, 0x7f
                                        ; implicit-def: $sgpr28
	s_waitcnt vmcnt(0)
	v_cmp_lt_i16_e32 vcc, s22, v10
	s_mov_b64 s[22:23], 0
	s_and_saveexec_b64 s[24:25], vcc
	s_xor_b64 s[24:25], exec, s[24:25]
	s_cbranch_execz .LBB15_1349
; %bb.1329:
	s_movk_i32 s22, 0x80
	v_cmp_eq_u16_e32 vcc, s22, v10
	s_mov_b64 s[22:23], -1
                                        ; implicit-def: $sgpr28
	s_and_saveexec_b64 s[26:27], vcc
; %bb.1330:
	s_mov_b32 s28, 0x7f800001
	s_xor_b64 s[22:23], exec, -1
; %bb.1331:
	s_or_b64 exec, exec, s[26:27]
	s_and_b64 s[22:23], s[22:23], exec
	s_or_saveexec_b64 s[24:25], s[24:25]
	v_mov_b32_e32 v7, s28
	s_xor_b64 exec, exec, s[24:25]
	s_cbranch_execnz .LBB15_1350
.LBB15_1332:
	s_or_b64 exec, exec, s[24:25]
	s_and_saveexec_b64 s[24:25], s[22:23]
	s_cbranch_execz .LBB15_1334
.LBB15_1333:
	v_lshlrev_b32_e32 v7, 24, v10
	v_and_b32_e32 v10, 0xffff, v10
	v_and_b32_e32 v11, 7, v10
	v_ffbh_u32_e32 v13, v11
	v_min_u32_e32 v13, 32, v13
	v_subrev_u32_e32 v14, 28, v13
	v_bfe_u32 v12, v10, 3, 4
	v_lshlrev_b32_e32 v10, v14, v10
	v_sub_u32_e32 v13, 29, v13
	v_and_b32_e32 v10, 7, v10
	v_cmp_eq_u32_e32 vcc, 0, v12
	v_cndmask_b32_e32 v12, v12, v13, vcc
	v_cndmask_b32_e32 v10, v11, v10, vcc
	v_mov_b32_e32 v11, 0x3b800000
	v_lshlrev_b32_e32 v10, 20, v10
	v_and_b32_e32 v7, 0x80000000, v7
	v_lshl_add_u32 v11, v12, 23, v11
	v_or3_b32 v7, v7, v11, v10
.LBB15_1334:
	s_or_b64 exec, exec, s[24:25]
.LBB15_1335:
	s_mov_b64 s[22:23], -1
.LBB15_1336:
	s_mov_b64 s[24:25], 0
.LBB15_1337:
	s_and_b64 vcc, exec, s[24:25]
	s_cbranch_vccz .LBB15_1370
; %bb.1338:
	v_cmp_lt_i16_e32 vcc, 22, v5
	s_cbranch_vccz .LBB15_1348
; %bb.1339:
	v_cmp_gt_i16_e32 vcc, 24, v5
	s_cbranch_vccnz .LBB15_1351
; %bb.1340:
	v_cmp_lt_i16_e32 vcc, 24, v5
	s_cbranch_vccz .LBB15_1352
; %bb.1341:
	global_load_ubyte v10, v[0:1], off
	s_movk_i32 s20, 0x7f
                                        ; implicit-def: $sgpr26
	s_waitcnt vmcnt(0)
	v_cmp_lt_i16_e32 vcc, s20, v10
	s_mov_b64 s[20:21], 0
	s_and_saveexec_b64 s[22:23], vcc
	s_xor_b64 s[22:23], exec, s[22:23]
	s_cbranch_execz .LBB15_1364
; %bb.1342:
	s_movk_i32 s20, 0x80
	v_cmp_eq_u16_e32 vcc, s20, v10
	s_mov_b64 s[20:21], -1
                                        ; implicit-def: $sgpr26
	s_and_saveexec_b64 s[24:25], vcc
; %bb.1343:
	s_mov_b32 s26, 0x7f800001
	s_xor_b64 s[20:21], exec, -1
; %bb.1344:
	s_or_b64 exec, exec, s[24:25]
	s_and_b64 s[20:21], s[20:21], exec
	s_or_saveexec_b64 s[22:23], s[22:23]
	v_mov_b32_e32 v7, s26
	s_xor_b64 exec, exec, s[22:23]
	s_cbranch_execnz .LBB15_1365
.LBB15_1345:
	s_or_b64 exec, exec, s[22:23]
	s_and_saveexec_b64 s[22:23], s[20:21]
	s_cbranch_execz .LBB15_1347
.LBB15_1346:
	v_lshlrev_b32_e32 v7, 24, v10
	v_and_b32_e32 v10, 0xffff, v10
	v_and_b32_e32 v11, 3, v10
	v_ffbh_u32_e32 v13, v11
	v_min_u32_e32 v13, 32, v13
	v_subrev_u32_e32 v14, 29, v13
	v_bfe_u32 v12, v10, 2, 5
	v_lshlrev_b32_e32 v10, v14, v10
	v_sub_u32_e32 v13, 30, v13
	v_and_b32_e32 v10, 3, v10
	v_cmp_eq_u32_e32 vcc, 0, v12
	v_cndmask_b32_e32 v12, v12, v13, vcc
	v_cndmask_b32_e32 v10, v11, v10, vcc
	v_mov_b32_e32 v11, 0x37800000
	v_lshlrev_b32_e32 v10, 21, v10
	v_and_b32_e32 v7, 0x80000000, v7
	v_lshl_add_u32 v11, v12, 23, v11
	v_or3_b32 v7, v7, v11, v10
.LBB15_1347:
	s_or_b64 exec, exec, s[22:23]
	s_mov_b64 s[20:21], 0
	s_branch .LBB15_1353
.LBB15_1348:
	s_mov_b64 s[20:21], -1
                                        ; implicit-def: $vgpr7
	s_branch .LBB15_1359
.LBB15_1349:
	s_or_saveexec_b64 s[24:25], s[24:25]
	v_mov_b32_e32 v7, s28
	s_xor_b64 exec, exec, s[24:25]
	s_cbranch_execz .LBB15_1332
.LBB15_1350:
	v_cmp_ne_u16_e32 vcc, 0, v10
	s_andn2_b64 s[22:23], s[22:23], exec
	s_and_b64 s[26:27], vcc, exec
	v_mov_b32_e32 v7, 0
	s_or_b64 s[22:23], s[22:23], s[26:27]
	s_or_b64 exec, exec, s[24:25]
	s_and_saveexec_b64 s[24:25], s[22:23]
	s_cbranch_execnz .LBB15_1333
	s_branch .LBB15_1334
.LBB15_1351:
	s_mov_b64 s[20:21], -1
                                        ; implicit-def: $vgpr7
	s_branch .LBB15_1356
.LBB15_1352:
	s_mov_b64 s[20:21], -1
                                        ; implicit-def: $vgpr7
.LBB15_1353:
	s_and_b64 vcc, exec, s[20:21]
	s_cbranch_vccz .LBB15_1355
; %bb.1354:
	global_load_ubyte v7, v[0:1], off
	s_mov_b32 s20, 0x7f800000
	s_waitcnt vmcnt(0)
	v_lshlrev_b32_e32 v7, 24, v7
	v_and_b32_e32 v10, 0x7f000000, v7
	v_ffbh_u32_e32 v11, v10
	v_min_u32_e32 v11, 32, v11
	v_sub_u32_e64 v11, v11, 4 clamp
	v_lshlrev_b32_e32 v13, v11, v10
	v_lshlrev_b32_e32 v11, 23, v11
	v_lshrrev_b32_e32 v13, 4, v13
	v_add_u32_e32 v12, 0x1000000, v10
	v_sub_u32_e32 v11, v13, v11
	v_ashrrev_i32_e32 v12, 8, v12
	v_add_u32_e32 v11, 0x3c000000, v11
	v_and_or_b32 v11, v12, s20, v11
	v_cmp_ne_u32_e32 vcc, 0, v10
	v_cndmask_b32_e32 v10, 0, v11, vcc
	s_brev_b32 s20, 1
	v_and_or_b32 v7, v7, s20, v10
.LBB15_1355:
	s_mov_b64 s[20:21], 0
.LBB15_1356:
	s_andn2_b64 vcc, exec, s[20:21]
	s_cbranch_vccnz .LBB15_1358
; %bb.1357:
	global_load_ubyte v7, v[0:1], off
	s_movk_i32 s20, 0x7f00
	s_brev_b32 s21, 16
	s_waitcnt vmcnt(0)
	v_lshlrev_b16_e32 v10, 8, v7
	v_lshlrev_b32_e32 v7, 25, v7
	v_lshrrev_b32_e32 v11, 4, v7
	v_and_or_b32 v12, v10, s20, 0.5
	v_or_b32_e32 v11, 0x70000000, v11
	v_add_f32_e32 v12, -0.5, v12
	v_mul_f32_e32 v11, 0x7800000, v11
	v_cmp_gt_u32_e32 vcc, s21, v7
	v_bfe_i32 v10, v10, 0, 16
	v_cndmask_b32_e32 v7, v11, v12, vcc
	s_brev_b32 s20, 1
	v_and_or_b32 v7, v10, s20, v7
.LBB15_1358:
	s_mov_b64 s[20:21], 0
	s_mov_b64 s[22:23], -1
.LBB15_1359:
	s_andn2_b64 vcc, exec, s[20:21]
	s_mov_b64 s[20:21], 0
	s_cbranch_vccnz .LBB15_1370
; %bb.1360:
	v_cmp_lt_i16_e32 vcc, 14, v5
	s_cbranch_vccz .LBB15_1363
; %bb.1361:
	v_cmp_eq_u16_e32 vcc, 15, v5
	s_cbranch_vccz .LBB15_1366
; %bb.1362:
	global_load_ushort v7, v[0:1], off
	s_mov_b64 s[4:5], 0
	s_mov_b64 s[22:23], -1
	s_waitcnt vmcnt(0)
	v_lshlrev_b32_e32 v7, 16, v7
	s_branch .LBB15_1367
.LBB15_1363:
	s_mov_b64 s[24:25], -1
                                        ; implicit-def: $vgpr7
	s_branch .LBB15_1368
.LBB15_1364:
	s_or_saveexec_b64 s[22:23], s[22:23]
	v_mov_b32_e32 v7, s26
	s_xor_b64 exec, exec, s[22:23]
	s_cbranch_execz .LBB15_1345
.LBB15_1365:
	v_cmp_ne_u16_e32 vcc, 0, v10
	s_andn2_b64 s[20:21], s[20:21], exec
	s_and_b64 s[24:25], vcc, exec
	v_mov_b32_e32 v7, 0
	s_or_b64 s[20:21], s[20:21], s[24:25]
	s_or_b64 exec, exec, s[22:23]
	s_and_saveexec_b64 s[22:23], s[20:21]
	s_cbranch_execnz .LBB15_1346
	s_branch .LBB15_1347
.LBB15_1366:
	s_mov_b64 s[4:5], -1
                                        ; implicit-def: $vgpr7
.LBB15_1367:
	s_mov_b64 s[24:25], 0
.LBB15_1368:
	s_and_b64 vcc, exec, s[24:25]
	s_cbranch_vccz .LBB15_1370
; %bb.1369:
	v_cmp_ne_u16_e64 s[4:5], 11, v5
	s_mov_b64 s[20:21], -1
                                        ; implicit-def: $vgpr7
.LBB15_1370:
	s_and_b64 vcc, exec, s[4:5]
	s_cbranch_vccnz .LBB15_1435
; %bb.1371:
	s_andn2_b64 vcc, exec, s[20:21]
	s_cbranch_vccnz .LBB15_1373
.LBB15_1372:
	global_load_ubyte v7, v[0:1], off
	s_mov_b64 s[22:23], -1
	s_waitcnt vmcnt(0)
	v_cmp_ne_u16_e32 vcc, 0, v7
	v_cndmask_b32_e64 v7, 0, 1.0, vcc
.LBB15_1373:
	s_branch .LBB15_1301
.LBB15_1374:
	v_cmp_gt_i16_e32 vcc, 5, v5
	s_cbranch_vccnz .LBB15_1379
; %bb.1375:
	v_cmp_gt_i16_e32 vcc, 8, v5
	s_cbranch_vccnz .LBB15_1380
; %bb.1376:
	;; [unrolled: 3-line block ×3, first 2 shown]
	v_cmp_lt_i16_e32 vcc, 9, v5
	s_cbranch_vccz .LBB15_1382
; %bb.1378:
	global_load_dwordx2 v[10:11], v[0:1], off
	s_mov_b64 s[4:5], 0
	s_waitcnt vmcnt(0)
	v_cvt_f32_f64_e32 v7, v[10:11]
	s_branch .LBB15_1383
.LBB15_1379:
	s_mov_b64 s[4:5], -1
                                        ; implicit-def: $vgpr7
	s_branch .LBB15_1401
.LBB15_1380:
	s_mov_b64 s[4:5], -1
                                        ; implicit-def: $vgpr7
	s_branch .LBB15_1389
.LBB15_1381:
	s_mov_b64 s[4:5], -1
                                        ; implicit-def: $vgpr7
	s_branch .LBB15_1386
.LBB15_1382:
	s_mov_b64 s[4:5], -1
                                        ; implicit-def: $vgpr7
.LBB15_1383:
	s_andn2_b64 vcc, exec, s[4:5]
	s_cbranch_vccnz .LBB15_1385
; %bb.1384:
	global_load_dword v7, v[0:1], off
.LBB15_1385:
	s_mov_b64 s[4:5], 0
.LBB15_1386:
	s_andn2_b64 vcc, exec, s[4:5]
	s_cbranch_vccnz .LBB15_1388
; %bb.1387:
	global_load_dword v7, v[0:1], off
	s_waitcnt vmcnt(0)
	v_cvt_f32_f16_e32 v7, v7
.LBB15_1388:
	s_mov_b64 s[4:5], 0
.LBB15_1389:
	s_andn2_b64 vcc, exec, s[4:5]
	s_cbranch_vccnz .LBB15_1400
; %bb.1390:
	v_cmp_gt_i16_e32 vcc, 6, v5
	s_cbranch_vccnz .LBB15_1393
; %bb.1391:
	v_cmp_lt_i16_e32 vcc, 6, v5
	s_cbranch_vccz .LBB15_1394
; %bb.1392:
	global_load_dwordx2 v[10:11], v[0:1], off
	s_mov_b64 s[4:5], 0
	s_waitcnt vmcnt(0)
	v_cvt_f32_f64_e32 v7, v[10:11]
	s_branch .LBB15_1395
.LBB15_1393:
	s_mov_b64 s[4:5], -1
                                        ; implicit-def: $vgpr7
	s_branch .LBB15_1398
.LBB15_1394:
	s_mov_b64 s[4:5], -1
                                        ; implicit-def: $vgpr7
.LBB15_1395:
	s_andn2_b64 vcc, exec, s[4:5]
	s_cbranch_vccnz .LBB15_1397
; %bb.1396:
	global_load_dword v7, v[0:1], off
.LBB15_1397:
	s_mov_b64 s[4:5], 0
.LBB15_1398:
	s_andn2_b64 vcc, exec, s[4:5]
	s_cbranch_vccnz .LBB15_1400
; %bb.1399:
	global_load_ushort v7, v[0:1], off
	s_waitcnt vmcnt(0)
	v_cvt_f32_f16_e32 v7, v7
.LBB15_1400:
	s_mov_b64 s[4:5], 0
.LBB15_1401:
	s_andn2_b64 vcc, exec, s[4:5]
	s_cbranch_vccnz .LBB15_1421
; %bb.1402:
	v_cmp_gt_i16_e32 vcc, 2, v5
	s_cbranch_vccnz .LBB15_1406
; %bb.1403:
	v_cmp_gt_i16_e32 vcc, 3, v5
	s_cbranch_vccnz .LBB15_1407
; %bb.1404:
	v_cmp_lt_i16_e32 vcc, 3, v5
	s_cbranch_vccz .LBB15_1408
; %bb.1405:
	global_load_dwordx2 v[10:11], v[0:1], off
	s_mov_b64 s[4:5], 0
	s_waitcnt vmcnt(0)
	v_xor_b32_e32 v12, v10, v11
	v_ffbh_i32_e32 v7, v11
	v_ashrrev_i32_e32 v12, 31, v12
	v_add_u32_e32 v7, -1, v7
	v_add_u32_e32 v12, 32, v12
	v_min_u32_e32 v7, v7, v12
	v_lshlrev_b64 v[10:11], v7, v[10:11]
	v_min_u32_e32 v10, 1, v10
	v_or_b32_e32 v10, v11, v10
	v_cvt_f32_i32_e32 v10, v10
	v_sub_u32_e32 v7, 32, v7
	v_ldexp_f32 v7, v10, v7
	s_branch .LBB15_1409
.LBB15_1406:
	s_mov_b64 s[4:5], -1
                                        ; implicit-def: $vgpr7
	s_branch .LBB15_1415
.LBB15_1407:
	s_mov_b64 s[4:5], -1
                                        ; implicit-def: $vgpr7
	s_branch .LBB15_1412
.LBB15_1408:
	s_mov_b64 s[4:5], -1
                                        ; implicit-def: $vgpr7
.LBB15_1409:
	s_andn2_b64 vcc, exec, s[4:5]
	s_cbranch_vccnz .LBB15_1411
; %bb.1410:
	global_load_dword v7, v[0:1], off
	s_waitcnt vmcnt(0)
	v_cvt_f32_i32_e32 v7, v7
.LBB15_1411:
	s_mov_b64 s[4:5], 0
.LBB15_1412:
	s_andn2_b64 vcc, exec, s[4:5]
	s_cbranch_vccnz .LBB15_1414
; %bb.1413:
	global_load_sshort v7, v[0:1], off
	s_waitcnt vmcnt(0)
	v_cvt_f32_i32_e32 v7, v7
.LBB15_1414:
	s_mov_b64 s[4:5], 0
.LBB15_1415:
	s_andn2_b64 vcc, exec, s[4:5]
	s_cbranch_vccnz .LBB15_1421
; %bb.1416:
	v_cmp_lt_i16_e32 vcc, 0, v5
	s_cbranch_vccz .LBB15_1418
; %bb.1417:
	global_load_sbyte v7, v[0:1], off
	s_mov_b64 s[4:5], 0
	s_waitcnt vmcnt(0)
	v_cvt_f32_i32_e32 v7, v7
	s_branch .LBB15_1419
.LBB15_1418:
	s_mov_b64 s[4:5], -1
                                        ; implicit-def: $vgpr7
.LBB15_1419:
	s_andn2_b64 vcc, exec, s[4:5]
	s_cbranch_vccnz .LBB15_1421
; %bb.1420:
	global_load_ubyte v0, v[0:1], off
	s_waitcnt vmcnt(0)
	v_cvt_f32_ubyte0_e32 v7, v0
.LBB15_1421:
.LBB15_1422:
	s_mov_b32 s4, 0x7f800000
	s_waitcnt vmcnt(0)
	v_cmp_nlg_f32_e64 s[20:21], |v7|, s4
	v_mov_b32_e32 v10, v9
	s_and_saveexec_b64 s[4:5], s[20:21]
	s_cbranch_execz .LBB15_1424
; %bb.1423:
	v_mov_b32_e32 v0, 0
	v_mov_b32_e32 v1, 1.0
	global_store_dword v0, v1, s[12:13]
	global_load_dword v10, v0, s[14:15]
.LBB15_1424:
	s_or_b64 exec, exec, s[4:5]
	v_add_u32_e32 v0, s3, v8
	v_ashrrev_i32_e32 v1, 31, v0
	v_mov_b32_e32 v8, s11
	v_add_co_u32_e32 v0, vcc, s10, v0
	v_addc_co_u32_e32 v1, vcc, v8, v1, vcc
	s_and_b64 vcc, exec, s[0:1]
	s_cbranch_vccnz .LBB15_1431
; %bb.1425:
	v_cmp_lt_i16_e32 vcc, 25, v5
	s_mov_b64 s[4:5], 0
	s_cbranch_vccz .LBB15_1432
; %bb.1426:
	v_cmp_lt_i16_e32 vcc, 28, v5
	s_cbranch_vccz .LBB15_1433
; %bb.1427:
	v_cmp_lt_i16_e32 vcc, 43, v5
	;; [unrolled: 3-line block ×3, first 2 shown]
	s_cbranch_vccz .LBB15_1436
; %bb.1429:
	v_cmp_eq_u16_e32 vcc, 46, v5
	s_mov_b64 s[20:21], 0
	s_cbranch_vccz .LBB15_1437
; %bb.1430:
	global_load_dword v8, v[0:1], off
	s_mov_b64 s[0:1], 0
	s_mov_b64 s[10:11], -1
	s_waitcnt vmcnt(0)
	v_lshlrev_b32_e32 v8, 16, v8
	s_branch .LBB15_1438
.LBB15_1431:
	s_mov_b64 s[0:1], -1
	s_mov_b64 s[10:11], 0
                                        ; implicit-def: $vgpr8
	s_branch .LBB15_1504
.LBB15_1432:
	s_mov_b64 s[20:21], -1
	s_mov_b64 s[10:11], 0
	s_mov_b64 s[0:1], 0
                                        ; implicit-def: $vgpr8
	s_branch .LBB15_1467
.LBB15_1433:
	s_mov_b64 s[20:21], -1
	s_mov_b64 s[10:11], 0
	s_mov_b64 s[0:1], 0
                                        ; implicit-def: $vgpr8
	s_branch .LBB15_1448
.LBB15_1434:
	s_mov_b64 s[20:21], -1
	s_mov_b64 s[10:11], 0
	s_mov_b64 s[0:1], 0
                                        ; implicit-def: $vgpr8
	s_branch .LBB15_1443
.LBB15_1435:
	s_trap 2
	s_or_b64 s[18:19], s[18:19], exec
                                        ; implicit-def: $vgpr7
	s_cbranch_execz .LBB15_1372
	s_branch .LBB15_1373
.LBB15_1436:
	s_mov_b64 s[20:21], -1
	s_mov_b64 s[10:11], 0
	s_mov_b64 s[0:1], 0
                                        ; implicit-def: $vgpr8
	s_branch .LBB15_1438
.LBB15_1437:
	s_mov_b64 s[0:1], -1
                                        ; implicit-def: $vgpr8
	s_mov_b64 s[10:11], 0
.LBB15_1438:
	s_and_b64 vcc, exec, s[20:21]
	s_cbranch_vccz .LBB15_1442
; %bb.1439:
	v_cmp_eq_u16_e32 vcc, 44, v5
	s_cbranch_vccz .LBB15_1441
; %bb.1440:
	global_load_ubyte v8, v[0:1], off
	s_movk_i32 s3, 0xff
	v_mov_b32_e32 v11, 0x7f800001
	v_mov_b32_e32 v12, 0x400000
	s_mov_b64 s[0:1], 0
	s_mov_b64 s[10:11], -1
	s_waitcnt vmcnt(0)
	v_lshlrev_b32_e32 v13, 23, v8
	v_cmp_ne_u32_e32 vcc, s3, v8
	v_cndmask_b32_e32 v11, v11, v13, vcc
	v_cmp_ne_u32_e32 vcc, 0, v8
	v_cndmask_b32_e32 v8, v12, v11, vcc
	s_branch .LBB15_1442
.LBB15_1441:
	s_mov_b64 s[0:1], -1
                                        ; implicit-def: $vgpr8
.LBB15_1442:
	s_mov_b64 s[20:21], 0
.LBB15_1443:
	s_and_b64 vcc, exec, s[20:21]
	s_cbranch_vccz .LBB15_1447
; %bb.1444:
	v_cmp_eq_u16_e32 vcc, 29, v5
	s_cbranch_vccz .LBB15_1446
; %bb.1445:
	global_load_dwordx2 v[12:13], v[0:1], off
	s_mov_b64 s[0:1], 0
	s_mov_b64 s[10:11], -1
	s_mov_b64 s[20:21], 0
	s_waitcnt vmcnt(0)
	v_ffbh_u32_e32 v8, v13
	v_min_u32_e32 v8, 32, v8
	v_lshlrev_b64 v[12:13], v8, v[12:13]
	v_min_u32_e32 v11, 1, v12
	v_or_b32_e32 v11, v13, v11
	v_cvt_f32_u32_e32 v11, v11
	v_sub_u32_e32 v8, 32, v8
	v_ldexp_f32 v8, v11, v8
	s_branch .LBB15_1448
.LBB15_1446:
	s_mov_b64 s[0:1], -1
                                        ; implicit-def: $vgpr8
.LBB15_1447:
	s_mov_b64 s[20:21], 0
.LBB15_1448:
	s_and_b64 vcc, exec, s[20:21]
	s_cbranch_vccz .LBB15_1466
; %bb.1449:
	v_cmp_gt_i16_e32 vcc, 27, v5
	s_cbranch_vccnz .LBB15_1452
; %bb.1450:
	v_cmp_lt_i16_e32 vcc, 27, v5
	s_cbranch_vccz .LBB15_1453
; %bb.1451:
	global_load_dword v8, v[0:1], off
	s_mov_b64 s[10:11], 0
	s_waitcnt vmcnt(0)
	v_cvt_f32_u32_e32 v8, v8
	s_branch .LBB15_1454
.LBB15_1452:
	s_mov_b64 s[10:11], -1
                                        ; implicit-def: $vgpr8
	s_branch .LBB15_1457
.LBB15_1453:
	s_mov_b64 s[10:11], -1
                                        ; implicit-def: $vgpr8
.LBB15_1454:
	s_andn2_b64 vcc, exec, s[10:11]
	s_cbranch_vccnz .LBB15_1456
; %bb.1455:
	global_load_ushort v8, v[0:1], off
	s_waitcnt vmcnt(0)
	v_cvt_f32_u32_e32 v8, v8
.LBB15_1456:
	s_mov_b64 s[10:11], 0
.LBB15_1457:
	s_andn2_b64 vcc, exec, s[10:11]
	s_cbranch_vccnz .LBB15_1465
; %bb.1458:
	global_load_ubyte v11, v[0:1], off
	s_movk_i32 s3, 0x7f
	s_mov_b64 s[10:11], 0
	s_waitcnt vmcnt(0)
	v_cmp_lt_i16_e32 vcc, s3, v11
                                        ; implicit-def: $sgpr3
	s_and_saveexec_b64 s[20:21], vcc
	s_xor_b64 s[20:21], exec, s[20:21]
	s_cbranch_execz .LBB15_1479
; %bb.1459:
	s_movk_i32 s3, 0x80
	v_cmp_eq_u16_e32 vcc, s3, v11
	s_mov_b64 s[10:11], -1
                                        ; implicit-def: $sgpr3
	s_and_saveexec_b64 s[22:23], vcc
; %bb.1460:
	s_mov_b32 s3, 0x7f800001
	s_xor_b64 s[10:11], exec, -1
; %bb.1461:
	s_or_b64 exec, exec, s[22:23]
	s_and_b64 s[10:11], s[10:11], exec
	s_or_saveexec_b64 s[20:21], s[20:21]
	v_mov_b32_e32 v8, s3
	s_xor_b64 exec, exec, s[20:21]
	s_cbranch_execnz .LBB15_1480
.LBB15_1462:
	s_or_b64 exec, exec, s[20:21]
	s_and_saveexec_b64 s[20:21], s[10:11]
	s_cbranch_execz .LBB15_1464
.LBB15_1463:
	v_lshlrev_b32_e32 v8, 24, v11
	v_and_b32_e32 v11, 0xffff, v11
	v_and_b32_e32 v12, 7, v11
	v_ffbh_u32_e32 v14, v12
	v_min_u32_e32 v14, 32, v14
	v_subrev_u32_e32 v15, 28, v14
	v_bfe_u32 v13, v11, 3, 4
	v_lshlrev_b32_e32 v11, v15, v11
	v_sub_u32_e32 v14, 29, v14
	v_and_b32_e32 v11, 7, v11
	v_cmp_eq_u32_e32 vcc, 0, v13
	v_cndmask_b32_e32 v13, v13, v14, vcc
	v_cndmask_b32_e32 v11, v12, v11, vcc
	v_mov_b32_e32 v12, 0x3b800000
	v_lshlrev_b32_e32 v11, 20, v11
	v_and_b32_e32 v8, 0x80000000, v8
	v_lshl_add_u32 v12, v13, 23, v12
	v_or3_b32 v8, v8, v12, v11
.LBB15_1464:
	s_or_b64 exec, exec, s[20:21]
.LBB15_1465:
	s_mov_b64 s[10:11], -1
.LBB15_1466:
	s_mov_b64 s[20:21], 0
.LBB15_1467:
	s_and_b64 vcc, exec, s[20:21]
	s_cbranch_vccz .LBB15_1500
; %bb.1468:
	v_cmp_lt_i16_e32 vcc, 22, v5
	s_cbranch_vccz .LBB15_1478
; %bb.1469:
	v_cmp_gt_i16_e32 vcc, 24, v5
	s_cbranch_vccnz .LBB15_1481
; %bb.1470:
	v_cmp_lt_i16_e32 vcc, 24, v5
	s_cbranch_vccz .LBB15_1482
; %bb.1471:
	global_load_ubyte v11, v[0:1], off
	s_movk_i32 s3, 0x7f
	s_waitcnt vmcnt(0)
	v_cmp_lt_i16_e32 vcc, s3, v11
                                        ; implicit-def: $sgpr3
	s_and_saveexec_b64 s[10:11], vcc
	s_xor_b64 s[10:11], exec, s[10:11]
	s_cbranch_execz .LBB15_1494
; %bb.1472:
	s_movk_i32 s3, 0x80
	v_cmp_eq_u16_e32 vcc, s3, v11
	s_mov_b64 s[4:5], -1
                                        ; implicit-def: $sgpr3
	s_and_saveexec_b64 s[20:21], vcc
; %bb.1473:
	s_mov_b32 s3, 0x7f800001
	s_xor_b64 s[4:5], exec, -1
; %bb.1474:
	s_or_b64 exec, exec, s[20:21]
	s_and_b64 s[4:5], s[4:5], exec
	s_or_saveexec_b64 s[10:11], s[10:11]
	v_mov_b32_e32 v8, s3
	s_xor_b64 exec, exec, s[10:11]
	s_cbranch_execnz .LBB15_1495
.LBB15_1475:
	s_or_b64 exec, exec, s[10:11]
	s_and_saveexec_b64 s[10:11], s[4:5]
	s_cbranch_execz .LBB15_1477
.LBB15_1476:
	v_lshlrev_b32_e32 v8, 24, v11
	v_and_b32_e32 v11, 0xffff, v11
	v_and_b32_e32 v12, 3, v11
	v_ffbh_u32_e32 v14, v12
	v_min_u32_e32 v14, 32, v14
	v_subrev_u32_e32 v15, 29, v14
	v_bfe_u32 v13, v11, 2, 5
	v_lshlrev_b32_e32 v11, v15, v11
	v_sub_u32_e32 v14, 30, v14
	v_and_b32_e32 v11, 3, v11
	v_cmp_eq_u32_e32 vcc, 0, v13
	v_cndmask_b32_e32 v13, v13, v14, vcc
	v_cndmask_b32_e32 v11, v12, v11, vcc
	v_mov_b32_e32 v12, 0x37800000
	v_lshlrev_b32_e32 v11, 21, v11
	v_and_b32_e32 v8, 0x80000000, v8
	v_lshl_add_u32 v12, v13, 23, v12
	v_or3_b32 v8, v8, v12, v11
.LBB15_1477:
	s_or_b64 exec, exec, s[10:11]
	s_mov_b64 s[4:5], 0
	s_branch .LBB15_1483
.LBB15_1478:
	s_mov_b64 s[4:5], -1
                                        ; implicit-def: $vgpr8
	s_branch .LBB15_1489
.LBB15_1479:
	s_or_saveexec_b64 s[20:21], s[20:21]
	v_mov_b32_e32 v8, s3
	s_xor_b64 exec, exec, s[20:21]
	s_cbranch_execz .LBB15_1462
.LBB15_1480:
	v_cmp_ne_u16_e32 vcc, 0, v11
	s_andn2_b64 s[10:11], s[10:11], exec
	s_and_b64 s[22:23], vcc, exec
	v_mov_b32_e32 v8, 0
	s_or_b64 s[10:11], s[10:11], s[22:23]
	s_or_b64 exec, exec, s[20:21]
	s_and_saveexec_b64 s[20:21], s[10:11]
	s_cbranch_execnz .LBB15_1463
	s_branch .LBB15_1464
.LBB15_1481:
	s_mov_b64 s[4:5], -1
                                        ; implicit-def: $vgpr8
	s_branch .LBB15_1486
.LBB15_1482:
	s_mov_b64 s[4:5], -1
                                        ; implicit-def: $vgpr8
.LBB15_1483:
	s_and_b64 vcc, exec, s[4:5]
	s_cbranch_vccz .LBB15_1485
; %bb.1484:
	global_load_ubyte v8, v[0:1], off
	s_mov_b32 s3, 0x7f800000
	s_waitcnt vmcnt(0)
	v_lshlrev_b32_e32 v8, 24, v8
	v_and_b32_e32 v11, 0x7f000000, v8
	v_ffbh_u32_e32 v12, v11
	v_min_u32_e32 v12, 32, v12
	v_sub_u32_e64 v12, v12, 4 clamp
	v_lshlrev_b32_e32 v14, v12, v11
	v_lshlrev_b32_e32 v12, 23, v12
	v_lshrrev_b32_e32 v14, 4, v14
	v_add_u32_e32 v13, 0x1000000, v11
	v_sub_u32_e32 v12, v14, v12
	v_ashrrev_i32_e32 v13, 8, v13
	v_add_u32_e32 v12, 0x3c000000, v12
	v_and_or_b32 v12, v13, s3, v12
	v_cmp_ne_u32_e32 vcc, 0, v11
	v_cndmask_b32_e32 v11, 0, v12, vcc
	s_brev_b32 s3, 1
	v_and_or_b32 v8, v8, s3, v11
.LBB15_1485:
	s_mov_b64 s[4:5], 0
.LBB15_1486:
	s_andn2_b64 vcc, exec, s[4:5]
	s_cbranch_vccnz .LBB15_1488
; %bb.1487:
	global_load_ubyte v8, v[0:1], off
	s_movk_i32 s3, 0x7f00
	s_brev_b32 s4, 16
	s_waitcnt vmcnt(0)
	v_lshlrev_b16_e32 v11, 8, v8
	v_lshlrev_b32_e32 v8, 25, v8
	v_lshrrev_b32_e32 v12, 4, v8
	v_and_or_b32 v13, v11, s3, 0.5
	v_or_b32_e32 v12, 0x70000000, v12
	v_add_f32_e32 v13, -0.5, v13
	v_mul_f32_e32 v12, 0x7800000, v12
	v_cmp_gt_u32_e32 vcc, s4, v8
	v_bfe_i32 v11, v11, 0, 16
	v_cndmask_b32_e32 v8, v12, v13, vcc
	s_brev_b32 s3, 1
	v_and_or_b32 v8, v11, s3, v8
.LBB15_1488:
	s_mov_b64 s[4:5], 0
	s_mov_b64 s[10:11], -1
.LBB15_1489:
	s_andn2_b64 vcc, exec, s[4:5]
	s_mov_b64 s[4:5], 0
	s_cbranch_vccnz .LBB15_1500
; %bb.1490:
	v_cmp_lt_i16_e32 vcc, 14, v5
	s_cbranch_vccz .LBB15_1493
; %bb.1491:
	v_cmp_eq_u16_e32 vcc, 15, v5
	s_cbranch_vccz .LBB15_1496
; %bb.1492:
	global_load_ushort v8, v[0:1], off
	s_mov_b64 s[0:1], 0
	s_mov_b64 s[10:11], -1
	s_waitcnt vmcnt(0)
	v_lshlrev_b32_e32 v8, 16, v8
	s_branch .LBB15_1497
.LBB15_1493:
	s_mov_b64 s[20:21], -1
                                        ; implicit-def: $vgpr8
	s_branch .LBB15_1498
.LBB15_1494:
	s_or_saveexec_b64 s[10:11], s[10:11]
	v_mov_b32_e32 v8, s3
	s_xor_b64 exec, exec, s[10:11]
	s_cbranch_execz .LBB15_1475
.LBB15_1495:
	v_cmp_ne_u16_e32 vcc, 0, v11
	s_andn2_b64 s[4:5], s[4:5], exec
	s_and_b64 s[20:21], vcc, exec
	v_mov_b32_e32 v8, 0
	s_or_b64 s[4:5], s[4:5], s[20:21]
	s_or_b64 exec, exec, s[10:11]
	s_and_saveexec_b64 s[10:11], s[4:5]
	s_cbranch_execnz .LBB15_1476
	s_branch .LBB15_1477
.LBB15_1496:
	s_mov_b64 s[0:1], -1
                                        ; implicit-def: $vgpr8
.LBB15_1497:
	s_mov_b64 s[20:21], 0
.LBB15_1498:
	s_and_b64 vcc, exec, s[20:21]
	s_cbranch_vccz .LBB15_1500
; %bb.1499:
	v_cmp_ne_u16_e64 s[0:1], 11, v5
	s_mov_b64 s[4:5], -1
                                        ; implicit-def: $vgpr8
.LBB15_1500:
	s_and_b64 vcc, exec, s[0:1]
	s_cbranch_vccnz .LBB15_1566
; %bb.1501:
	s_andn2_b64 vcc, exec, s[4:5]
	s_cbranch_vccnz .LBB15_1503
.LBB15_1502:
	global_load_ubyte v8, v[0:1], off
	s_mov_b64 s[10:11], -1
	s_waitcnt vmcnt(0)
	v_cmp_ne_u16_e32 vcc, 0, v8
	v_cndmask_b32_e64 v8, 0, 1.0, vcc
.LBB15_1503:
	s_mov_b64 s[0:1], 0
.LBB15_1504:
	s_and_b64 vcc, exec, s[0:1]
	s_cbranch_vccz .LBB15_1553
; %bb.1505:
	v_cmp_gt_i16_e32 vcc, 5, v5
	s_cbranch_vccnz .LBB15_1510
; %bb.1506:
	v_cmp_gt_i16_e32 vcc, 8, v5
	s_cbranch_vccnz .LBB15_1511
; %bb.1507:
	v_cmp_gt_i16_e32 vcc, 9, v5
	s_cbranch_vccnz .LBB15_1512
; %bb.1508:
	v_cmp_lt_i16_e32 vcc, 9, v5
	s_cbranch_vccz .LBB15_1513
; %bb.1509:
	global_load_dwordx2 v[12:13], v[0:1], off
	s_mov_b64 s[0:1], 0
	s_waitcnt vmcnt(0)
	v_cvt_f32_f64_e32 v8, v[12:13]
	s_branch .LBB15_1514
.LBB15_1510:
	s_mov_b64 s[0:1], -1
                                        ; implicit-def: $vgpr8
	s_branch .LBB15_1532
.LBB15_1511:
	s_mov_b64 s[0:1], -1
                                        ; implicit-def: $vgpr8
	s_branch .LBB15_1520
.LBB15_1512:
	s_mov_b64 s[0:1], -1
                                        ; implicit-def: $vgpr8
	s_branch .LBB15_1517
.LBB15_1513:
	s_mov_b64 s[0:1], -1
                                        ; implicit-def: $vgpr8
.LBB15_1514:
	s_andn2_b64 vcc, exec, s[0:1]
	s_cbranch_vccnz .LBB15_1516
; %bb.1515:
	global_load_dword v8, v[0:1], off
.LBB15_1516:
	s_mov_b64 s[0:1], 0
.LBB15_1517:
	s_andn2_b64 vcc, exec, s[0:1]
	s_cbranch_vccnz .LBB15_1519
; %bb.1518:
	global_load_dword v8, v[0:1], off
	s_waitcnt vmcnt(0)
	v_cvt_f32_f16_e32 v8, v8
.LBB15_1519:
	s_mov_b64 s[0:1], 0
.LBB15_1520:
	s_andn2_b64 vcc, exec, s[0:1]
	s_cbranch_vccnz .LBB15_1531
; %bb.1521:
	v_cmp_gt_i16_e32 vcc, 6, v5
	s_cbranch_vccnz .LBB15_1524
; %bb.1522:
	v_cmp_lt_i16_e32 vcc, 6, v5
	s_cbranch_vccz .LBB15_1525
; %bb.1523:
	global_load_dwordx2 v[12:13], v[0:1], off
	s_mov_b64 s[0:1], 0
	s_waitcnt vmcnt(0)
	v_cvt_f32_f64_e32 v8, v[12:13]
	s_branch .LBB15_1526
.LBB15_1524:
	s_mov_b64 s[0:1], -1
                                        ; implicit-def: $vgpr8
	s_branch .LBB15_1529
.LBB15_1525:
	s_mov_b64 s[0:1], -1
                                        ; implicit-def: $vgpr8
.LBB15_1526:
	s_andn2_b64 vcc, exec, s[0:1]
	s_cbranch_vccnz .LBB15_1528
; %bb.1527:
	global_load_dword v8, v[0:1], off
.LBB15_1528:
	s_mov_b64 s[0:1], 0
.LBB15_1529:
	s_andn2_b64 vcc, exec, s[0:1]
	s_cbranch_vccnz .LBB15_1531
; %bb.1530:
	global_load_ushort v8, v[0:1], off
	s_waitcnt vmcnt(0)
	v_cvt_f32_f16_e32 v8, v8
.LBB15_1531:
	s_mov_b64 s[0:1], 0
.LBB15_1532:
	s_andn2_b64 vcc, exec, s[0:1]
	s_cbranch_vccnz .LBB15_1552
; %bb.1533:
	v_cmp_gt_i16_e32 vcc, 2, v5
	s_cbranch_vccnz .LBB15_1537
; %bb.1534:
	v_cmp_gt_i16_e32 vcc, 3, v5
	s_cbranch_vccnz .LBB15_1538
; %bb.1535:
	v_cmp_lt_i16_e32 vcc, 3, v5
	s_cbranch_vccz .LBB15_1539
; %bb.1536:
	global_load_dwordx2 v[12:13], v[0:1], off
	s_mov_b64 s[0:1], 0
	s_waitcnt vmcnt(0)
	v_xor_b32_e32 v11, v12, v13
	v_ffbh_i32_e32 v8, v13
	v_ashrrev_i32_e32 v11, 31, v11
	v_add_u32_e32 v8, -1, v8
	v_add_u32_e32 v11, 32, v11
	v_min_u32_e32 v8, v8, v11
	v_lshlrev_b64 v[12:13], v8, v[12:13]
	v_min_u32_e32 v11, 1, v12
	v_or_b32_e32 v11, v13, v11
	v_cvt_f32_i32_e32 v11, v11
	v_sub_u32_e32 v8, 32, v8
	v_ldexp_f32 v8, v11, v8
	s_branch .LBB15_1540
.LBB15_1537:
	s_mov_b64 s[0:1], -1
                                        ; implicit-def: $vgpr8
	s_branch .LBB15_1546
.LBB15_1538:
	s_mov_b64 s[0:1], -1
                                        ; implicit-def: $vgpr8
	s_branch .LBB15_1543
.LBB15_1539:
	s_mov_b64 s[0:1], -1
                                        ; implicit-def: $vgpr8
.LBB15_1540:
	s_andn2_b64 vcc, exec, s[0:1]
	s_cbranch_vccnz .LBB15_1542
; %bb.1541:
	global_load_dword v8, v[0:1], off
	s_waitcnt vmcnt(0)
	v_cvt_f32_i32_e32 v8, v8
.LBB15_1542:
	s_mov_b64 s[0:1], 0
.LBB15_1543:
	s_andn2_b64 vcc, exec, s[0:1]
	s_cbranch_vccnz .LBB15_1545
; %bb.1544:
	global_load_sshort v8, v[0:1], off
	s_waitcnt vmcnt(0)
	v_cvt_f32_i32_e32 v8, v8
.LBB15_1545:
	s_mov_b64 s[0:1], 0
.LBB15_1546:
	s_andn2_b64 vcc, exec, s[0:1]
	s_cbranch_vccnz .LBB15_1552
; %bb.1547:
	v_cmp_lt_i16_e32 vcc, 0, v5
	s_cbranch_vccz .LBB15_1549
; %bb.1548:
	global_load_sbyte v5, v[0:1], off
	s_mov_b64 s[0:1], 0
	s_waitcnt vmcnt(0)
	v_cvt_f32_i32_e32 v8, v5
	s_branch .LBB15_1550
.LBB15_1549:
	s_mov_b64 s[0:1], -1
                                        ; implicit-def: $vgpr8
.LBB15_1550:
	s_andn2_b64 vcc, exec, s[0:1]
	s_cbranch_vccnz .LBB15_1552
; %bb.1551:
	global_load_ubyte v0, v[0:1], off
	s_waitcnt vmcnt(0)
	v_cvt_f32_ubyte0_e32 v8, v0
.LBB15_1552:
	s_mov_b64 s[10:11], -1
.LBB15_1553:
	s_andn2_b64 vcc, exec, s[10:11]
	s_cbranch_vccnz .LBB15_2009
; %bb.1554:
	s_mov_b32 s0, 0x7f800000
	s_waitcnt vmcnt(0)
	v_cmp_nlg_f32_e64 s[4:5], |v8|, s0
	v_mov_b32_e32 v5, v10
	s_and_saveexec_b64 s[0:1], s[4:5]
	s_cbranch_execz .LBB15_1556
; %bb.1555:
	v_mov_b32_e32 v0, 0
	v_mov_b32_e32 v1, 1.0
	global_store_dword v0, v1, s[12:13]
	global_load_dword v5, v0, s[14:15]
.LBB15_1556:
	s_or_b64 exec, exec, s[0:1]
	v_mul_f32_e32 v0, v2, v3
	v_cmp_eq_f32_e32 vcc, 1.0, v3
	v_mul_lo_u32 v4, s2, v4
	v_cndmask_b32_e32 v2, v0, v2, vcc
	v_ashrrev_i32_e32 v1, 31, v4
	v_mov_b32_e32 v3, s9
	v_add_co_u32_e32 v0, vcc, s8, v4
	v_addc_co_u32_e32 v1, vcc, v3, v1, vcc
	v_mov_b32_e32 v3, 11
	v_cmp_lt_i16_sdwa s[0:1], s33, v3 src0_sel:BYTE_0 src1_sel:DWORD
	s_and_b64 vcc, exec, s[0:1]
	s_cbranch_vccnz .LBB15_1563
; %bb.1557:
	v_mov_b32_e32 v3, 25
	v_cmp_gt_i16_sdwa s[0:1], s33, v3 src0_sel:BYTE_0 src1_sel:DWORD
	s_mov_b64 s[12:13], -1
	s_mov_b64 s[4:5], 0
	s_and_b64 vcc, exec, s[0:1]
	s_mov_b64 s[10:11], 0
	s_mov_b64 s[0:1], 0
	s_cbranch_vccz .LBB15_1595
; %bb.1558:
	v_mov_b32_e32 v3, 28
	v_cmp_gt_i16_sdwa s[0:1], s33, v3 src0_sel:BYTE_0 src1_sel:DWORD
	s_and_b64 vcc, exec, s[0:1]
	s_cbranch_vccz .LBB15_1564
; %bb.1559:
	v_mov_b32_e32 v3, 43
	v_cmp_gt_i16_sdwa s[0:1], s33, v3 src0_sel:BYTE_0 src1_sel:DWORD
	s_and_b64 vcc, exec, s[0:1]
	;; [unrolled: 5-line block ×3, first 2 shown]
	s_cbranch_vccz .LBB15_1567
; %bb.1561:
	v_mov_b32_e32 v3, 46
	v_cmp_eq_u16_sdwa s[10:11], s33, v3 src0_sel:BYTE_0 src1_sel:DWORD
	s_mov_b64 s[0:1], -1
	s_mov_b64 s[12:13], 0
	s_and_b64 vcc, exec, s[10:11]
	s_mov_b64 s[10:11], 0
	s_cbranch_vccz .LBB15_1568
; %bb.1562:
	v_bfe_u32 v3, v2, 16, 1
	s_movk_i32 s0, 0x7fff
	v_add3_u32 v3, v2, v3, s0
	v_lshrrev_b32_e32 v3, 16, v3
	v_mov_b32_e32 v11, 0x7fc0
	v_cmp_o_f32_e32 vcc, v2, v2
	v_cndmask_b32_e32 v3, v11, v3, vcc
	global_store_dword v[0:1], v3, off
	s_mov_b64 s[0:1], 0
	s_mov_b64 s[10:11], -1
	s_branch .LBB15_1568
.LBB15_1563:
	s_mov_b64 s[0:1], -1
	s_mov_b64 s[10:11], 0
	s_branch .LBB15_1639
.LBB15_1564:
	s_mov_b64 s[0:1], 0
	s_branch .LBB15_1578
.LBB15_1565:
	s_mov_b64 s[0:1], 0
	s_branch .LBB15_1574
.LBB15_1566:
	s_trap 2
	s_or_b64 s[18:19], s[18:19], exec
                                        ; implicit-def: $vgpr8
	s_cbranch_execz .LBB15_1502
	s_branch .LBB15_1503
.LBB15_1567:
	s_mov_b64 s[0:1], 0
.LBB15_1568:
	s_and_b64 vcc, exec, s[12:13]
	s_cbranch_vccz .LBB15_1573
; %bb.1569:
	v_mov_b32_e32 v3, 44
	v_cmp_eq_u16_sdwa s[12:13], s33, v3 src0_sel:BYTE_0 src1_sel:DWORD
	s_mov_b64 s[0:1], -1
	s_and_b64 vcc, exec, s[12:13]
	s_cbranch_vccz .LBB15_1573
; %bb.1570:
	v_bfe_u32 v3, v2, 23, 8
	s_movk_i32 s0, 0xff
	v_cmp_ne_u32_e32 vcc, s0, v3
	v_mov_b32_e32 v11, 0xff
	s_and_saveexec_b64 s[10:11], vcc
; %bb.1571:
	s_mov_b32 s0, 0x3fffff
	v_and_b32_e32 v12, 0x400000, v2
	v_and_or_b32 v3, v2, s0, v3
	v_cmp_ne_u32_e32 vcc, 0, v12
	v_cmp_ne_u32_e64 s[0:1], 0, v3
	s_and_b64 s[0:1], vcc, s[0:1]
	v_lshrrev_b32_e32 v11, 23, v2
	v_cndmask_b32_e64 v3, 0, 1, s[0:1]
	v_add_u32_e32 v11, v11, v3
; %bb.1572:
	s_or_b64 exec, exec, s[10:11]
	s_mov_b64 s[0:1], 0
	s_mov_b64 s[10:11], -1
	global_store_byte v[0:1], v11, off
.LBB15_1573:
	s_mov_b64 s[12:13], 0
.LBB15_1574:
	s_and_b64 vcc, exec, s[12:13]
	s_cbranch_vccz .LBB15_1577
; %bb.1575:
	v_mov_b32_e32 v3, 29
	v_cmp_eq_u16_sdwa s[12:13], s33, v3 src0_sel:BYTE_0 src1_sel:DWORD
	s_mov_b64 s[0:1], -1
	s_and_b64 vcc, exec, s[12:13]
	s_cbranch_vccz .LBB15_1577
; %bb.1576:
	v_trunc_f32_e32 v3, v2
	v_mul_f32_e32 v11, 0x2f800000, v3
	v_floor_f32_e32 v11, v11
	v_fmac_f32_e32 v3, 0xcf800000, v11
	v_cvt_u32_f32_e32 v13, v11
	v_cvt_u32_f32_e32 v12, v3
	s_mov_b64 s[0:1], 0
	s_mov_b64 s[10:11], -1
	s_mov_b64 s[12:13], 0
	global_store_dwordx2 v[0:1], v[12:13], off
	s_branch .LBB15_1578
.LBB15_1577:
	s_mov_b64 s[12:13], 0
.LBB15_1578:
	s_and_b64 vcc, exec, s[12:13]
	s_cbranch_vccz .LBB15_1594
; %bb.1579:
	v_mov_b32_e32 v3, 27
	v_cmp_lt_i16_sdwa s[12:13], s33, v3 src0_sel:BYTE_0 src1_sel:DWORD
	s_mov_b64 s[10:11], -1
	s_and_b64 vcc, exec, s[12:13]
	s_cbranch_vccnz .LBB15_1585
; %bb.1580:
	v_cmp_gt_i16_sdwa s[12:13], s33, v3 src0_sel:BYTE_0 src1_sel:DWORD
	v_cvt_u32_f32_e32 v3, v2
	s_and_b64 vcc, exec, s[12:13]
	s_cbranch_vccz .LBB15_1582
; %bb.1581:
	s_mov_b64 s[10:11], 0
	global_store_dword v[0:1], v3, off
.LBB15_1582:
	s_andn2_b64 vcc, exec, s[10:11]
	s_cbranch_vccnz .LBB15_1584
; %bb.1583:
	global_store_short v[0:1], v3, off
.LBB15_1584:
	s_mov_b64 s[10:11], 0
.LBB15_1585:
	s_andn2_b64 vcc, exec, s[10:11]
	s_cbranch_vccnz .LBB15_1593
; %bb.1586:
	v_and_b32_e32 v3, 0x7fffffff, v2
	s_mov_b32 s3, 0x43800000
	v_cmp_gt_u32_e32 vcc, s3, v3
	v_mov_b32_e32 v11, 0x80
	s_and_saveexec_b64 s[10:11], vcc
	s_cbranch_execz .LBB15_1592
; %bb.1587:
	s_mov_b32 s3, 0x3bffffff
	v_cmp_lt_u32_e32 vcc, s3, v3
	s_mov_b64 s[12:13], 0
                                        ; implicit-def: $vgpr3
	s_and_saveexec_b64 s[14:15], vcc
	s_xor_b64 s[14:15], exec, s[14:15]
	s_cbranch_execz .LBB15_1688
; %bb.1588:
	v_bfe_u32 v3, v2, 20, 1
	s_mov_b32 s3, 0x487ffff
	v_add3_u32 v3, v2, v3, s3
	s_mov_b64 s[12:13], exec
	v_lshrrev_b32_e32 v3, 20, v3
	s_or_saveexec_b64 s[14:15], s[14:15]
                                        ; implicit-def: $sgpr3
	s_xor_b64 exec, exec, s[14:15]
	s_cbranch_execnz .LBB15_1689
.LBB15_1589:
	s_or_b64 exec, exec, s[14:15]
	v_mov_b32_e32 v11, s3
	s_and_saveexec_b64 s[14:15], s[12:13]
.LBB15_1590:
	v_lshrrev_b32_e32 v11, 24, v2
	s_movk_i32 s3, 0x80
	v_and_or_b32 v11, v11, s3, v3
.LBB15_1591:
	s_or_b64 exec, exec, s[14:15]
.LBB15_1592:
	s_or_b64 exec, exec, s[10:11]
	global_store_byte v[0:1], v11, off
.LBB15_1593:
	s_mov_b64 s[10:11], -1
.LBB15_1594:
	s_mov_b64 s[12:13], 0
.LBB15_1595:
	s_and_b64 vcc, exec, s[12:13]
	s_cbranch_vccz .LBB15_1635
; %bb.1596:
	v_mov_b32_e32 v3, 22
	v_cmp_gt_i16_sdwa s[12:13], s33, v3 src0_sel:BYTE_0 src1_sel:DWORD
	s_mov_b64 s[4:5], -1
	s_and_b64 vcc, exec, s[12:13]
	s_cbranch_vccz .LBB15_1628
; %bb.1597:
	v_mov_b32_e32 v3, 24
	v_cmp_lt_i16_sdwa s[10:11], s33, v3 src0_sel:BYTE_0 src1_sel:DWORD
	s_and_b64 vcc, exec, s[10:11]
	s_cbranch_vccnz .LBB15_1617
; %bb.1598:
	v_cmp_gt_i16_sdwa s[10:11], s33, v3 src0_sel:BYTE_0 src1_sel:DWORD
	s_and_b64 vcc, exec, s[10:11]
	s_cbranch_vccz .LBB15_1606
; %bb.1599:
	v_and_b32_e32 v3, 0x7fffffff, v2
	s_mov_b32 s3, 0x47800000
	v_cmp_gt_u32_e32 vcc, s3, v3
	v_mov_b32_e32 v11, 0x80
	s_and_saveexec_b64 s[4:5], vcc
	s_cbranch_execz .LBB15_1605
; %bb.1600:
	s_mov_b32 s3, 0x37ffffff
	v_cmp_lt_u32_e32 vcc, s3, v3
	s_mov_b64 s[10:11], 0
                                        ; implicit-def: $vgpr3
	s_and_saveexec_b64 s[12:13], vcc
	s_xor_b64 s[12:13], exec, s[12:13]
	s_cbranch_execz .LBB15_1692
; %bb.1601:
	v_bfe_u32 v3, v2, 21, 1
	s_mov_b32 s3, 0x88fffff
	v_add3_u32 v3, v2, v3, s3
	s_mov_b64 s[10:11], exec
	v_lshrrev_b32_e32 v3, 21, v3
	s_or_saveexec_b64 s[12:13], s[12:13]
                                        ; implicit-def: $sgpr3
	s_xor_b64 exec, exec, s[12:13]
	s_cbranch_execnz .LBB15_1693
.LBB15_1602:
	s_or_b64 exec, exec, s[12:13]
	v_mov_b32_e32 v11, s3
	s_and_saveexec_b64 s[12:13], s[10:11]
.LBB15_1603:
	v_lshrrev_b32_e32 v11, 24, v2
	s_movk_i32 s3, 0x80
	v_and_or_b32 v11, v11, s3, v3
.LBB15_1604:
	s_or_b64 exec, exec, s[12:13]
.LBB15_1605:
	s_or_b64 exec, exec, s[4:5]
	s_mov_b64 s[4:5], 0
	global_store_byte v[0:1], v11, off
.LBB15_1606:
	s_and_b64 vcc, exec, s[4:5]
	s_cbranch_vccz .LBB15_1616
; %bb.1607:
	v_and_b32_e32 v11, 0x7fffffff, v2
	s_mov_b32 s3, 0x43f00000
	v_cmp_gt_u32_e32 vcc, s3, v11
                                        ; implicit-def: $vgpr3
	s_and_saveexec_b64 s[4:5], vcc
	s_xor_b64 s[4:5], exec, s[4:5]
	s_cbranch_execz .LBB15_1613
; %bb.1608:
	s_mov_b32 s3, 0x3c7fffff
	v_cmp_lt_u32_e32 vcc, s3, v11
                                        ; implicit-def: $vgpr3
	s_and_saveexec_b64 s[10:11], vcc
	s_xor_b64 s[10:11], exec, s[10:11]
; %bb.1609:
	v_bfe_u32 v3, v2, 20, 1
	s_mov_b32 s3, 0x407ffff
	v_add3_u32 v3, v2, v3, s3
	v_lshrrev_b32_e32 v11, 20, v3
	v_and_b32_e32 v3, 0xff00000, v3
	s_mov_b32 s3, 0x7f00000
	v_mov_b32_e32 v12, 0x7e
	v_cmp_ne_u32_e32 vcc, s3, v3
	v_cndmask_b32_e32 v3, v12, v11, vcc
; %bb.1610:
	s_andn2_saveexec_b64 s[10:11], s[10:11]
; %bb.1611:
	s_mov_b32 s3, 0x46800000
	v_add_f32_e64 v3, |v2|, s3
; %bb.1612:
	s_or_b64 exec, exec, s[10:11]
                                        ; implicit-def: $vgpr11
.LBB15_1613:
	s_andn2_saveexec_b64 s[4:5], s[4:5]
; %bb.1614:
	s_mov_b32 s3, 0x7f800000
	v_mov_b32_e32 v3, 0x7e
	v_mov_b32_e32 v12, 0x7f
	v_cmp_lt_u32_e32 vcc, s3, v11
	v_cndmask_b32_e32 v3, v3, v12, vcc
; %bb.1615:
	s_or_b64 exec, exec, s[4:5]
	v_lshrrev_b32_e32 v11, 24, v2
	s_movk_i32 s3, 0x80
	v_and_or_b32 v3, v11, s3, v3
	global_store_byte v[0:1], v3, off
.LBB15_1616:
	s_mov_b64 s[4:5], 0
.LBB15_1617:
	s_andn2_b64 vcc, exec, s[4:5]
	s_cbranch_vccnz .LBB15_1627
; %bb.1618:
	v_and_b32_e32 v11, 0x7fffffff, v2
	s_mov_b32 s3, 0x47800000
	v_cmp_gt_u32_e32 vcc, s3, v11
                                        ; implicit-def: $vgpr3
	s_and_saveexec_b64 s[4:5], vcc
	s_xor_b64 s[4:5], exec, s[4:5]
	s_cbranch_execz .LBB15_1624
; %bb.1619:
	s_mov_b32 s3, 0x387fffff
	v_cmp_lt_u32_e32 vcc, s3, v11
                                        ; implicit-def: $vgpr3
	s_and_saveexec_b64 s[10:11], vcc
	s_xor_b64 s[10:11], exec, s[10:11]
; %bb.1620:
	v_bfe_u32 v3, v2, 21, 1
	s_mov_b32 s3, 0x80fffff
	v_add3_u32 v3, v2, v3, s3
	v_lshrrev_b32_e32 v3, 21, v3
; %bb.1621:
	s_andn2_saveexec_b64 s[10:11], s[10:11]
; %bb.1622:
	s_mov_b32 s3, 0x43000000
	v_add_f32_e64 v3, |v2|, s3
; %bb.1623:
	s_or_b64 exec, exec, s[10:11]
                                        ; implicit-def: $vgpr11
.LBB15_1624:
	s_andn2_saveexec_b64 s[4:5], s[4:5]
; %bb.1625:
	s_mov_b32 s3, 0x7f800000
	v_mov_b32_e32 v3, 0x7c
	v_mov_b32_e32 v12, 0x7f
	v_cmp_lt_u32_e32 vcc, s3, v11
	v_cndmask_b32_e32 v3, v3, v12, vcc
; %bb.1626:
	s_or_b64 exec, exec, s[4:5]
	v_lshrrev_b32_e32 v11, 24, v2
	s_movk_i32 s3, 0x80
	v_and_or_b32 v3, v11, s3, v3
	global_store_byte v[0:1], v3, off
.LBB15_1627:
	s_mov_b64 s[4:5], 0
	s_mov_b64 s[10:11], -1
.LBB15_1628:
	s_andn2_b64 vcc, exec, s[4:5]
	s_mov_b64 s[4:5], 0
	s_cbranch_vccnz .LBB15_1635
; %bb.1629:
	v_mov_b32_e32 v3, 14
	v_cmp_gt_i16_sdwa s[4:5], s33, v3 src0_sel:BYTE_0 src1_sel:DWORD
	s_mov_b64 s[12:13], -1
	s_and_b64 vcc, exec, s[4:5]
	s_cbranch_vccz .LBB15_1633
; %bb.1630:
	v_mov_b32_e32 v3, 15
	v_cmp_eq_u16_sdwa s[4:5], s33, v3 src0_sel:BYTE_0 src1_sel:DWORD
	s_mov_b64 s[0:1], -1
	s_and_b64 vcc, exec, s[4:5]
	s_cbranch_vccz .LBB15_1632
; %bb.1631:
	v_bfe_u32 v3, v2, 16, 1
	s_movk_i32 s0, 0x7fff
	v_add3_u32 v3, v2, v3, s0
	v_lshrrev_b32_e32 v3, 16, v3
	v_mov_b32_e32 v11, 0x7fc0
	v_cmp_o_f32_e32 vcc, v2, v2
	v_cndmask_b32_e32 v3, v11, v3, vcc
	global_store_short v[0:1], v3, off
	s_mov_b64 s[0:1], 0
	s_mov_b64 s[10:11], -1
.LBB15_1632:
	s_mov_b64 s[12:13], 0
.LBB15_1633:
	s_mov_b64 s[4:5], 0
	s_and_b64 vcc, exec, s[12:13]
	s_cbranch_vccz .LBB15_1635
; %bb.1634:
	v_mov_b32_e32 v3, 11
	v_cmp_ne_u16_sdwa s[0:1], s33, v3 src0_sel:BYTE_0 src1_sel:DWORD
	s_mov_b64 s[4:5], -1
.LBB15_1635:
	s_and_b64 vcc, exec, s[0:1]
	s_cbranch_vccnz .LBB15_1691
; %bb.1636:
	s_andn2_b64 vcc, exec, s[4:5]
	s_cbranch_vccnz .LBB15_1638
.LBB15_1637:
	v_cmp_neq_f32_e32 vcc, 0, v2
	v_cndmask_b32_e64 v3, 0, 1, vcc
	s_mov_b64 s[10:11], -1
	global_store_byte v[0:1], v3, off
.LBB15_1638:
	s_mov_b64 s[0:1], 0
.LBB15_1639:
	s_and_b64 vcc, exec, s[0:1]
	s_cbranch_vccz .LBB15_1678
; %bb.1640:
	v_mov_b32_e32 v3, 5
	v_cmp_lt_i16_sdwa s[4:5], s33, v3 src0_sel:BYTE_0 src1_sel:DWORD
	s_mov_b64 s[0:1], -1
	s_and_b64 vcc, exec, s[4:5]
	s_cbranch_vccnz .LBB15_1661
; %bb.1641:
	v_mov_b32_e32 v3, 8
	v_cmp_lt_i16_sdwa s[4:5], s33, v3 src0_sel:BYTE_0 src1_sel:DWORD
	s_and_b64 vcc, exec, s[4:5]
	s_cbranch_vccnz .LBB15_1651
; %bb.1642:
	v_mov_b32_e32 v3, 9
	v_cmp_lt_i16_sdwa s[4:5], s33, v3 src0_sel:BYTE_0 src1_sel:DWORD
	s_and_b64 vcc, exec, s[4:5]
	s_cbranch_vccnz .LBB15_1648
; %bb.1643:
	v_cmp_gt_i16_sdwa s[4:5], s33, v3 src0_sel:BYTE_0 src1_sel:DWORD
	s_and_b64 vcc, exec, s[4:5]
	s_cbranch_vccz .LBB15_1645
; %bb.1644:
	v_mov_b32_e32 v14, 0
	v_cvt_f64_f32_e32 v[12:13], v2
	v_mov_b32_e32 v15, v14
	global_store_dwordx4 v[0:1], v[12:15], off
	s_mov_b64 s[0:1], 0
.LBB15_1645:
	s_andn2_b64 vcc, exec, s[0:1]
	s_cbranch_vccnz .LBB15_1647
; %bb.1646:
	v_mov_b32_e32 v3, 0
	global_store_dwordx2 v[0:1], v[2:3], off
.LBB15_1647:
	s_mov_b64 s[0:1], 0
.LBB15_1648:
	s_andn2_b64 vcc, exec, s[0:1]
	s_cbranch_vccnz .LBB15_1650
; %bb.1649:
	v_cvt_f16_f32_e32 v3, v2
	global_store_dword v[0:1], v3, off
.LBB15_1650:
	s_mov_b64 s[0:1], 0
.LBB15_1651:
	s_andn2_b64 vcc, exec, s[0:1]
	s_cbranch_vccnz .LBB15_1660
; %bb.1652:
	v_mov_b32_e32 v3, 6
	v_cmp_lt_i16_sdwa s[4:5], s33, v3 src0_sel:BYTE_0 src1_sel:DWORD
	s_mov_b64 s[0:1], -1
	s_and_b64 vcc, exec, s[4:5]
	s_cbranch_vccnz .LBB15_1658
; %bb.1653:
	v_cmp_gt_i16_sdwa s[4:5], s33, v3 src0_sel:BYTE_0 src1_sel:DWORD
	s_and_b64 vcc, exec, s[4:5]
	s_cbranch_vccz .LBB15_1655
; %bb.1654:
	v_cvt_f64_f32_e32 v[12:13], v2
	global_store_dwordx2 v[0:1], v[12:13], off
	s_mov_b64 s[0:1], 0
.LBB15_1655:
	s_andn2_b64 vcc, exec, s[0:1]
	s_cbranch_vccnz .LBB15_1657
; %bb.1656:
	global_store_dword v[0:1], v2, off
.LBB15_1657:
	s_mov_b64 s[0:1], 0
.LBB15_1658:
	s_andn2_b64 vcc, exec, s[0:1]
	s_cbranch_vccnz .LBB15_1660
; %bb.1659:
	v_cvt_f16_f32_e32 v3, v2
	global_store_short v[0:1], v3, off
.LBB15_1660:
	s_mov_b64 s[0:1], 0
.LBB15_1661:
	s_andn2_b64 vcc, exec, s[0:1]
	s_cbranch_vccnz .LBB15_1677
; %bb.1662:
	v_mov_b32_e32 v3, 2
	v_cmp_lt_i16_sdwa s[4:5], s33, v3 src0_sel:BYTE_0 src1_sel:DWORD
	s_mov_b64 s[0:1], -1
	s_and_b64 vcc, exec, s[4:5]
	s_cbranch_vccnz .LBB15_1672
; %bb.1663:
	v_mov_b32_e32 v3, 3
	v_cmp_lt_i16_sdwa s[4:5], s33, v3 src0_sel:BYTE_0 src1_sel:DWORD
	s_and_b64 vcc, exec, s[4:5]
	s_cbranch_vccnz .LBB15_1669
; %bb.1664:
	v_cmp_gt_i16_sdwa s[4:5], s33, v3 src0_sel:BYTE_0 src1_sel:DWORD
	s_and_b64 vcc, exec, s[4:5]
	s_cbranch_vccz .LBB15_1666
; %bb.1665:
	v_trunc_f32_e32 v3, v2
	s_mov_b32 s0, 0x2f800000
	v_mul_f32_e64 v11, |v3|, s0
	v_floor_f32_e32 v11, v11
	s_mov_b32 s0, 0xcf800000
	v_cvt_u32_f32_e32 v12, v11
	v_fma_f32 v11, v11, s0, |v3|
	v_cvt_u32_f32_e32 v11, v11
	v_ashrrev_i32_e32 v3, 31, v3
	v_xor_b32_e32 v13, v12, v3
	s_mov_b64 s[0:1], 0
	v_xor_b32_e32 v11, v11, v3
	v_sub_co_u32_e32 v12, vcc, v11, v3
	v_subb_co_u32_e32 v13, vcc, v13, v3, vcc
	global_store_dwordx2 v[0:1], v[12:13], off
.LBB15_1666:
	s_andn2_b64 vcc, exec, s[0:1]
	s_cbranch_vccnz .LBB15_1668
; %bb.1667:
	v_cvt_i32_f32_e32 v3, v2
	global_store_dword v[0:1], v3, off
.LBB15_1668:
	s_mov_b64 s[0:1], 0
.LBB15_1669:
	s_andn2_b64 vcc, exec, s[0:1]
	s_cbranch_vccnz .LBB15_1671
; %bb.1670:
	v_cvt_i32_f32_e32 v3, v2
	global_store_short v[0:1], v3, off
.LBB15_1671:
	s_mov_b64 s[0:1], 0
.LBB15_1672:
	s_andn2_b64 vcc, exec, s[0:1]
	s_cbranch_vccnz .LBB15_1677
; %bb.1673:
	v_mov_b32_e32 v3, 0
	v_cmp_gt_i16_sdwa s[4:5], s33, v3 src0_sel:BYTE_0 src1_sel:DWORD
	s_mov_b64 s[0:1], -1
	s_and_b64 vcc, exec, s[4:5]
	s_cbranch_vccz .LBB15_1675
; %bb.1674:
	v_cvt_i32_f32_e32 v3, v2
	s_mov_b64 s[0:1], 0
	global_store_byte v[0:1], v3, off
.LBB15_1675:
	s_andn2_b64 vcc, exec, s[0:1]
	s_cbranch_vccnz .LBB15_1677
; %bb.1676:
	v_trunc_f32_e32 v2, v2
	s_mov_b32 s0, 0x2f800000
	v_mul_f32_e64 v3, |v2|, s0
	v_floor_f32_e32 v3, v3
	s_mov_b32 s0, 0xcf800000
	v_fma_f32 v3, v3, s0, |v2|
	v_cvt_u32_f32_e32 v3, v3
	v_ashrrev_i32_e32 v2, 31, v2
	v_xor_b32_e32 v3, v3, v2
	v_sub_u32_e32 v2, v3, v2
	global_store_byte v[0:1], v2, off
.LBB15_1677:
	s_mov_b64 s[10:11], -1
.LBB15_1678:
	s_andn2_b64 vcc, exec, s[10:11]
	s_cbranch_vccnz .LBB15_2009
; %bb.1679:
	s_lshl_b32 s14, s2, 7
	v_mul_f32_e32 v0, v6, v9
	v_cmp_eq_f32_e32 vcc, 1.0, v9
	v_add_u32_e32 v4, s14, v4
	v_cndmask_b32_e32 v2, v0, v6, vcc
	v_ashrrev_i32_e32 v1, 31, v4
	v_mov_b32_e32 v3, s9
	v_add_co_u32_e32 v0, vcc, s8, v4
	v_addc_co_u32_e32 v1, vcc, v3, v1, vcc
	v_mov_b32_e32 v3, 11
	v_cmp_lt_i16_sdwa s[0:1], s33, v3 src0_sel:BYTE_0 src1_sel:DWORD
	s_and_b64 vcc, exec, s[0:1]
	s_cbranch_vccnz .LBB15_1686
; %bb.1680:
	v_mov_b32_e32 v3, 25
	v_cmp_gt_i16_sdwa s[0:1], s33, v3 src0_sel:BYTE_0 src1_sel:DWORD
	s_mov_b64 s[10:11], -1
	s_mov_b64 s[2:3], 0
	s_and_b64 vcc, exec, s[0:1]
	s_mov_b64 s[4:5], 0
	s_mov_b64 s[0:1], 0
	s_cbranch_vccz .LBB15_1722
; %bb.1681:
	v_mov_b32_e32 v3, 28
	v_cmp_gt_i16_sdwa s[0:1], s33, v3 src0_sel:BYTE_0 src1_sel:DWORD
	s_and_b64 vcc, exec, s[0:1]
	s_cbranch_vccz .LBB15_1687
; %bb.1682:
	v_mov_b32_e32 v3, 43
	v_cmp_gt_i16_sdwa s[0:1], s33, v3 src0_sel:BYTE_0 src1_sel:DWORD
	s_and_b64 vcc, exec, s[0:1]
	s_cbranch_vccz .LBB15_1690
; %bb.1683:
	v_mov_b32_e32 v3, 45
	v_cmp_gt_i16_sdwa s[0:1], s33, v3 src0_sel:BYTE_0 src1_sel:DWORD
	s_and_b64 vcc, exec, s[0:1]
	s_cbranch_vccz .LBB15_1694
; %bb.1684:
	v_mov_b32_e32 v3, 46
	v_cmp_eq_u16_sdwa s[4:5], s33, v3 src0_sel:BYTE_0 src1_sel:DWORD
	s_mov_b64 s[0:1], -1
	s_mov_b64 s[10:11], 0
	s_and_b64 vcc, exec, s[4:5]
	s_mov_b64 s[4:5], 0
	s_cbranch_vccz .LBB15_1695
; %bb.1685:
	v_bfe_u32 v3, v2, 16, 1
	s_movk_i32 s0, 0x7fff
	v_add3_u32 v3, v2, v3, s0
	v_lshrrev_b32_e32 v3, 16, v3
	v_mov_b32_e32 v6, 0x7fc0
	v_cmp_o_f32_e32 vcc, v2, v2
	v_cndmask_b32_e32 v3, v6, v3, vcc
	global_store_dword v[0:1], v3, off
	s_mov_b64 s[0:1], 0
	s_mov_b64 s[4:5], -1
	s_branch .LBB15_1695
.LBB15_1686:
	s_mov_b64 s[0:1], -1
	s_mov_b64 s[4:5], 0
	s_branch .LBB15_1766
.LBB15_1687:
	s_mov_b64 s[0:1], 0
	s_branch .LBB15_1705
.LBB15_1688:
	s_or_saveexec_b64 s[14:15], s[14:15]
                                        ; implicit-def: $sgpr3
	s_xor_b64 exec, exec, s[14:15]
	s_cbranch_execz .LBB15_1589
.LBB15_1689:
	s_mov_b32 s3, 0x46000000
	v_add_f32_e64 v3, |v2|, s3
	v_and_b32_e32 v3, 0xff, v3
	v_cmp_ne_u32_e32 vcc, 0, v3
	s_andn2_b64 s[12:13], s[12:13], exec
	s_and_b64 s[20:21], vcc, exec
	s_mov_b32 s3, 0
	s_or_b64 s[12:13], s[12:13], s[20:21]
	s_or_b64 exec, exec, s[14:15]
	v_mov_b32_e32 v11, s3
	s_and_saveexec_b64 s[14:15], s[12:13]
	s_cbranch_execnz .LBB15_1590
	s_branch .LBB15_1591
.LBB15_1690:
	s_mov_b64 s[0:1], 0
	s_branch .LBB15_1701
.LBB15_1691:
	s_trap 2
	s_or_b64 s[18:19], s[18:19], exec
	s_cbranch_execz .LBB15_1637
	s_branch .LBB15_1638
.LBB15_1692:
	s_or_saveexec_b64 s[12:13], s[12:13]
                                        ; implicit-def: $sgpr3
	s_xor_b64 exec, exec, s[12:13]
	s_cbranch_execz .LBB15_1602
.LBB15_1693:
	s_mov_b32 s3, 0x42800000
	v_add_f32_e64 v3, |v2|, s3
	v_and_b32_e32 v3, 0xff, v3
	v_cmp_ne_u32_e32 vcc, 0, v3
	s_andn2_b64 s[10:11], s[10:11], exec
	s_and_b64 s[14:15], vcc, exec
	s_mov_b32 s3, 0
	s_or_b64 s[10:11], s[10:11], s[14:15]
	s_or_b64 exec, exec, s[12:13]
	v_mov_b32_e32 v11, s3
	s_and_saveexec_b64 s[12:13], s[10:11]
	s_cbranch_execnz .LBB15_1603
	s_branch .LBB15_1604
.LBB15_1694:
	s_mov_b64 s[0:1], 0
.LBB15_1695:
	s_and_b64 vcc, exec, s[10:11]
	s_cbranch_vccz .LBB15_1700
; %bb.1696:
	v_mov_b32_e32 v3, 44
	v_cmp_eq_u16_sdwa s[10:11], s33, v3 src0_sel:BYTE_0 src1_sel:DWORD
	s_mov_b64 s[0:1], -1
	s_and_b64 vcc, exec, s[10:11]
	s_cbranch_vccz .LBB15_1700
; %bb.1697:
	v_bfe_u32 v3, v2, 23, 8
	s_movk_i32 s0, 0xff
	v_cmp_ne_u32_e32 vcc, s0, v3
	v_mov_b32_e32 v6, 0xff
	s_and_saveexec_b64 s[4:5], vcc
; %bb.1698:
	s_mov_b32 s0, 0x3fffff
	v_and_b32_e32 v9, 0x400000, v2
	v_and_or_b32 v3, v2, s0, v3
	v_cmp_ne_u32_e32 vcc, 0, v9
	v_cmp_ne_u32_e64 s[0:1], 0, v3
	s_and_b64 s[0:1], vcc, s[0:1]
	v_lshrrev_b32_e32 v6, 23, v2
	v_cndmask_b32_e64 v3, 0, 1, s[0:1]
	v_add_u32_e32 v6, v6, v3
; %bb.1699:
	s_or_b64 exec, exec, s[4:5]
	s_mov_b64 s[0:1], 0
	s_mov_b64 s[4:5], -1
	global_store_byte v[0:1], v6, off
.LBB15_1700:
	s_mov_b64 s[10:11], 0
.LBB15_1701:
	s_and_b64 vcc, exec, s[10:11]
	s_cbranch_vccz .LBB15_1704
; %bb.1702:
	v_mov_b32_e32 v3, 29
	v_cmp_eq_u16_sdwa s[10:11], s33, v3 src0_sel:BYTE_0 src1_sel:DWORD
	s_mov_b64 s[0:1], -1
	s_and_b64 vcc, exec, s[10:11]
	s_cbranch_vccz .LBB15_1704
; %bb.1703:
	v_trunc_f32_e32 v3, v2
	v_mul_f32_e32 v6, 0x2f800000, v3
	v_floor_f32_e32 v6, v6
	v_fmac_f32_e32 v3, 0xcf800000, v6
	v_cvt_u32_f32_e32 v13, v6
	v_cvt_u32_f32_e32 v12, v3
	s_mov_b64 s[0:1], 0
	s_mov_b64 s[4:5], -1
	s_mov_b64 s[10:11], 0
	global_store_dwordx2 v[0:1], v[12:13], off
	s_branch .LBB15_1705
.LBB15_1704:
	s_mov_b64 s[10:11], 0
.LBB15_1705:
	s_and_b64 vcc, exec, s[10:11]
	s_cbranch_vccz .LBB15_1721
; %bb.1706:
	v_mov_b32_e32 v3, 27
	v_cmp_lt_i16_sdwa s[10:11], s33, v3 src0_sel:BYTE_0 src1_sel:DWORD
	s_mov_b64 s[4:5], -1
	s_and_b64 vcc, exec, s[10:11]
	s_cbranch_vccnz .LBB15_1712
; %bb.1707:
	v_cmp_gt_i16_sdwa s[10:11], s33, v3 src0_sel:BYTE_0 src1_sel:DWORD
	v_cvt_u32_f32_e32 v3, v2
	s_and_b64 vcc, exec, s[10:11]
	s_cbranch_vccz .LBB15_1709
; %bb.1708:
	s_mov_b64 s[4:5], 0
	global_store_dword v[0:1], v3, off
.LBB15_1709:
	s_andn2_b64 vcc, exec, s[4:5]
	s_cbranch_vccnz .LBB15_1711
; %bb.1710:
	global_store_short v[0:1], v3, off
.LBB15_1711:
	s_mov_b64 s[4:5], 0
.LBB15_1712:
	s_andn2_b64 vcc, exec, s[4:5]
	s_cbranch_vccnz .LBB15_1720
; %bb.1713:
	v_and_b32_e32 v3, 0x7fffffff, v2
	s_mov_b32 s4, 0x43800000
	v_cmp_gt_u32_e32 vcc, s4, v3
	v_mov_b32_e32 v6, 0x80
	s_and_saveexec_b64 s[4:5], vcc
	s_cbranch_execz .LBB15_1719
; %bb.1714:
	s_mov_b32 s10, 0x3bffffff
	v_cmp_lt_u32_e32 vcc, s10, v3
	s_mov_b64 s[10:11], 0
                                        ; implicit-def: $vgpr3
	s_and_saveexec_b64 s[12:13], vcc
	s_xor_b64 s[12:13], exec, s[12:13]
	s_cbranch_execz .LBB15_1815
; %bb.1715:
	v_bfe_u32 v3, v2, 20, 1
	s_mov_b32 s15, 0x487ffff
	v_add3_u32 v3, v2, v3, s15
	s_mov_b64 s[10:11], exec
	v_lshrrev_b32_e32 v3, 20, v3
	s_or_saveexec_b64 s[12:13], s[12:13]
                                        ; implicit-def: $sgpr15
	s_xor_b64 exec, exec, s[12:13]
	s_cbranch_execnz .LBB15_1816
.LBB15_1716:
	s_or_b64 exec, exec, s[12:13]
	v_mov_b32_e32 v6, s15
	s_and_saveexec_b64 s[12:13], s[10:11]
.LBB15_1717:
	v_lshrrev_b32_e32 v6, 24, v2
	s_movk_i32 s10, 0x80
	v_and_or_b32 v6, v6, s10, v3
.LBB15_1718:
	s_or_b64 exec, exec, s[12:13]
.LBB15_1719:
	s_or_b64 exec, exec, s[4:5]
	global_store_byte v[0:1], v6, off
.LBB15_1720:
	s_mov_b64 s[4:5], -1
.LBB15_1721:
	s_mov_b64 s[10:11], 0
.LBB15_1722:
	s_and_b64 vcc, exec, s[10:11]
	s_cbranch_vccz .LBB15_1762
; %bb.1723:
	v_mov_b32_e32 v3, 22
	v_cmp_gt_i16_sdwa s[10:11], s33, v3 src0_sel:BYTE_0 src1_sel:DWORD
	s_mov_b64 s[2:3], -1
	s_and_b64 vcc, exec, s[10:11]
	s_cbranch_vccz .LBB15_1755
; %bb.1724:
	v_mov_b32_e32 v3, 24
	v_cmp_lt_i16_sdwa s[4:5], s33, v3 src0_sel:BYTE_0 src1_sel:DWORD
	s_and_b64 vcc, exec, s[4:5]
	s_cbranch_vccnz .LBB15_1744
; %bb.1725:
	v_cmp_gt_i16_sdwa s[4:5], s33, v3 src0_sel:BYTE_0 src1_sel:DWORD
	s_and_b64 vcc, exec, s[4:5]
	s_cbranch_vccz .LBB15_1733
; %bb.1726:
	v_and_b32_e32 v3, 0x7fffffff, v2
	s_mov_b32 s2, 0x47800000
	v_cmp_gt_u32_e32 vcc, s2, v3
	v_mov_b32_e32 v6, 0x80
	s_and_saveexec_b64 s[2:3], vcc
	s_cbranch_execz .LBB15_1732
; %bb.1727:
	s_mov_b32 s4, 0x37ffffff
	v_cmp_lt_u32_e32 vcc, s4, v3
	s_mov_b64 s[4:5], 0
                                        ; implicit-def: $vgpr3
	s_and_saveexec_b64 s[10:11], vcc
	s_xor_b64 s[10:11], exec, s[10:11]
	s_cbranch_execz .LBB15_1819
; %bb.1728:
	v_bfe_u32 v3, v2, 21, 1
	s_mov_b32 s12, 0x88fffff
	v_add3_u32 v3, v2, v3, s12
	s_mov_b64 s[4:5], exec
	v_lshrrev_b32_e32 v3, 21, v3
	s_or_saveexec_b64 s[10:11], s[10:11]
                                        ; implicit-def: $sgpr12
	s_xor_b64 exec, exec, s[10:11]
	s_cbranch_execnz .LBB15_1820
.LBB15_1729:
	s_or_b64 exec, exec, s[10:11]
	v_mov_b32_e32 v6, s12
	s_and_saveexec_b64 s[10:11], s[4:5]
.LBB15_1730:
	v_lshrrev_b32_e32 v6, 24, v2
	s_movk_i32 s4, 0x80
	v_and_or_b32 v6, v6, s4, v3
.LBB15_1731:
	s_or_b64 exec, exec, s[10:11]
.LBB15_1732:
	s_or_b64 exec, exec, s[2:3]
	s_mov_b64 s[2:3], 0
	global_store_byte v[0:1], v6, off
.LBB15_1733:
	s_and_b64 vcc, exec, s[2:3]
	s_cbranch_vccz .LBB15_1743
; %bb.1734:
	v_and_b32_e32 v6, 0x7fffffff, v2
	s_mov_b32 s2, 0x43f00000
	v_cmp_gt_u32_e32 vcc, s2, v6
                                        ; implicit-def: $vgpr3
	s_and_saveexec_b64 s[2:3], vcc
	s_xor_b64 s[2:3], exec, s[2:3]
	s_cbranch_execz .LBB15_1740
; %bb.1735:
	s_mov_b32 s4, 0x3c7fffff
	v_cmp_lt_u32_e32 vcc, s4, v6
                                        ; implicit-def: $vgpr3
	s_and_saveexec_b64 s[4:5], vcc
	s_xor_b64 s[4:5], exec, s[4:5]
; %bb.1736:
	v_bfe_u32 v3, v2, 20, 1
	s_mov_b32 s10, 0x407ffff
	v_add3_u32 v3, v2, v3, s10
	v_lshrrev_b32_e32 v6, 20, v3
	v_and_b32_e32 v3, 0xff00000, v3
	s_mov_b32 s10, 0x7f00000
	v_mov_b32_e32 v9, 0x7e
	v_cmp_ne_u32_e32 vcc, s10, v3
	v_cndmask_b32_e32 v3, v9, v6, vcc
; %bb.1737:
	s_andn2_saveexec_b64 s[4:5], s[4:5]
; %bb.1738:
	s_mov_b32 s10, 0x46800000
	v_add_f32_e64 v3, |v2|, s10
; %bb.1739:
	s_or_b64 exec, exec, s[4:5]
                                        ; implicit-def: $vgpr6
.LBB15_1740:
	s_andn2_saveexec_b64 s[2:3], s[2:3]
; %bb.1741:
	s_mov_b32 s4, 0x7f800000
	v_mov_b32_e32 v3, 0x7e
	v_mov_b32_e32 v9, 0x7f
	v_cmp_lt_u32_e32 vcc, s4, v6
	v_cndmask_b32_e32 v3, v3, v9, vcc
; %bb.1742:
	s_or_b64 exec, exec, s[2:3]
	v_lshrrev_b32_e32 v6, 24, v2
	s_movk_i32 s2, 0x80
	v_and_or_b32 v3, v6, s2, v3
	global_store_byte v[0:1], v3, off
.LBB15_1743:
	s_mov_b64 s[2:3], 0
.LBB15_1744:
	s_andn2_b64 vcc, exec, s[2:3]
	s_cbranch_vccnz .LBB15_1754
; %bb.1745:
	v_and_b32_e32 v6, 0x7fffffff, v2
	s_mov_b32 s2, 0x47800000
	v_cmp_gt_u32_e32 vcc, s2, v6
                                        ; implicit-def: $vgpr3
	s_and_saveexec_b64 s[2:3], vcc
	s_xor_b64 s[2:3], exec, s[2:3]
	s_cbranch_execz .LBB15_1751
; %bb.1746:
	s_mov_b32 s4, 0x387fffff
	v_cmp_lt_u32_e32 vcc, s4, v6
                                        ; implicit-def: $vgpr3
	s_and_saveexec_b64 s[4:5], vcc
	s_xor_b64 s[4:5], exec, s[4:5]
; %bb.1747:
	v_bfe_u32 v3, v2, 21, 1
	s_mov_b32 s10, 0x80fffff
	v_add3_u32 v3, v2, v3, s10
	v_lshrrev_b32_e32 v3, 21, v3
; %bb.1748:
	s_andn2_saveexec_b64 s[4:5], s[4:5]
; %bb.1749:
	s_mov_b32 s10, 0x43000000
	v_add_f32_e64 v3, |v2|, s10
; %bb.1750:
	s_or_b64 exec, exec, s[4:5]
                                        ; implicit-def: $vgpr6
.LBB15_1751:
	s_andn2_saveexec_b64 s[2:3], s[2:3]
; %bb.1752:
	s_mov_b32 s4, 0x7f800000
	v_mov_b32_e32 v3, 0x7c
	v_mov_b32_e32 v9, 0x7f
	v_cmp_lt_u32_e32 vcc, s4, v6
	v_cndmask_b32_e32 v3, v3, v9, vcc
; %bb.1753:
	s_or_b64 exec, exec, s[2:3]
	v_lshrrev_b32_e32 v6, 24, v2
	s_movk_i32 s2, 0x80
	v_and_or_b32 v3, v6, s2, v3
	global_store_byte v[0:1], v3, off
.LBB15_1754:
	s_mov_b64 s[2:3], 0
	s_mov_b64 s[4:5], -1
.LBB15_1755:
	s_andn2_b64 vcc, exec, s[2:3]
	s_mov_b64 s[2:3], 0
	s_cbranch_vccnz .LBB15_1762
; %bb.1756:
	v_mov_b32_e32 v3, 14
	v_cmp_gt_i16_sdwa s[2:3], s33, v3 src0_sel:BYTE_0 src1_sel:DWORD
	s_mov_b64 s[10:11], -1
	s_and_b64 vcc, exec, s[2:3]
	s_cbranch_vccz .LBB15_1760
; %bb.1757:
	v_mov_b32_e32 v3, 15
	v_cmp_eq_u16_sdwa s[2:3], s33, v3 src0_sel:BYTE_0 src1_sel:DWORD
	s_mov_b64 s[0:1], -1
	s_and_b64 vcc, exec, s[2:3]
	s_cbranch_vccz .LBB15_1759
; %bb.1758:
	v_bfe_u32 v3, v2, 16, 1
	s_movk_i32 s0, 0x7fff
	v_add3_u32 v3, v2, v3, s0
	v_lshrrev_b32_e32 v3, 16, v3
	v_mov_b32_e32 v6, 0x7fc0
	v_cmp_o_f32_e32 vcc, v2, v2
	v_cndmask_b32_e32 v3, v6, v3, vcc
	global_store_short v[0:1], v3, off
	s_mov_b64 s[0:1], 0
	s_mov_b64 s[4:5], -1
.LBB15_1759:
	s_mov_b64 s[10:11], 0
.LBB15_1760:
	s_mov_b64 s[2:3], 0
	s_and_b64 vcc, exec, s[10:11]
	s_cbranch_vccz .LBB15_1762
; %bb.1761:
	v_mov_b32_e32 v3, 11
	v_cmp_ne_u16_sdwa s[0:1], s33, v3 src0_sel:BYTE_0 src1_sel:DWORD
	s_mov_b64 s[2:3], -1
.LBB15_1762:
	s_and_b64 vcc, exec, s[0:1]
	s_cbranch_vccnz .LBB15_1818
; %bb.1763:
	s_andn2_b64 vcc, exec, s[2:3]
	s_cbranch_vccnz .LBB15_1765
.LBB15_1764:
	v_cmp_neq_f32_e32 vcc, 0, v2
	v_cndmask_b32_e64 v3, 0, 1, vcc
	s_mov_b64 s[4:5], -1
	global_store_byte v[0:1], v3, off
.LBB15_1765:
	s_mov_b64 s[0:1], 0
.LBB15_1766:
	s_and_b64 vcc, exec, s[0:1]
	s_cbranch_vccz .LBB15_1805
; %bb.1767:
	v_mov_b32_e32 v3, 5
	v_cmp_lt_i16_sdwa s[2:3], s33, v3 src0_sel:BYTE_0 src1_sel:DWORD
	s_mov_b64 s[0:1], -1
	s_and_b64 vcc, exec, s[2:3]
	s_cbranch_vccnz .LBB15_1788
; %bb.1768:
	v_mov_b32_e32 v3, 8
	v_cmp_lt_i16_sdwa s[2:3], s33, v3 src0_sel:BYTE_0 src1_sel:DWORD
	s_and_b64 vcc, exec, s[2:3]
	s_cbranch_vccnz .LBB15_1778
; %bb.1769:
	v_mov_b32_e32 v3, 9
	v_cmp_lt_i16_sdwa s[2:3], s33, v3 src0_sel:BYTE_0 src1_sel:DWORD
	s_and_b64 vcc, exec, s[2:3]
	s_cbranch_vccnz .LBB15_1775
; %bb.1770:
	v_cmp_gt_i16_sdwa s[2:3], s33, v3 src0_sel:BYTE_0 src1_sel:DWORD
	s_and_b64 vcc, exec, s[2:3]
	s_cbranch_vccz .LBB15_1772
; %bb.1771:
	v_mov_b32_e32 v14, 0
	v_cvt_f64_f32_e32 v[12:13], v2
	v_mov_b32_e32 v15, v14
	global_store_dwordx4 v[0:1], v[12:15], off
	s_mov_b64 s[0:1], 0
.LBB15_1772:
	s_andn2_b64 vcc, exec, s[0:1]
	s_cbranch_vccnz .LBB15_1774
; %bb.1773:
	v_mov_b32_e32 v3, 0
	global_store_dwordx2 v[0:1], v[2:3], off
.LBB15_1774:
	s_mov_b64 s[0:1], 0
.LBB15_1775:
	s_andn2_b64 vcc, exec, s[0:1]
	s_cbranch_vccnz .LBB15_1777
; %bb.1776:
	v_cvt_f16_f32_e32 v3, v2
	global_store_dword v[0:1], v3, off
.LBB15_1777:
	s_mov_b64 s[0:1], 0
.LBB15_1778:
	s_andn2_b64 vcc, exec, s[0:1]
	s_cbranch_vccnz .LBB15_1787
; %bb.1779:
	v_mov_b32_e32 v3, 6
	v_cmp_lt_i16_sdwa s[2:3], s33, v3 src0_sel:BYTE_0 src1_sel:DWORD
	s_mov_b64 s[0:1], -1
	s_and_b64 vcc, exec, s[2:3]
	s_cbranch_vccnz .LBB15_1785
; %bb.1780:
	v_cmp_gt_i16_sdwa s[2:3], s33, v3 src0_sel:BYTE_0 src1_sel:DWORD
	s_and_b64 vcc, exec, s[2:3]
	s_cbranch_vccz .LBB15_1782
; %bb.1781:
	v_cvt_f64_f32_e32 v[12:13], v2
	global_store_dwordx2 v[0:1], v[12:13], off
	s_mov_b64 s[0:1], 0
.LBB15_1782:
	s_andn2_b64 vcc, exec, s[0:1]
	s_cbranch_vccnz .LBB15_1784
; %bb.1783:
	global_store_dword v[0:1], v2, off
.LBB15_1784:
	s_mov_b64 s[0:1], 0
.LBB15_1785:
	s_andn2_b64 vcc, exec, s[0:1]
	s_cbranch_vccnz .LBB15_1787
; %bb.1786:
	v_cvt_f16_f32_e32 v3, v2
	global_store_short v[0:1], v3, off
.LBB15_1787:
	s_mov_b64 s[0:1], 0
.LBB15_1788:
	s_andn2_b64 vcc, exec, s[0:1]
	s_cbranch_vccnz .LBB15_1804
; %bb.1789:
	v_mov_b32_e32 v3, 2
	v_cmp_lt_i16_sdwa s[2:3], s33, v3 src0_sel:BYTE_0 src1_sel:DWORD
	s_mov_b64 s[0:1], -1
	s_and_b64 vcc, exec, s[2:3]
	s_cbranch_vccnz .LBB15_1799
; %bb.1790:
	v_mov_b32_e32 v3, 3
	v_cmp_lt_i16_sdwa s[2:3], s33, v3 src0_sel:BYTE_0 src1_sel:DWORD
	s_and_b64 vcc, exec, s[2:3]
	s_cbranch_vccnz .LBB15_1796
; %bb.1791:
	v_cmp_gt_i16_sdwa s[2:3], s33, v3 src0_sel:BYTE_0 src1_sel:DWORD
	s_and_b64 vcc, exec, s[2:3]
	s_cbranch_vccz .LBB15_1793
; %bb.1792:
	v_trunc_f32_e32 v3, v2
	s_mov_b32 s0, 0x2f800000
	v_mul_f32_e64 v6, |v3|, s0
	v_floor_f32_e32 v6, v6
	s_mov_b32 s0, 0xcf800000
	v_cvt_u32_f32_e32 v9, v6
	v_fma_f32 v6, v6, s0, |v3|
	v_cvt_u32_f32_e32 v6, v6
	v_ashrrev_i32_e32 v3, 31, v3
	v_xor_b32_e32 v9, v9, v3
	s_mov_b64 s[0:1], 0
	v_xor_b32_e32 v6, v6, v3
	v_sub_co_u32_e32 v12, vcc, v6, v3
	v_subb_co_u32_e32 v13, vcc, v9, v3, vcc
	global_store_dwordx2 v[0:1], v[12:13], off
.LBB15_1793:
	s_andn2_b64 vcc, exec, s[0:1]
	s_cbranch_vccnz .LBB15_1795
; %bb.1794:
	v_cvt_i32_f32_e32 v3, v2
	global_store_dword v[0:1], v3, off
.LBB15_1795:
	s_mov_b64 s[0:1], 0
.LBB15_1796:
	s_andn2_b64 vcc, exec, s[0:1]
	s_cbranch_vccnz .LBB15_1798
; %bb.1797:
	v_cvt_i32_f32_e32 v3, v2
	global_store_short v[0:1], v3, off
.LBB15_1798:
	s_mov_b64 s[0:1], 0
.LBB15_1799:
	s_andn2_b64 vcc, exec, s[0:1]
	s_cbranch_vccnz .LBB15_1804
; %bb.1800:
	v_mov_b32_e32 v3, 0
	v_cmp_gt_i16_sdwa s[2:3], s33, v3 src0_sel:BYTE_0 src1_sel:DWORD
	s_mov_b64 s[0:1], -1
	s_and_b64 vcc, exec, s[2:3]
	s_cbranch_vccz .LBB15_1802
; %bb.1801:
	v_cvt_i32_f32_e32 v3, v2
	s_mov_b64 s[0:1], 0
	global_store_byte v[0:1], v3, off
.LBB15_1802:
	s_andn2_b64 vcc, exec, s[0:1]
	s_cbranch_vccnz .LBB15_1804
; %bb.1803:
	v_trunc_f32_e32 v2, v2
	s_mov_b32 s0, 0x2f800000
	v_mul_f32_e64 v3, |v2|, s0
	v_floor_f32_e32 v3, v3
	s_mov_b32 s0, 0xcf800000
	v_fma_f32 v3, v3, s0, |v2|
	v_cvt_u32_f32_e32 v3, v3
	v_ashrrev_i32_e32 v2, 31, v2
	v_xor_b32_e32 v3, v3, v2
	v_sub_u32_e32 v2, v3, v2
	global_store_byte v[0:1], v2, off
.LBB15_1804:
	s_mov_b64 s[4:5], -1
.LBB15_1805:
	s_andn2_b64 vcc, exec, s[4:5]
	s_cbranch_vccnz .LBB15_2009
; %bb.1806:
	v_mul_f32_e32 v0, v7, v10
	v_cmp_eq_f32_e32 vcc, 1.0, v10
	v_add_u32_e32 v4, s14, v4
	v_cndmask_b32_e32 v2, v0, v7, vcc
	v_ashrrev_i32_e32 v1, 31, v4
	v_mov_b32_e32 v3, s9
	v_add_co_u32_e32 v0, vcc, s8, v4
	v_addc_co_u32_e32 v1, vcc, v3, v1, vcc
	v_mov_b32_e32 v3, 11
	v_cmp_lt_i16_sdwa s[0:1], s33, v3 src0_sel:BYTE_0 src1_sel:DWORD
	s_and_b64 vcc, exec, s[0:1]
	s_cbranch_vccnz .LBB15_1813
; %bb.1807:
	v_mov_b32_e32 v3, 25
	v_cmp_gt_i16_sdwa s[0:1], s33, v3 src0_sel:BYTE_0 src1_sel:DWORD
	s_mov_b64 s[10:11], -1
	s_mov_b64 s[2:3], 0
	s_and_b64 vcc, exec, s[0:1]
	s_mov_b64 s[4:5], 0
	s_mov_b64 s[0:1], 0
	s_cbranch_vccz .LBB15_1849
; %bb.1808:
	v_mov_b32_e32 v3, 28
	v_cmp_gt_i16_sdwa s[0:1], s33, v3 src0_sel:BYTE_0 src1_sel:DWORD
	s_and_b64 vcc, exec, s[0:1]
	s_cbranch_vccz .LBB15_1814
; %bb.1809:
	v_mov_b32_e32 v3, 43
	v_cmp_gt_i16_sdwa s[0:1], s33, v3 src0_sel:BYTE_0 src1_sel:DWORD
	s_and_b64 vcc, exec, s[0:1]
	;; [unrolled: 5-line block ×3, first 2 shown]
	s_cbranch_vccz .LBB15_1821
; %bb.1811:
	v_mov_b32_e32 v3, 46
	v_cmp_eq_u16_sdwa s[4:5], s33, v3 src0_sel:BYTE_0 src1_sel:DWORD
	s_mov_b64 s[0:1], -1
	s_mov_b64 s[10:11], 0
	s_and_b64 vcc, exec, s[4:5]
	s_mov_b64 s[4:5], 0
	s_cbranch_vccz .LBB15_1822
; %bb.1812:
	v_bfe_u32 v3, v2, 16, 1
	s_movk_i32 s0, 0x7fff
	v_add3_u32 v3, v2, v3, s0
	v_lshrrev_b32_e32 v3, 16, v3
	v_mov_b32_e32 v6, 0x7fc0
	v_cmp_o_f32_e32 vcc, v2, v2
	v_cndmask_b32_e32 v3, v6, v3, vcc
	global_store_dword v[0:1], v3, off
	s_mov_b64 s[0:1], 0
	s_mov_b64 s[4:5], -1
	s_branch .LBB15_1822
.LBB15_1813:
	s_mov_b64 s[0:1], -1
	s_mov_b64 s[4:5], 0
	s_branch .LBB15_1893
.LBB15_1814:
	s_mov_b64 s[0:1], 0
	s_branch .LBB15_1832
.LBB15_1815:
	s_or_saveexec_b64 s[12:13], s[12:13]
                                        ; implicit-def: $sgpr15
	s_xor_b64 exec, exec, s[12:13]
	s_cbranch_execz .LBB15_1716
.LBB15_1816:
	s_mov_b32 s15, 0x46000000
	v_add_f32_e64 v3, |v2|, s15
	v_and_b32_e32 v3, 0xff, v3
	v_cmp_ne_u32_e32 vcc, 0, v3
	s_andn2_b64 s[10:11], s[10:11], exec
	s_and_b64 s[20:21], vcc, exec
	s_mov_b32 s15, 0
	s_or_b64 s[10:11], s[10:11], s[20:21]
	s_or_b64 exec, exec, s[12:13]
	v_mov_b32_e32 v6, s15
	s_and_saveexec_b64 s[12:13], s[10:11]
	s_cbranch_execnz .LBB15_1717
	s_branch .LBB15_1718
.LBB15_1817:
	s_mov_b64 s[0:1], 0
	s_branch .LBB15_1828
.LBB15_1818:
	s_trap 2
	s_or_b64 s[18:19], s[18:19], exec
	s_cbranch_execz .LBB15_1764
	s_branch .LBB15_1765
.LBB15_1819:
	s_or_saveexec_b64 s[10:11], s[10:11]
                                        ; implicit-def: $sgpr12
	s_xor_b64 exec, exec, s[10:11]
	s_cbranch_execz .LBB15_1729
.LBB15_1820:
	s_mov_b32 s12, 0x42800000
	v_add_f32_e64 v3, |v2|, s12
	v_and_b32_e32 v3, 0xff, v3
	v_cmp_ne_u32_e32 vcc, 0, v3
	s_andn2_b64 s[4:5], s[4:5], exec
	s_and_b64 s[20:21], vcc, exec
	s_mov_b32 s12, 0
	s_or_b64 s[4:5], s[4:5], s[20:21]
	s_or_b64 exec, exec, s[10:11]
	v_mov_b32_e32 v6, s12
	s_and_saveexec_b64 s[10:11], s[4:5]
	s_cbranch_execnz .LBB15_1730
	s_branch .LBB15_1731
.LBB15_1821:
	s_mov_b64 s[0:1], 0
.LBB15_1822:
	s_and_b64 vcc, exec, s[10:11]
	s_cbranch_vccz .LBB15_1827
; %bb.1823:
	v_mov_b32_e32 v3, 44
	v_cmp_eq_u16_sdwa s[10:11], s33, v3 src0_sel:BYTE_0 src1_sel:DWORD
	s_mov_b64 s[0:1], -1
	s_and_b64 vcc, exec, s[10:11]
	s_cbranch_vccz .LBB15_1827
; %bb.1824:
	v_bfe_u32 v3, v2, 23, 8
	s_movk_i32 s0, 0xff
	v_cmp_ne_u32_e32 vcc, s0, v3
	v_mov_b32_e32 v6, 0xff
	s_and_saveexec_b64 s[4:5], vcc
; %bb.1825:
	s_mov_b32 s0, 0x3fffff
	v_and_b32_e32 v7, 0x400000, v2
	v_and_or_b32 v3, v2, s0, v3
	v_cmp_ne_u32_e32 vcc, 0, v7
	v_cmp_ne_u32_e64 s[0:1], 0, v3
	s_and_b64 s[0:1], vcc, s[0:1]
	v_lshrrev_b32_e32 v6, 23, v2
	v_cndmask_b32_e64 v3, 0, 1, s[0:1]
	v_add_u32_e32 v6, v6, v3
; %bb.1826:
	s_or_b64 exec, exec, s[4:5]
	s_mov_b64 s[0:1], 0
	s_mov_b64 s[4:5], -1
	global_store_byte v[0:1], v6, off
.LBB15_1827:
	s_mov_b64 s[10:11], 0
.LBB15_1828:
	s_and_b64 vcc, exec, s[10:11]
	s_cbranch_vccz .LBB15_1831
; %bb.1829:
	v_mov_b32_e32 v3, 29
	v_cmp_eq_u16_sdwa s[10:11], s33, v3 src0_sel:BYTE_0 src1_sel:DWORD
	s_mov_b64 s[0:1], -1
	s_and_b64 vcc, exec, s[10:11]
	s_cbranch_vccz .LBB15_1831
; %bb.1830:
	v_trunc_f32_e32 v3, v2
	v_mul_f32_e32 v6, 0x2f800000, v3
	v_floor_f32_e32 v6, v6
	v_fmac_f32_e32 v3, 0xcf800000, v6
	v_cvt_u32_f32_e32 v7, v6
	v_cvt_u32_f32_e32 v6, v3
	s_mov_b64 s[0:1], 0
	s_mov_b64 s[4:5], -1
	s_mov_b64 s[10:11], 0
	global_store_dwordx2 v[0:1], v[6:7], off
	s_branch .LBB15_1832
.LBB15_1831:
	s_mov_b64 s[10:11], 0
.LBB15_1832:
	s_and_b64 vcc, exec, s[10:11]
	s_cbranch_vccz .LBB15_1848
; %bb.1833:
	v_mov_b32_e32 v3, 27
	v_cmp_lt_i16_sdwa s[10:11], s33, v3 src0_sel:BYTE_0 src1_sel:DWORD
	s_mov_b64 s[4:5], -1
	s_and_b64 vcc, exec, s[10:11]
	s_cbranch_vccnz .LBB15_1839
; %bb.1834:
	v_cmp_gt_i16_sdwa s[10:11], s33, v3 src0_sel:BYTE_0 src1_sel:DWORD
	v_cvt_u32_f32_e32 v3, v2
	s_and_b64 vcc, exec, s[10:11]
	s_cbranch_vccz .LBB15_1836
; %bb.1835:
	s_mov_b64 s[4:5], 0
	global_store_dword v[0:1], v3, off
.LBB15_1836:
	s_andn2_b64 vcc, exec, s[4:5]
	s_cbranch_vccnz .LBB15_1838
; %bb.1837:
	global_store_short v[0:1], v3, off
.LBB15_1838:
	s_mov_b64 s[4:5], 0
.LBB15_1839:
	s_andn2_b64 vcc, exec, s[4:5]
	s_cbranch_vccnz .LBB15_1847
; %bb.1840:
	v_and_b32_e32 v3, 0x7fffffff, v2
	s_mov_b32 s4, 0x43800000
	v_cmp_gt_u32_e32 vcc, s4, v3
	v_mov_b32_e32 v6, 0x80
	s_and_saveexec_b64 s[4:5], vcc
	s_cbranch_execz .LBB15_1846
; %bb.1841:
	s_mov_b32 s10, 0x3bffffff
	v_cmp_lt_u32_e32 vcc, s10, v3
	s_mov_b64 s[10:11], 0
                                        ; implicit-def: $vgpr3
	s_and_saveexec_b64 s[12:13], vcc
	s_xor_b64 s[12:13], exec, s[12:13]
	s_cbranch_execz .LBB15_2055
; %bb.1842:
	v_bfe_u32 v3, v2, 20, 1
	s_mov_b32 s15, 0x487ffff
	v_add3_u32 v3, v2, v3, s15
	s_mov_b64 s[10:11], exec
	v_lshrrev_b32_e32 v3, 20, v3
	s_or_saveexec_b64 s[12:13], s[12:13]
                                        ; implicit-def: $sgpr15
	s_xor_b64 exec, exec, s[12:13]
	s_cbranch_execnz .LBB15_2056
.LBB15_1843:
	s_or_b64 exec, exec, s[12:13]
	v_mov_b32_e32 v6, s15
	s_and_saveexec_b64 s[12:13], s[10:11]
.LBB15_1844:
	v_lshrrev_b32_e32 v6, 24, v2
	s_movk_i32 s10, 0x80
	v_and_or_b32 v6, v6, s10, v3
.LBB15_1845:
	s_or_b64 exec, exec, s[12:13]
.LBB15_1846:
	s_or_b64 exec, exec, s[4:5]
	global_store_byte v[0:1], v6, off
.LBB15_1847:
	s_mov_b64 s[4:5], -1
.LBB15_1848:
	s_mov_b64 s[10:11], 0
.LBB15_1849:
	s_and_b64 vcc, exec, s[10:11]
	s_cbranch_vccz .LBB15_1889
; %bb.1850:
	v_mov_b32_e32 v3, 22
	v_cmp_gt_i16_sdwa s[10:11], s33, v3 src0_sel:BYTE_0 src1_sel:DWORD
	s_mov_b64 s[2:3], -1
	s_and_b64 vcc, exec, s[10:11]
	s_cbranch_vccz .LBB15_1882
; %bb.1851:
	v_mov_b32_e32 v3, 24
	v_cmp_lt_i16_sdwa s[4:5], s33, v3 src0_sel:BYTE_0 src1_sel:DWORD
	s_and_b64 vcc, exec, s[4:5]
	s_cbranch_vccnz .LBB15_1871
; %bb.1852:
	v_cmp_gt_i16_sdwa s[4:5], s33, v3 src0_sel:BYTE_0 src1_sel:DWORD
	s_and_b64 vcc, exec, s[4:5]
	s_cbranch_vccz .LBB15_1860
; %bb.1853:
	v_and_b32_e32 v3, 0x7fffffff, v2
	s_mov_b32 s2, 0x47800000
	v_cmp_gt_u32_e32 vcc, s2, v3
	v_mov_b32_e32 v6, 0x80
	s_and_saveexec_b64 s[2:3], vcc
	s_cbranch_execz .LBB15_1859
; %bb.1854:
	s_mov_b32 s4, 0x37ffffff
	v_cmp_lt_u32_e32 vcc, s4, v3
	s_mov_b64 s[4:5], 0
                                        ; implicit-def: $vgpr3
	s_and_saveexec_b64 s[10:11], vcc
	s_xor_b64 s[10:11], exec, s[10:11]
	s_cbranch_execz .LBB15_2058
; %bb.1855:
	v_bfe_u32 v3, v2, 21, 1
	s_mov_b32 s12, 0x88fffff
	v_add3_u32 v3, v2, v3, s12
	s_mov_b64 s[4:5], exec
	v_lshrrev_b32_e32 v3, 21, v3
	s_or_saveexec_b64 s[10:11], s[10:11]
                                        ; implicit-def: $sgpr12
	s_xor_b64 exec, exec, s[10:11]
	s_cbranch_execnz .LBB15_2059
.LBB15_1856:
	s_or_b64 exec, exec, s[10:11]
	v_mov_b32_e32 v6, s12
	s_and_saveexec_b64 s[10:11], s[4:5]
.LBB15_1857:
	v_lshrrev_b32_e32 v6, 24, v2
	s_movk_i32 s4, 0x80
	v_and_or_b32 v6, v6, s4, v3
.LBB15_1858:
	s_or_b64 exec, exec, s[10:11]
.LBB15_1859:
	s_or_b64 exec, exec, s[2:3]
	s_mov_b64 s[2:3], 0
	global_store_byte v[0:1], v6, off
.LBB15_1860:
	s_and_b64 vcc, exec, s[2:3]
	s_cbranch_vccz .LBB15_1870
; %bb.1861:
	v_and_b32_e32 v6, 0x7fffffff, v2
	s_mov_b32 s2, 0x43f00000
	v_cmp_gt_u32_e32 vcc, s2, v6
                                        ; implicit-def: $vgpr3
	s_and_saveexec_b64 s[2:3], vcc
	s_xor_b64 s[2:3], exec, s[2:3]
	s_cbranch_execz .LBB15_1867
; %bb.1862:
	s_mov_b32 s4, 0x3c7fffff
	v_cmp_lt_u32_e32 vcc, s4, v6
                                        ; implicit-def: $vgpr3
	s_and_saveexec_b64 s[4:5], vcc
	s_xor_b64 s[4:5], exec, s[4:5]
; %bb.1863:
	v_bfe_u32 v3, v2, 20, 1
	s_mov_b32 s10, 0x407ffff
	v_add3_u32 v3, v2, v3, s10
	v_lshrrev_b32_e32 v6, 20, v3
	v_and_b32_e32 v3, 0xff00000, v3
	s_mov_b32 s10, 0x7f00000
	v_mov_b32_e32 v7, 0x7e
	v_cmp_ne_u32_e32 vcc, s10, v3
	v_cndmask_b32_e32 v3, v7, v6, vcc
; %bb.1864:
	s_andn2_saveexec_b64 s[4:5], s[4:5]
; %bb.1865:
	s_mov_b32 s10, 0x46800000
	v_add_f32_e64 v3, |v2|, s10
; %bb.1866:
	s_or_b64 exec, exec, s[4:5]
                                        ; implicit-def: $vgpr6
.LBB15_1867:
	s_andn2_saveexec_b64 s[2:3], s[2:3]
; %bb.1868:
	s_mov_b32 s4, 0x7f800000
	v_mov_b32_e32 v3, 0x7e
	v_mov_b32_e32 v7, 0x7f
	v_cmp_lt_u32_e32 vcc, s4, v6
	v_cndmask_b32_e32 v3, v3, v7, vcc
; %bb.1869:
	s_or_b64 exec, exec, s[2:3]
	v_lshrrev_b32_e32 v6, 24, v2
	s_movk_i32 s2, 0x80
	v_and_or_b32 v3, v6, s2, v3
	global_store_byte v[0:1], v3, off
.LBB15_1870:
	s_mov_b64 s[2:3], 0
.LBB15_1871:
	s_andn2_b64 vcc, exec, s[2:3]
	s_cbranch_vccnz .LBB15_1881
; %bb.1872:
	v_and_b32_e32 v6, 0x7fffffff, v2
	s_mov_b32 s2, 0x47800000
	v_cmp_gt_u32_e32 vcc, s2, v6
                                        ; implicit-def: $vgpr3
	s_and_saveexec_b64 s[2:3], vcc
	s_xor_b64 s[2:3], exec, s[2:3]
	s_cbranch_execz .LBB15_1878
; %bb.1873:
	s_mov_b32 s4, 0x387fffff
	v_cmp_lt_u32_e32 vcc, s4, v6
                                        ; implicit-def: $vgpr3
	s_and_saveexec_b64 s[4:5], vcc
	s_xor_b64 s[4:5], exec, s[4:5]
; %bb.1874:
	v_bfe_u32 v3, v2, 21, 1
	s_mov_b32 s10, 0x80fffff
	v_add3_u32 v3, v2, v3, s10
	v_lshrrev_b32_e32 v3, 21, v3
; %bb.1875:
	s_andn2_saveexec_b64 s[4:5], s[4:5]
; %bb.1876:
	s_mov_b32 s10, 0x43000000
	v_add_f32_e64 v3, |v2|, s10
; %bb.1877:
	s_or_b64 exec, exec, s[4:5]
                                        ; implicit-def: $vgpr6
.LBB15_1878:
	s_andn2_saveexec_b64 s[2:3], s[2:3]
; %bb.1879:
	s_mov_b32 s4, 0x7f800000
	v_mov_b32_e32 v3, 0x7c
	v_mov_b32_e32 v7, 0x7f
	v_cmp_lt_u32_e32 vcc, s4, v6
	v_cndmask_b32_e32 v3, v3, v7, vcc
; %bb.1880:
	s_or_b64 exec, exec, s[2:3]
	v_lshrrev_b32_e32 v6, 24, v2
	s_movk_i32 s2, 0x80
	v_and_or_b32 v3, v6, s2, v3
	global_store_byte v[0:1], v3, off
.LBB15_1881:
	s_mov_b64 s[2:3], 0
	s_mov_b64 s[4:5], -1
.LBB15_1882:
	s_andn2_b64 vcc, exec, s[2:3]
	s_mov_b64 s[2:3], 0
	s_cbranch_vccnz .LBB15_1889
; %bb.1883:
	v_mov_b32_e32 v3, 14
	v_cmp_gt_i16_sdwa s[2:3], s33, v3 src0_sel:BYTE_0 src1_sel:DWORD
	s_mov_b64 s[10:11], -1
	s_and_b64 vcc, exec, s[2:3]
	s_cbranch_vccz .LBB15_1887
; %bb.1884:
	v_mov_b32_e32 v3, 15
	v_cmp_eq_u16_sdwa s[2:3], s33, v3 src0_sel:BYTE_0 src1_sel:DWORD
	s_mov_b64 s[0:1], -1
	s_and_b64 vcc, exec, s[2:3]
	s_cbranch_vccz .LBB15_1886
; %bb.1885:
	v_bfe_u32 v3, v2, 16, 1
	s_movk_i32 s0, 0x7fff
	v_add3_u32 v3, v2, v3, s0
	v_lshrrev_b32_e32 v3, 16, v3
	v_mov_b32_e32 v6, 0x7fc0
	v_cmp_o_f32_e32 vcc, v2, v2
	v_cndmask_b32_e32 v3, v6, v3, vcc
	global_store_short v[0:1], v3, off
	s_mov_b64 s[0:1], 0
	s_mov_b64 s[4:5], -1
.LBB15_1886:
	s_mov_b64 s[10:11], 0
.LBB15_1887:
	s_mov_b64 s[2:3], 0
	s_and_b64 vcc, exec, s[10:11]
	s_cbranch_vccz .LBB15_1889
; %bb.1888:
	v_mov_b32_e32 v3, 11
	v_cmp_ne_u16_sdwa s[0:1], s33, v3 src0_sel:BYTE_0 src1_sel:DWORD
	s_mov_b64 s[2:3], -1
.LBB15_1889:
	s_and_b64 vcc, exec, s[0:1]
	s_cbranch_vccnz .LBB15_2057
; %bb.1890:
	s_andn2_b64 vcc, exec, s[2:3]
	s_cbranch_vccnz .LBB15_1892
.LBB15_1891:
	v_cmp_neq_f32_e32 vcc, 0, v2
	v_cndmask_b32_e64 v3, 0, 1, vcc
	s_mov_b64 s[4:5], -1
	global_store_byte v[0:1], v3, off
.LBB15_1892:
	s_mov_b64 s[0:1], 0
.LBB15_1893:
	s_and_b64 vcc, exec, s[0:1]
	s_cbranch_vccz .LBB15_1932
; %bb.1894:
	v_mov_b32_e32 v3, 5
	v_cmp_lt_i16_sdwa s[2:3], s33, v3 src0_sel:BYTE_0 src1_sel:DWORD
	s_mov_b64 s[0:1], -1
	s_and_b64 vcc, exec, s[2:3]
	s_cbranch_vccnz .LBB15_1915
; %bb.1895:
	v_mov_b32_e32 v3, 8
	v_cmp_lt_i16_sdwa s[2:3], s33, v3 src0_sel:BYTE_0 src1_sel:DWORD
	s_and_b64 vcc, exec, s[2:3]
	s_cbranch_vccnz .LBB15_1905
; %bb.1896:
	v_mov_b32_e32 v3, 9
	v_cmp_lt_i16_sdwa s[2:3], s33, v3 src0_sel:BYTE_0 src1_sel:DWORD
	s_and_b64 vcc, exec, s[2:3]
	s_cbranch_vccnz .LBB15_1902
; %bb.1897:
	v_cmp_gt_i16_sdwa s[2:3], s33, v3 src0_sel:BYTE_0 src1_sel:DWORD
	s_and_b64 vcc, exec, s[2:3]
	s_cbranch_vccz .LBB15_1899
; %bb.1898:
	v_mov_b32_e32 v12, 0
	v_cvt_f64_f32_e32 v[10:11], v2
	v_mov_b32_e32 v13, v12
	global_store_dwordx4 v[0:1], v[10:13], off
	s_mov_b64 s[0:1], 0
.LBB15_1899:
	s_andn2_b64 vcc, exec, s[0:1]
	s_cbranch_vccnz .LBB15_1901
; %bb.1900:
	v_mov_b32_e32 v3, 0
	global_store_dwordx2 v[0:1], v[2:3], off
.LBB15_1901:
	s_mov_b64 s[0:1], 0
.LBB15_1902:
	s_andn2_b64 vcc, exec, s[0:1]
	s_cbranch_vccnz .LBB15_1904
; %bb.1903:
	v_cvt_f16_f32_e32 v3, v2
	global_store_dword v[0:1], v3, off
.LBB15_1904:
	s_mov_b64 s[0:1], 0
.LBB15_1905:
	s_andn2_b64 vcc, exec, s[0:1]
	s_cbranch_vccnz .LBB15_1914
; %bb.1906:
	v_mov_b32_e32 v3, 6
	v_cmp_lt_i16_sdwa s[2:3], s33, v3 src0_sel:BYTE_0 src1_sel:DWORD
	s_mov_b64 s[0:1], -1
	s_and_b64 vcc, exec, s[2:3]
	s_cbranch_vccnz .LBB15_1912
; %bb.1907:
	v_cmp_gt_i16_sdwa s[2:3], s33, v3 src0_sel:BYTE_0 src1_sel:DWORD
	s_and_b64 vcc, exec, s[2:3]
	s_cbranch_vccz .LBB15_1909
; %bb.1908:
	v_cvt_f64_f32_e32 v[6:7], v2
	global_store_dwordx2 v[0:1], v[6:7], off
	s_mov_b64 s[0:1], 0
.LBB15_1909:
	s_andn2_b64 vcc, exec, s[0:1]
	s_cbranch_vccnz .LBB15_1911
; %bb.1910:
	global_store_dword v[0:1], v2, off
.LBB15_1911:
	s_mov_b64 s[0:1], 0
.LBB15_1912:
	s_andn2_b64 vcc, exec, s[0:1]
	s_cbranch_vccnz .LBB15_1914
; %bb.1913:
	v_cvt_f16_f32_e32 v3, v2
	global_store_short v[0:1], v3, off
.LBB15_1914:
	s_mov_b64 s[0:1], 0
.LBB15_1915:
	s_andn2_b64 vcc, exec, s[0:1]
	s_cbranch_vccnz .LBB15_1931
; %bb.1916:
	v_mov_b32_e32 v3, 2
	v_cmp_lt_i16_sdwa s[2:3], s33, v3 src0_sel:BYTE_0 src1_sel:DWORD
	s_mov_b64 s[0:1], -1
	s_and_b64 vcc, exec, s[2:3]
	s_cbranch_vccnz .LBB15_1926
; %bb.1917:
	v_mov_b32_e32 v3, 3
	v_cmp_lt_i16_sdwa s[2:3], s33, v3 src0_sel:BYTE_0 src1_sel:DWORD
	s_and_b64 vcc, exec, s[2:3]
	s_cbranch_vccnz .LBB15_1923
; %bb.1918:
	v_cmp_gt_i16_sdwa s[2:3], s33, v3 src0_sel:BYTE_0 src1_sel:DWORD
	s_and_b64 vcc, exec, s[2:3]
	s_cbranch_vccz .LBB15_1920
; %bb.1919:
	v_trunc_f32_e32 v3, v2
	s_mov_b32 s0, 0x2f800000
	v_mul_f32_e64 v6, |v3|, s0
	v_floor_f32_e32 v6, v6
	s_mov_b32 s0, 0xcf800000
	v_cvt_u32_f32_e32 v7, v6
	v_fma_f32 v6, v6, s0, |v3|
	v_cvt_u32_f32_e32 v6, v6
	v_ashrrev_i32_e32 v3, 31, v3
	v_xor_b32_e32 v7, v7, v3
	s_mov_b64 s[0:1], 0
	v_xor_b32_e32 v6, v6, v3
	v_sub_co_u32_e32 v6, vcc, v6, v3
	v_subb_co_u32_e32 v7, vcc, v7, v3, vcc
	global_store_dwordx2 v[0:1], v[6:7], off
.LBB15_1920:
	s_andn2_b64 vcc, exec, s[0:1]
	s_cbranch_vccnz .LBB15_1922
; %bb.1921:
	v_cvt_i32_f32_e32 v3, v2
	global_store_dword v[0:1], v3, off
.LBB15_1922:
	s_mov_b64 s[0:1], 0
.LBB15_1923:
	s_andn2_b64 vcc, exec, s[0:1]
	s_cbranch_vccnz .LBB15_1925
; %bb.1924:
	v_cvt_i32_f32_e32 v3, v2
	global_store_short v[0:1], v3, off
.LBB15_1925:
	s_mov_b64 s[0:1], 0
.LBB15_1926:
	s_andn2_b64 vcc, exec, s[0:1]
	s_cbranch_vccnz .LBB15_1931
; %bb.1927:
	v_mov_b32_e32 v3, 0
	v_cmp_gt_i16_sdwa s[2:3], s33, v3 src0_sel:BYTE_0 src1_sel:DWORD
	s_mov_b64 s[0:1], -1
	s_and_b64 vcc, exec, s[2:3]
	s_cbranch_vccz .LBB15_1929
; %bb.1928:
	v_cvt_i32_f32_e32 v3, v2
	s_mov_b64 s[0:1], 0
	global_store_byte v[0:1], v3, off
.LBB15_1929:
	s_andn2_b64 vcc, exec, s[0:1]
	s_cbranch_vccnz .LBB15_1931
; %bb.1930:
	v_trunc_f32_e32 v2, v2
	s_mov_b32 s0, 0x2f800000
	v_mul_f32_e64 v3, |v2|, s0
	v_floor_f32_e32 v3, v3
	s_mov_b32 s0, 0xcf800000
	v_fma_f32 v3, v3, s0, |v2|
	v_cvt_u32_f32_e32 v3, v3
	v_ashrrev_i32_e32 v2, 31, v2
	v_xor_b32_e32 v3, v3, v2
	v_sub_u32_e32 v2, v3, v2
	global_store_byte v[0:1], v2, off
.LBB15_1931:
	s_mov_b64 s[4:5], -1
.LBB15_1932:
	s_andn2_b64 vcc, exec, s[4:5]
	s_cbranch_vccnz .LBB15_2009
; %bb.1933:
	s_waitcnt vmcnt(0)
	v_mul_f32_e32 v0, v8, v5
	v_cmp_eq_f32_e32 vcc, 1.0, v5
	v_cndmask_b32_e32 v2, v0, v8, vcc
	v_add_u32_e32 v0, s14, v4
	v_ashrrev_i32_e32 v1, 31, v0
	v_mov_b32_e32 v3, s9
	v_add_co_u32_e32 v0, vcc, s8, v0
	v_addc_co_u32_e32 v1, vcc, v3, v1, vcc
	v_mov_b32_e32 v3, 0xff
	v_and_b32_e32 v6, s33, v3
	v_cmp_gt_i16_e32 vcc, 11, v6
	s_cbranch_vccnz .LBB15_2054
; %bb.1934:
	v_cmp_lt_i16_e32 vcc, 25, v6
	s_mov_b64 s[4:5], -1
	s_mov_b64 s[2:3], 0
	s_mov_b64 s[0:1], 0
	s_cbranch_vccz .LBB15_1967
; %bb.1935:
	v_cmp_lt_i16_e32 vcc, 28, v6
	s_cbranch_vccz .LBB15_1951
; %bb.1936:
	v_cmp_lt_i16_e32 vcc, 43, v6
	;; [unrolled: 3-line block ×3, first 2 shown]
	s_cbranch_vccz .LBB15_1941
; %bb.1938:
	v_cmp_eq_u16_e32 vcc, 46, v6
	s_mov_b64 s[0:1], -1
	s_cbranch_vccz .LBB15_1940
; %bb.1939:
	v_bfe_u32 v3, v2, 16, 1
	s_movk_i32 s0, 0x7fff
	v_add3_u32 v3, v2, v3, s0
	v_lshrrev_b32_e32 v3, 16, v3
	v_mov_b32_e32 v4, 0x7fc0
	v_cmp_o_f32_e32 vcc, v2, v2
	v_cndmask_b32_e32 v3, v4, v3, vcc
	global_store_dword v[0:1], v3, off
	s_mov_b64 s[0:1], 0
.LBB15_1940:
	s_mov_b64 s[4:5], 0
.LBB15_1941:
	s_and_b64 vcc, exec, s[4:5]
	s_cbranch_vccz .LBB15_1946
; %bb.1942:
	v_cmp_eq_u16_e32 vcc, 44, v6
	s_mov_b64 s[0:1], -1
	s_cbranch_vccz .LBB15_1946
; %bb.1943:
	v_bfe_u32 v3, v2, 23, 8
	s_movk_i32 s0, 0xff
	v_cmp_ne_u32_e32 vcc, s0, v3
	v_mov_b32_e32 v4, 0xff
	s_and_saveexec_b64 s[4:5], vcc
; %bb.1944:
	s_mov_b32 s0, 0x3fffff
	v_and_b32_e32 v5, 0x400000, v2
	v_and_or_b32 v3, v2, s0, v3
	v_cmp_ne_u32_e32 vcc, 0, v5
	v_cmp_ne_u32_e64 s[0:1], 0, v3
	s_and_b64 s[0:1], vcc, s[0:1]
	v_lshrrev_b32_e32 v4, 23, v2
	v_cndmask_b32_e64 v3, 0, 1, s[0:1]
	v_add_u32_e32 v4, v4, v3
; %bb.1945:
	s_or_b64 exec, exec, s[4:5]
	s_mov_b64 s[0:1], 0
	global_store_byte v[0:1], v4, off
.LBB15_1946:
	s_mov_b64 s[4:5], 0
.LBB15_1947:
	s_and_b64 vcc, exec, s[4:5]
	s_cbranch_vccz .LBB15_1950
; %bb.1948:
	v_cmp_eq_u16_e32 vcc, 29, v6
	s_mov_b64 s[0:1], -1
	s_cbranch_vccz .LBB15_1950
; %bb.1949:
	v_trunc_f32_e32 v3, v2
	v_mul_f32_e32 v4, 0x2f800000, v3
	v_floor_f32_e32 v4, v4
	v_fmac_f32_e32 v3, 0xcf800000, v4
	v_cvt_u32_f32_e32 v5, v4
	v_cvt_u32_f32_e32 v4, v3
	s_mov_b64 s[0:1], 0
	global_store_dwordx2 v[0:1], v[4:5], off
.LBB15_1950:
	s_mov_b64 s[4:5], 0
.LBB15_1951:
	s_and_b64 vcc, exec, s[4:5]
	s_cbranch_vccz .LBB15_1966
; %bb.1952:
	v_cmp_gt_i16_e32 vcc, 27, v6
	s_mov_b64 s[4:5], -1
	s_cbranch_vccnz .LBB15_1958
; %bb.1953:
	v_cvt_u32_f32_e32 v3, v2
	v_cmp_lt_i16_e32 vcc, 27, v6
	s_cbranch_vccz .LBB15_1955
; %bb.1954:
	global_store_dword v[0:1], v3, off
	s_mov_b64 s[4:5], 0
.LBB15_1955:
	s_andn2_b64 vcc, exec, s[4:5]
	s_cbranch_vccnz .LBB15_1957
; %bb.1956:
	global_store_short v[0:1], v3, off
.LBB15_1957:
	s_mov_b64 s[4:5], 0
.LBB15_1958:
	s_andn2_b64 vcc, exec, s[4:5]
	s_cbranch_vccnz .LBB15_1966
; %bb.1959:
	v_and_b32_e32 v3, 0x7fffffff, v2
	s_mov_b32 s4, 0x43800000
	v_cmp_gt_u32_e32 vcc, s4, v3
	v_mov_b32_e32 v4, 0x80
	s_and_saveexec_b64 s[4:5], vcc
	s_cbranch_execz .LBB15_1965
; %bb.1960:
	s_mov_b32 s8, 0x3bffffff
	v_cmp_lt_u32_e32 vcc, s8, v3
	s_mov_b64 s[8:9], 0
                                        ; implicit-def: $vgpr3
	s_and_saveexec_b64 s[10:11], vcc
	s_xor_b64 s[10:11], exec, s[10:11]
	s_cbranch_execz .LBB15_2060
; %bb.1961:
	v_bfe_u32 v3, v2, 20, 1
	s_mov_b32 s12, 0x487ffff
	v_add3_u32 v3, v2, v3, s12
	s_mov_b64 s[8:9], exec
	v_lshrrev_b32_e32 v3, 20, v3
	s_or_saveexec_b64 s[10:11], s[10:11]
                                        ; implicit-def: $sgpr12
	s_xor_b64 exec, exec, s[10:11]
	s_cbranch_execnz .LBB15_2061
.LBB15_1962:
	s_or_b64 exec, exec, s[10:11]
	v_mov_b32_e32 v4, s12
	s_and_saveexec_b64 s[10:11], s[8:9]
.LBB15_1963:
	v_lshrrev_b32_e32 v4, 24, v2
	s_movk_i32 s8, 0x80
	v_and_or_b32 v4, v4, s8, v3
.LBB15_1964:
	s_or_b64 exec, exec, s[10:11]
.LBB15_1965:
	s_or_b64 exec, exec, s[4:5]
	global_store_byte v[0:1], v4, off
.LBB15_1966:
	s_mov_b64 s[4:5], 0
.LBB15_1967:
	s_and_b64 vcc, exec, s[4:5]
	s_cbranch_vccz .LBB15_2007
; %bb.1968:
	v_cmp_lt_i16_e32 vcc, 22, v6
	s_mov_b64 s[2:3], -1
	s_cbranch_vccz .LBB15_2000
; %bb.1969:
	v_cmp_gt_i16_e32 vcc, 24, v6
	s_cbranch_vccnz .LBB15_1989
; %bb.1970:
	v_cmp_lt_i16_e32 vcc, 24, v6
	s_cbranch_vccz .LBB15_1978
; %bb.1971:
	v_and_b32_e32 v3, 0x7fffffff, v2
	s_mov_b32 s2, 0x47800000
	v_cmp_gt_u32_e32 vcc, s2, v3
	v_mov_b32_e32 v4, 0x80
	s_and_saveexec_b64 s[2:3], vcc
	s_cbranch_execz .LBB15_1977
; %bb.1972:
	s_mov_b32 s4, 0x37ffffff
	v_cmp_lt_u32_e32 vcc, s4, v3
	s_mov_b64 s[4:5], 0
                                        ; implicit-def: $vgpr3
	s_and_saveexec_b64 s[8:9], vcc
	s_xor_b64 s[8:9], exec, s[8:9]
	s_cbranch_execz .LBB15_2063
; %bb.1973:
	v_bfe_u32 v3, v2, 21, 1
	s_mov_b32 s10, 0x88fffff
	v_add3_u32 v3, v2, v3, s10
	s_mov_b64 s[4:5], exec
	v_lshrrev_b32_e32 v3, 21, v3
	s_or_saveexec_b64 s[8:9], s[8:9]
                                        ; implicit-def: $sgpr10
	s_xor_b64 exec, exec, s[8:9]
	s_cbranch_execnz .LBB15_2064
.LBB15_1974:
	s_or_b64 exec, exec, s[8:9]
	v_mov_b32_e32 v4, s10
	s_and_saveexec_b64 s[8:9], s[4:5]
.LBB15_1975:
	v_lshrrev_b32_e32 v4, 24, v2
	s_movk_i32 s4, 0x80
	v_and_or_b32 v4, v4, s4, v3
.LBB15_1976:
	s_or_b64 exec, exec, s[8:9]
.LBB15_1977:
	s_or_b64 exec, exec, s[2:3]
	s_mov_b64 s[2:3], 0
	global_store_byte v[0:1], v4, off
.LBB15_1978:
	s_and_b64 vcc, exec, s[2:3]
	s_cbranch_vccz .LBB15_1988
; %bb.1979:
	v_and_b32_e32 v4, 0x7fffffff, v2
	s_mov_b32 s2, 0x43f00000
	v_cmp_gt_u32_e32 vcc, s2, v4
                                        ; implicit-def: $vgpr3
	s_and_saveexec_b64 s[2:3], vcc
	s_xor_b64 s[2:3], exec, s[2:3]
	s_cbranch_execz .LBB15_1985
; %bb.1980:
	s_mov_b32 s4, 0x3c7fffff
	v_cmp_lt_u32_e32 vcc, s4, v4
                                        ; implicit-def: $vgpr3
	s_and_saveexec_b64 s[4:5], vcc
	s_xor_b64 s[4:5], exec, s[4:5]
; %bb.1981:
	v_bfe_u32 v3, v2, 20, 1
	s_mov_b32 s8, 0x407ffff
	v_add3_u32 v3, v2, v3, s8
	v_lshrrev_b32_e32 v4, 20, v3
	v_and_b32_e32 v3, 0xff00000, v3
	s_mov_b32 s8, 0x7f00000
	v_mov_b32_e32 v5, 0x7e
	v_cmp_ne_u32_e32 vcc, s8, v3
	v_cndmask_b32_e32 v3, v5, v4, vcc
; %bb.1982:
	s_andn2_saveexec_b64 s[4:5], s[4:5]
; %bb.1983:
	s_mov_b32 s8, 0x46800000
	v_add_f32_e64 v3, |v2|, s8
; %bb.1984:
	s_or_b64 exec, exec, s[4:5]
                                        ; implicit-def: $vgpr4
.LBB15_1985:
	s_andn2_saveexec_b64 s[2:3], s[2:3]
; %bb.1986:
	s_mov_b32 s4, 0x7f800000
	v_mov_b32_e32 v3, 0x7e
	v_mov_b32_e32 v5, 0x7f
	v_cmp_lt_u32_e32 vcc, s4, v4
	v_cndmask_b32_e32 v3, v3, v5, vcc
; %bb.1987:
	s_or_b64 exec, exec, s[2:3]
	v_lshrrev_b32_e32 v4, 24, v2
	s_movk_i32 s2, 0x80
	v_and_or_b32 v3, v4, s2, v3
	global_store_byte v[0:1], v3, off
.LBB15_1988:
	s_mov_b64 s[2:3], 0
.LBB15_1989:
	s_andn2_b64 vcc, exec, s[2:3]
	s_cbranch_vccnz .LBB15_1999
; %bb.1990:
	v_and_b32_e32 v4, 0x7fffffff, v2
	s_mov_b32 s2, 0x47800000
	v_cmp_gt_u32_e32 vcc, s2, v4
                                        ; implicit-def: $vgpr3
	s_and_saveexec_b64 s[2:3], vcc
	s_xor_b64 s[2:3], exec, s[2:3]
	s_cbranch_execz .LBB15_1996
; %bb.1991:
	s_mov_b32 s4, 0x387fffff
	v_cmp_lt_u32_e32 vcc, s4, v4
                                        ; implicit-def: $vgpr3
	s_and_saveexec_b64 s[4:5], vcc
	s_xor_b64 s[4:5], exec, s[4:5]
; %bb.1992:
	v_bfe_u32 v3, v2, 21, 1
	s_mov_b32 s8, 0x80fffff
	v_add3_u32 v3, v2, v3, s8
	v_lshrrev_b32_e32 v3, 21, v3
; %bb.1993:
	s_andn2_saveexec_b64 s[4:5], s[4:5]
; %bb.1994:
	s_mov_b32 s8, 0x43000000
	v_add_f32_e64 v3, |v2|, s8
; %bb.1995:
	s_or_b64 exec, exec, s[4:5]
                                        ; implicit-def: $vgpr4
.LBB15_1996:
	s_andn2_saveexec_b64 s[2:3], s[2:3]
; %bb.1997:
	s_mov_b32 s4, 0x7f800000
	v_mov_b32_e32 v3, 0x7c
	v_mov_b32_e32 v5, 0x7f
	v_cmp_lt_u32_e32 vcc, s4, v4
	v_cndmask_b32_e32 v3, v3, v5, vcc
; %bb.1998:
	s_or_b64 exec, exec, s[2:3]
	v_lshrrev_b32_e32 v4, 24, v2
	s_movk_i32 s2, 0x80
	v_and_or_b32 v3, v4, s2, v3
	global_store_byte v[0:1], v3, off
.LBB15_1999:
	s_mov_b64 s[2:3], 0
.LBB15_2000:
	s_andn2_b64 vcc, exec, s[2:3]
	s_mov_b64 s[2:3], 0
	s_cbranch_vccnz .LBB15_2007
; %bb.2001:
	v_cmp_lt_i16_e32 vcc, 14, v6
	s_mov_b64 s[4:5], -1
	s_cbranch_vccz .LBB15_2005
; %bb.2002:
	v_cmp_eq_u16_e32 vcc, 15, v6
	s_mov_b64 s[0:1], -1
	s_cbranch_vccz .LBB15_2004
; %bb.2003:
	v_bfe_u32 v3, v2, 16, 1
	s_movk_i32 s0, 0x7fff
	v_add3_u32 v3, v2, v3, s0
	v_lshrrev_b32_e32 v3, 16, v3
	v_mov_b32_e32 v4, 0x7fc0
	v_cmp_o_f32_e32 vcc, v2, v2
	v_cndmask_b32_e32 v3, v4, v3, vcc
	global_store_short v[0:1], v3, off
	s_mov_b64 s[0:1], 0
.LBB15_2004:
	s_mov_b64 s[4:5], 0
.LBB15_2005:
	s_and_b64 vcc, exec, s[4:5]
	s_cbranch_vccz .LBB15_2007
; %bb.2006:
	v_cmp_ne_u16_e64 s[0:1], 11, v6
	s_mov_b64 s[2:3], -1
.LBB15_2007:
	s_and_b64 vcc, exec, s[0:1]
	s_cbranch_vccnz .LBB15_2062
.LBB15_2008:
	s_mov_b64 s[0:1], 0
	s_branch .LBB15_2010
.LBB15_2009:
	s_mov_b64 s[0:1], 0
	s_mov_b64 s[2:3], 0
                                        ; implicit-def: $vgpr6
                                        ; implicit-def: $vgpr0_vgpr1
                                        ; implicit-def: $vgpr2
.LBB15_2010:
	s_and_b64 s[4:5], s[2:3], exec
	s_andn2_b64 s[2:3], s[16:17], exec
	s_and_b64 s[8:9], s[18:19], exec
	s_and_b64 s[0:1], s[0:1], exec
	s_or_b64 s[16:17], s[2:3], s[8:9]
.LBB15_2011:
	s_or_b64 exec, exec, s[6:7]
	s_and_saveexec_b64 s[2:3], s[16:17]
	s_cbranch_execz .LBB15_2014
; %bb.2012:
	; divergent unreachable
	s_or_b64 exec, exec, s[2:3]
	s_and_saveexec_b64 s[2:3], s[4:5]
	s_xor_b64 s[2:3], exec, s[2:3]
	s_cbranch_execnz .LBB15_2015
.LBB15_2013:
	s_or_b64 exec, exec, s[2:3]
	s_and_saveexec_b64 s[2:3], s[0:1]
	s_cbranch_execnz .LBB15_2016
	s_branch .LBB15_2053
.LBB15_2014:
	s_or_b64 exec, exec, s[2:3]
	s_and_saveexec_b64 s[2:3], s[4:5]
	s_xor_b64 s[2:3], exec, s[2:3]
	s_cbranch_execz .LBB15_2013
.LBB15_2015:
	s_waitcnt vmcnt(0)
	v_cmp_neq_f32_e32 vcc, 0, v2
	v_cndmask_b32_e64 v3, 0, 1, vcc
	global_store_byte v[0:1], v3, off
	s_or_b64 exec, exec, s[2:3]
	s_and_saveexec_b64 s[2:3], s[0:1]
	s_cbranch_execz .LBB15_2053
.LBB15_2016:
	s_waitcnt vmcnt(0)
	v_cmp_gt_i16_e32 vcc, 5, v6
	s_mov_b64 s[0:1], -1
	s_cbranch_vccnz .LBB15_2037
; %bb.2017:
	v_cmp_gt_i16_e32 vcc, 8, v6
	s_cbranch_vccnz .LBB15_2027
; %bb.2018:
	v_cmp_gt_i16_e32 vcc, 9, v6
	s_cbranch_vccnz .LBB15_2024
; %bb.2019:
	v_cmp_lt_i16_e32 vcc, 9, v6
	s_cbranch_vccz .LBB15_2021
; %bb.2020:
	v_mov_b32_e32 v10, 0
	v_cvt_f64_f32_e32 v[8:9], v2
	v_mov_b32_e32 v11, v10
	global_store_dwordx4 v[0:1], v[8:11], off
	s_mov_b64 s[0:1], 0
.LBB15_2021:
	s_andn2_b64 vcc, exec, s[0:1]
	s_cbranch_vccnz .LBB15_2023
; %bb.2022:
	v_mov_b32_e32 v3, 0
	global_store_dwordx2 v[0:1], v[2:3], off
.LBB15_2023:
	s_mov_b64 s[0:1], 0
.LBB15_2024:
	s_andn2_b64 vcc, exec, s[0:1]
	s_cbranch_vccnz .LBB15_2026
; %bb.2025:
	v_cvt_f16_f32_e32 v3, v2
	global_store_dword v[0:1], v3, off
.LBB15_2026:
	s_mov_b64 s[0:1], 0
.LBB15_2027:
	s_andn2_b64 vcc, exec, s[0:1]
	s_cbranch_vccnz .LBB15_2036
; %bb.2028:
	v_cmp_gt_i16_e32 vcc, 6, v6
	s_mov_b64 s[0:1], -1
	s_cbranch_vccnz .LBB15_2034
; %bb.2029:
	v_cmp_lt_i16_e32 vcc, 6, v6
	s_cbranch_vccz .LBB15_2031
; %bb.2030:
	v_cvt_f64_f32_e32 v[4:5], v2
	global_store_dwordx2 v[0:1], v[4:5], off
	s_mov_b64 s[0:1], 0
.LBB15_2031:
	s_andn2_b64 vcc, exec, s[0:1]
	s_cbranch_vccnz .LBB15_2033
; %bb.2032:
	global_store_dword v[0:1], v2, off
.LBB15_2033:
	s_mov_b64 s[0:1], 0
.LBB15_2034:
	s_andn2_b64 vcc, exec, s[0:1]
	s_cbranch_vccnz .LBB15_2036
; %bb.2035:
	v_cvt_f16_f32_e32 v3, v2
	global_store_short v[0:1], v3, off
.LBB15_2036:
	s_mov_b64 s[0:1], 0
.LBB15_2037:
	s_andn2_b64 vcc, exec, s[0:1]
	s_cbranch_vccnz .LBB15_2053
; %bb.2038:
	v_cmp_gt_i16_e32 vcc, 2, v6
	s_mov_b64 s[0:1], -1
	s_cbranch_vccnz .LBB15_2048
; %bb.2039:
	v_cmp_gt_i16_e32 vcc, 3, v6
	s_cbranch_vccnz .LBB15_2045
; %bb.2040:
	v_cmp_lt_i16_e32 vcc, 3, v6
	s_cbranch_vccz .LBB15_2042
; %bb.2041:
	v_trunc_f32_e32 v3, v2
	s_mov_b32 s0, 0x2f800000
	v_mul_f32_e64 v4, |v3|, s0
	v_floor_f32_e32 v4, v4
	s_mov_b32 s0, 0xcf800000
	v_cvt_u32_f32_e32 v5, v4
	v_fma_f32 v4, v4, s0, |v3|
	v_cvt_u32_f32_e32 v4, v4
	v_ashrrev_i32_e32 v3, 31, v3
	v_xor_b32_e32 v5, v5, v3
	s_mov_b64 s[0:1], 0
	v_xor_b32_e32 v4, v4, v3
	v_sub_co_u32_e32 v4, vcc, v4, v3
	v_subb_co_u32_e32 v5, vcc, v5, v3, vcc
	global_store_dwordx2 v[0:1], v[4:5], off
.LBB15_2042:
	s_andn2_b64 vcc, exec, s[0:1]
	s_cbranch_vccnz .LBB15_2044
; %bb.2043:
	v_cvt_i32_f32_e32 v3, v2
	global_store_dword v[0:1], v3, off
.LBB15_2044:
	s_mov_b64 s[0:1], 0
.LBB15_2045:
	s_andn2_b64 vcc, exec, s[0:1]
	s_cbranch_vccnz .LBB15_2047
; %bb.2046:
	v_cvt_i32_f32_e32 v3, v2
	global_store_short v[0:1], v3, off
.LBB15_2047:
	s_mov_b64 s[0:1], 0
.LBB15_2048:
	s_andn2_b64 vcc, exec, s[0:1]
	s_cbranch_vccnz .LBB15_2053
; %bb.2049:
	v_cmp_lt_i16_e32 vcc, 0, v6
	s_mov_b64 s[0:1], -1
	s_cbranch_vccz .LBB15_2051
; %bb.2050:
	v_cvt_i32_f32_e32 v3, v2
	s_mov_b64 s[0:1], 0
	global_store_byte v[0:1], v3, off
.LBB15_2051:
	s_andn2_b64 vcc, exec, s[0:1]
	s_cbranch_vccnz .LBB15_2053
; %bb.2052:
	v_trunc_f32_e32 v2, v2
	s_mov_b32 s0, 0x2f800000
	v_mul_f32_e64 v3, |v2|, s0
	v_floor_f32_e32 v3, v3
	s_mov_b32 s0, 0xcf800000
	v_fma_f32 v3, v3, s0, |v2|
	v_cvt_u32_f32_e32 v3, v3
	v_ashrrev_i32_e32 v2, 31, v2
	v_xor_b32_e32 v3, v3, v2
	v_sub_u32_e32 v2, v3, v2
	global_store_byte v[0:1], v2, off
	s_endpgm
.LBB15_2053:
	s_endpgm
.LBB15_2054:
	s_mov_b64 s[2:3], 0
	s_mov_b64 s[0:1], -1
	s_branch .LBB15_2010
.LBB15_2055:
	s_or_saveexec_b64 s[12:13], s[12:13]
                                        ; implicit-def: $sgpr15
	s_xor_b64 exec, exec, s[12:13]
	s_cbranch_execz .LBB15_1843
.LBB15_2056:
	s_mov_b32 s15, 0x46000000
	v_add_f32_e64 v3, |v2|, s15
	v_and_b32_e32 v3, 0xff, v3
	v_cmp_ne_u32_e32 vcc, 0, v3
	s_andn2_b64 s[10:11], s[10:11], exec
	s_and_b64 s[20:21], vcc, exec
	s_mov_b32 s15, 0
	s_or_b64 s[10:11], s[10:11], s[20:21]
	s_or_b64 exec, exec, s[12:13]
	v_mov_b32_e32 v6, s15
	s_and_saveexec_b64 s[12:13], s[10:11]
	s_cbranch_execnz .LBB15_1844
	s_branch .LBB15_1845
.LBB15_2057:
	s_trap 2
	s_or_b64 s[18:19], s[18:19], exec
	s_cbranch_execz .LBB15_1891
	s_branch .LBB15_1892
.LBB15_2058:
	s_or_saveexec_b64 s[10:11], s[10:11]
                                        ; implicit-def: $sgpr12
	s_xor_b64 exec, exec, s[10:11]
	s_cbranch_execz .LBB15_1856
.LBB15_2059:
	s_mov_b32 s12, 0x42800000
	v_add_f32_e64 v3, |v2|, s12
	v_and_b32_e32 v3, 0xff, v3
	v_cmp_ne_u32_e32 vcc, 0, v3
	s_andn2_b64 s[4:5], s[4:5], exec
	s_and_b64 s[20:21], vcc, exec
	s_mov_b32 s12, 0
	s_or_b64 s[4:5], s[4:5], s[20:21]
	s_or_b64 exec, exec, s[10:11]
	v_mov_b32_e32 v6, s12
	s_and_saveexec_b64 s[10:11], s[4:5]
	s_cbranch_execnz .LBB15_1857
	s_branch .LBB15_1858
.LBB15_2060:
	s_or_saveexec_b64 s[10:11], s[10:11]
                                        ; implicit-def: $sgpr12
	s_xor_b64 exec, exec, s[10:11]
	s_cbranch_execz .LBB15_1962
.LBB15_2061:
	s_mov_b32 s12, 0x46000000
	v_add_f32_e64 v3, |v2|, s12
	v_and_b32_e32 v3, 0xff, v3
	v_cmp_ne_u32_e32 vcc, 0, v3
	s_andn2_b64 s[8:9], s[8:9], exec
	s_and_b64 s[14:15], vcc, exec
	s_mov_b32 s12, 0
	s_or_b64 s[8:9], s[8:9], s[14:15]
	s_or_b64 exec, exec, s[10:11]
	v_mov_b32_e32 v4, s12
	s_and_saveexec_b64 s[10:11], s[8:9]
	s_cbranch_execnz .LBB15_1963
	s_branch .LBB15_1964
.LBB15_2062:
	s_mov_b64 s[2:3], 0
	s_or_b64 s[18:19], s[18:19], exec
	s_trap 2
	s_branch .LBB15_2008
.LBB15_2063:
	s_or_saveexec_b64 s[8:9], s[8:9]
                                        ; implicit-def: $sgpr10
	s_xor_b64 exec, exec, s[8:9]
	s_cbranch_execz .LBB15_1974
.LBB15_2064:
	s_mov_b32 s10, 0x42800000
	v_add_f32_e64 v3, |v2|, s10
	v_and_b32_e32 v3, 0xff, v3
	v_cmp_ne_u32_e32 vcc, 0, v3
	s_andn2_b64 s[4:5], s[4:5], exec
	s_and_b64 s[12:13], vcc, exec
	s_mov_b32 s10, 0
	s_or_b64 s[4:5], s[4:5], s[12:13]
	s_or_b64 exec, exec, s[8:9]
	v_mov_b32_e32 v4, s10
	s_and_saveexec_b64 s[8:9], s[4:5]
	s_cbranch_execnz .LBB15_1975
	s_branch .LBB15_1976
	.section	.rodata,"a",@progbits
	.p2align	6, 0x0
	.amdhsa_kernel _ZN2at6native32elementwise_kernel_manual_unrollILi128ELi4EZNS0_15gpu_kernel_implIZZZNS0_12_GLOBAL__N_139_amp_non_finite_check_and_unscale_cuda_ERNS_6TensorES5_RKS4_ENKUlvE_clEvENKUlvE0_clEvEUlfE_EEvRNS_18TensorIteratorBaseERKT_EUlibE_EEviT1_
		.amdhsa_group_segment_fixed_size 0
		.amdhsa_private_segment_fixed_size 0
		.amdhsa_kernarg_size 56
		.amdhsa_user_sgpr_count 6
		.amdhsa_user_sgpr_private_segment_buffer 1
		.amdhsa_user_sgpr_dispatch_ptr 0
		.amdhsa_user_sgpr_queue_ptr 0
		.amdhsa_user_sgpr_kernarg_segment_ptr 1
		.amdhsa_user_sgpr_dispatch_id 0
		.amdhsa_user_sgpr_flat_scratch_init 0
		.amdhsa_user_sgpr_kernarg_preload_length 0
		.amdhsa_user_sgpr_kernarg_preload_offset 0
		.amdhsa_user_sgpr_private_segment_size 0
		.amdhsa_uses_dynamic_stack 0
		.amdhsa_system_sgpr_private_segment_wavefront_offset 0
		.amdhsa_system_sgpr_workgroup_id_x 1
		.amdhsa_system_sgpr_workgroup_id_y 0
		.amdhsa_system_sgpr_workgroup_id_z 0
		.amdhsa_system_sgpr_workgroup_info 0
		.amdhsa_system_vgpr_workitem_id 0
		.amdhsa_next_free_vgpr 16
		.amdhsa_next_free_sgpr 47
		.amdhsa_accum_offset 16
		.amdhsa_reserve_vcc 1
		.amdhsa_reserve_flat_scratch 0
		.amdhsa_float_round_mode_32 0
		.amdhsa_float_round_mode_16_64 0
		.amdhsa_float_denorm_mode_32 3
		.amdhsa_float_denorm_mode_16_64 3
		.amdhsa_dx10_clamp 1
		.amdhsa_ieee_mode 1
		.amdhsa_fp16_overflow 0
		.amdhsa_tg_split 0
		.amdhsa_exception_fp_ieee_invalid_op 0
		.amdhsa_exception_fp_denorm_src 0
		.amdhsa_exception_fp_ieee_div_zero 0
		.amdhsa_exception_fp_ieee_overflow 0
		.amdhsa_exception_fp_ieee_underflow 0
		.amdhsa_exception_fp_ieee_inexact 0
		.amdhsa_exception_int_div_zero 0
	.end_amdhsa_kernel
	.section	.text._ZN2at6native32elementwise_kernel_manual_unrollILi128ELi4EZNS0_15gpu_kernel_implIZZZNS0_12_GLOBAL__N_139_amp_non_finite_check_and_unscale_cuda_ERNS_6TensorES5_RKS4_ENKUlvE_clEvENKUlvE0_clEvEUlfE_EEvRNS_18TensorIteratorBaseERKT_EUlibE_EEviT1_,"axG",@progbits,_ZN2at6native32elementwise_kernel_manual_unrollILi128ELi4EZNS0_15gpu_kernel_implIZZZNS0_12_GLOBAL__N_139_amp_non_finite_check_and_unscale_cuda_ERNS_6TensorES5_RKS4_ENKUlvE_clEvENKUlvE0_clEvEUlfE_EEvRNS_18TensorIteratorBaseERKT_EUlibE_EEviT1_,comdat
.Lfunc_end15:
	.size	_ZN2at6native32elementwise_kernel_manual_unrollILi128ELi4EZNS0_15gpu_kernel_implIZZZNS0_12_GLOBAL__N_139_amp_non_finite_check_and_unscale_cuda_ERNS_6TensorES5_RKS4_ENKUlvE_clEvENKUlvE0_clEvEUlfE_EEvRNS_18TensorIteratorBaseERKT_EUlibE_EEviT1_, .Lfunc_end15-_ZN2at6native32elementwise_kernel_manual_unrollILi128ELi4EZNS0_15gpu_kernel_implIZZZNS0_12_GLOBAL__N_139_amp_non_finite_check_and_unscale_cuda_ERNS_6TensorES5_RKS4_ENKUlvE_clEvENKUlvE0_clEvEUlfE_EEvRNS_18TensorIteratorBaseERKT_EUlibE_EEviT1_
                                        ; -- End function
	.section	.AMDGPU.csdata,"",@progbits
; Kernel info:
; codeLenInByte = 34576
; NumSgprs: 51
; NumVgprs: 16
; NumAgprs: 0
; TotalNumVgprs: 16
; ScratchSize: 0
; MemoryBound: 1
; FloatMode: 240
; IeeeMode: 1
; LDSByteSize: 0 bytes/workgroup (compile time only)
; SGPRBlocks: 6
; VGPRBlocks: 1
; NumSGPRsForWavesPerEU: 51
; NumVGPRsForWavesPerEU: 16
; AccumOffset: 16
; Occupancy: 8
; WaveLimiterHint : 0
; COMPUTE_PGM_RSRC2:SCRATCH_EN: 0
; COMPUTE_PGM_RSRC2:USER_SGPR: 6
; COMPUTE_PGM_RSRC2:TRAP_HANDLER: 0
; COMPUTE_PGM_RSRC2:TGID_X_EN: 1
; COMPUTE_PGM_RSRC2:TGID_Y_EN: 0
; COMPUTE_PGM_RSRC2:TGID_Z_EN: 0
; COMPUTE_PGM_RSRC2:TIDIG_COMP_CNT: 0
; COMPUTE_PGM_RSRC3_GFX90A:ACCUM_OFFSET: 3
; COMPUTE_PGM_RSRC3_GFX90A:TG_SPLIT: 0
	.section	.text._ZN2at6native32elementwise_kernel_manual_unrollILi128ELi4EZNS0_15gpu_kernel_implIZZZNS0_12_GLOBAL__N_139_amp_non_finite_check_and_unscale_cuda_ERNS_6TensorES5_RKS4_ENKUlvE_clEvENKUlvE0_clEvEUlfE_EEvRNS_18TensorIteratorBaseERKT_EUlibE0_EEviT1_,"axG",@progbits,_ZN2at6native32elementwise_kernel_manual_unrollILi128ELi4EZNS0_15gpu_kernel_implIZZZNS0_12_GLOBAL__N_139_amp_non_finite_check_and_unscale_cuda_ERNS_6TensorES5_RKS4_ENKUlvE_clEvENKUlvE0_clEvEUlfE_EEvRNS_18TensorIteratorBaseERKT_EUlibE0_EEviT1_,comdat
	.globl	_ZN2at6native32elementwise_kernel_manual_unrollILi128ELi4EZNS0_15gpu_kernel_implIZZZNS0_12_GLOBAL__N_139_amp_non_finite_check_and_unscale_cuda_ERNS_6TensorES5_RKS4_ENKUlvE_clEvENKUlvE0_clEvEUlfE_EEvRNS_18TensorIteratorBaseERKT_EUlibE0_EEviT1_ ; -- Begin function _ZN2at6native32elementwise_kernel_manual_unrollILi128ELi4EZNS0_15gpu_kernel_implIZZZNS0_12_GLOBAL__N_139_amp_non_finite_check_and_unscale_cuda_ERNS_6TensorES5_RKS4_ENKUlvE_clEvENKUlvE0_clEvEUlfE_EEvRNS_18TensorIteratorBaseERKT_EUlibE0_EEviT1_
	.p2align	8
	.type	_ZN2at6native32elementwise_kernel_manual_unrollILi128ELi4EZNS0_15gpu_kernel_implIZZZNS0_12_GLOBAL__N_139_amp_non_finite_check_and_unscale_cuda_ERNS_6TensorES5_RKS4_ENKUlvE_clEvENKUlvE0_clEvEUlfE_EEvRNS_18TensorIteratorBaseERKT_EUlibE0_EEviT1_,@function
_ZN2at6native32elementwise_kernel_manual_unrollILi128ELi4EZNS0_15gpu_kernel_implIZZZNS0_12_GLOBAL__N_139_amp_non_finite_check_and_unscale_cuda_ERNS_6TensorES5_RKS4_ENKUlvE_clEvENKUlvE0_clEvEUlfE_EEvRNS_18TensorIteratorBaseERKT_EUlibE0_EEviT1_: ; @_ZN2at6native32elementwise_kernel_manual_unrollILi128ELi4EZNS0_15gpu_kernel_implIZZZNS0_12_GLOBAL__N_139_amp_non_finite_check_and_unscale_cuda_ERNS_6TensorES5_RKS4_ENKUlvE_clEvENKUlvE0_clEvEUlfE_EEvRNS_18TensorIteratorBaseERKT_EUlibE0_EEviT1_
; %bb.0:
	s_load_dword s76, s[4:5], 0x0
	s_load_dword s33, s[4:5], 0x8
	s_or_b32 s34, s4, 8
	v_lshl_or_b32 v8, s6, 9, v0
	v_or_b32_e32 v9, 0x180, v8
	s_mov_b32 s35, s5
	s_waitcnt lgkmcnt(0)
	s_add_i32 s78, s33, -1
	s_cmp_gt_u32 s78, 1
	v_cmp_le_i32_e32 vcc, s76, v9
	s_cselect_b64 s[44:45], -1, 0
	s_mov_b64 s[6:7], 0
	s_mov_b64 s[28:29], 0
	s_and_saveexec_b64 s[0:1], vcc
	s_xor_b64 s[46:47], exec, s[0:1]
	s_cbranch_execz .LBB16_1098
; %bb.1:
	s_load_dwordx4 s[36:39], s[34:35], 0x4
	s_load_dwordx2 s[48:49], s[34:35], 0x14
	s_load_dword s79, s[34:35], 0x168
	s_cmp_lg_u32 s33, 0
	s_load_dwordx4 s[40:43], s[34:35], 0xc4
	s_load_dwordx8 s[8:15], s[34:35], 0x148
	s_cselect_b64 s[54:55], -1, 0
	s_add_u32 s52, s34, 0xc4
	s_addc_u32 s53, s35, 0
	s_min_u32 s77, s78, 15
	s_cmp_gt_u32 s33, 1
	s_cselect_b64 s[50:51], -1, 0
	s_waitcnt lgkmcnt(0)
	v_lshrrev_b16_e64 v4, 8, s79
	v_cmp_gt_i32_e32 vcc, s76, v8
	s_mov_b64 s[2:3], -1
	s_mov_b64 s[64:65], 0
	s_mov_b64 s[58:59], 0
	;; [unrolled: 1-line block ×3, first 2 shown]
	s_and_saveexec_b64 s[60:61], vcc
	s_cbranch_execz .LBB16_269
; %bb.2:
	s_andn2_b64 vcc, exec, s[44:45]
	s_cbranch_vccnz .LBB16_8
; %bb.3:
	s_mov_b32 s56, 0
	s_andn2_b64 vcc, exec, s[54:55]
	v_mov_b32_e32 v2, 0
	v_mov_b32_e32 v0, 0
	s_cbranch_vccnz .LBB16_14
; %bb.4:
	s_add_i32 s66, s77, 1
	s_cmp_eq_u32 s78, 2
	s_cbranch_scc1 .LBB16_9
; %bb.5:
	s_and_b32 s56, s66, 28
	s_mov_b32 s57, 0
	v_mov_b32_e32 v0, 0
	s_mov_b64 s[58:59], s[34:35]
	s_mov_b64 s[62:63], s[52:53]
	v_mov_b32_e32 v3, v8
	v_mov_b32_e32 v2, 0
.LBB16_6:                               ; =>This Inner Loop Header: Depth=1
	s_load_dwordx8 s[24:31], s[58:59], 0x4
	s_load_dwordx4 s[0:3], s[58:59], 0x24
	s_load_dwordx8 s[16:23], s[62:63], 0x0
	s_add_u32 s58, s58, 48
	s_addc_u32 s59, s59, 0
	s_waitcnt lgkmcnt(0)
	v_mul_hi_u32 v1, s25, v3
	v_add_u32_e32 v1, v3, v1
	v_lshrrev_b32_e32 v1, s26, v1
	v_mul_lo_u32 v5, v1, s24
	v_mul_hi_u32 v6, s28, v1
	v_sub_u32_e32 v3, v3, v5
	v_add_u32_e32 v5, v1, v6
	v_lshrrev_b32_e32 v5, s29, v5
	v_mul_lo_u32 v7, v5, s27
	v_mul_hi_u32 v9, s31, v5
	v_sub_u32_e32 v1, v1, v7
	v_add_u32_e32 v7, v5, v9
	v_mul_lo_u32 v6, v3, s17
	v_mul_lo_u32 v3, v3, s16
	;; [unrolled: 1-line block ×4, first 2 shown]
	v_lshrrev_b32_e32 v7, s0, v7
	v_add3_u32 v0, v3, v0, v1
	v_mul_hi_u32 v3, s2, v7
	v_add_u32_e32 v3, v7, v3
	v_lshrrev_b32_e32 v3, s3, v3
	s_add_i32 s57, s57, 4
	v_add3_u32 v1, v6, v2, v9
	v_mul_lo_u32 v2, v7, s30
	v_mul_lo_u32 v6, v3, s1
	s_add_u32 s62, s62, 32
	v_sub_u32_e32 v2, v5, v2
	v_sub_u32_e32 v6, v7, v6
	s_addc_u32 s63, s63, 0
	v_mul_lo_u32 v5, v2, s20
	v_mul_lo_u32 v2, v2, s21
	;; [unrolled: 1-line block ×4, first 2 shown]
	s_cmp_lg_u32 s56, s57
	v_add3_u32 v2, v2, v1, v6
	v_add3_u32 v0, v5, v0, v7
	s_cbranch_scc1 .LBB16_6
; %bb.7:
	v_mov_b32_e32 v1, v2
	s_branch .LBB16_10
.LBB16_8:
                                        ; implicit-def: $vgpr2
                                        ; implicit-def: $vgpr0
	s_branch .LBB16_15
.LBB16_9:
	s_mov_b32 s57, s56
	v_pk_mov_b32 v[0:1], s[56:57], s[56:57] op_sel:[0,1]
                                        ; implicit-def: $vgpr2
	v_mov_b32_e32 v3, v8
.LBB16_10:
	s_and_b32 s16, s66, 3
	s_cmp_eq_u32 s16, 0
	s_cbranch_scc1 .LBB16_14
; %bb.11:
	s_lshl_b32 s0, s56, 3
	s_add_u32 s0, s0, s34
	s_addc_u32 s1, s35, 0
	s_add_u32 s0, s0, 0xc4
	s_addc_u32 s1, s1, 0
	s_mul_i32 s2, s56, 12
	s_add_u32 s2, s34, s2
	s_addc_u32 s3, s35, 0
.LBB16_12:                              ; =>This Inner Loop Header: Depth=1
	s_load_dwordx2 s[18:19], s[2:3], 0x4
	s_load_dword s17, s[2:3], 0xc
	s_load_dwordx2 s[20:21], s[0:1], 0x0
	v_mov_b32_e32 v2, v1
	s_add_u32 s2, s2, 12
	s_waitcnt lgkmcnt(0)
	v_mul_hi_u32 v1, s19, v3
	v_add_u32_e32 v1, v3, v1
	v_lshrrev_b32_e32 v1, s17, v1
	s_addc_u32 s3, s3, 0
	v_mul_lo_u32 v5, v1, s18
	s_add_u32 s0, s0, 8
	v_sub_u32_e32 v5, v3, v5
	v_mov_b32_e32 v3, v1
	s_addc_u32 s1, s1, 0
	s_add_i32 s16, s16, -1
	v_mad_u64_u32 v[6:7], s[18:19], v5, s21, v[2:3]
	v_mad_u64_u32 v[0:1], s[18:19], v5, s20, v[0:1]
	s_cmp_lg_u32 s16, 0
	v_mov_b32_e32 v1, v6
	s_cbranch_scc1 .LBB16_12
; %bb.13:
	v_mov_b32_e32 v2, v1
.LBB16_14:
	s_cbranch_execnz .LBB16_17
.LBB16_15:
	v_mul_hi_u32 v0, s37, v8
	v_add_u32_e32 v0, v8, v0
	v_lshrrev_b32_e32 v1, s38, v0
	v_mul_lo_u32 v0, v1, s36
	v_sub_u32_e32 v0, v8, v0
	v_mul_lo_u32 v2, v0, s41
	s_andn2_b64 vcc, exec, s[50:51]
	v_mul_lo_u32 v0, v0, s40
	s_cbranch_vccnz .LBB16_17
; %bb.16:
	v_mul_hi_u32 v3, s48, v1
	v_add_u32_e32 v3, v1, v3
	v_lshrrev_b32_e32 v3, s49, v3
	v_mul_lo_u32 v3, v3, s39
	v_sub_u32_e32 v3, v1, v3
	v_mad_u64_u32 v[0:1], s[0:1], v3, s42, v[0:1]
	v_mad_u64_u32 v[2:3], s[0:1], v3, s43, v[2:3]
.LBB16_17:
	v_mov_b32_e32 v1, s11
	v_add_co_u32_e32 v2, vcc, s10, v2
	v_addc_co_u32_e32 v3, vcc, 0, v1, vcc
	v_cmp_gt_i16_e32 vcc, 11, v4
	s_cbranch_vccnz .LBB16_24
; %bb.18:
	v_cmp_lt_i16_e32 vcc, 25, v4
	s_cbranch_vccz .LBB16_35
; %bb.19:
	v_cmp_lt_i16_e32 vcc, 28, v4
	s_cbranch_vccz .LBB16_38
; %bb.20:
	v_cmp_lt_i16_e32 vcc, 43, v4
	s_cbranch_vccz .LBB16_40
; %bb.21:
	v_cmp_lt_i16_e32 vcc, 45, v4
	s_cbranch_vccz .LBB16_42
; %bb.22:
	v_cmp_eq_u16_e32 vcc, 46, v4
	s_mov_b64 s[16:17], 0
	s_cbranch_vccz .LBB16_44
; %bb.23:
	global_load_dword v1, v[2:3], off
	s_mov_b64 s[0:1], -1
	s_mov_b64 s[2:3], 0
	s_waitcnt vmcnt(0)
	v_lshlrev_b32_e32 v5, 16, v1
	s_branch .LBB16_46
.LBB16_24:
	s_mov_b64 s[2:3], 0
                                        ; implicit-def: $vgpr5
	s_mov_b64 s[0:1], 0
	s_cbranch_execnz .LBB16_219
.LBB16_25:
	s_andn2_b64 vcc, exec, s[0:1]
	s_cbranch_vccnz .LBB16_266
.LBB16_26:
	s_mov_b32 s0, 0x7f800000
	s_waitcnt vmcnt(0)
	v_cmp_nlg_f32_e64 s[16:17], |v5|, s0
	s_and_saveexec_b64 s[0:1], s[16:17]
	s_cbranch_execz .LBB16_28
; %bb.27:
	v_mov_b32_e32 v1, 0
	v_mov_b32_e32 v2, 1.0
	global_store_dword v1, v2, s[12:13]
.LBB16_28:
	s_or_b64 exec, exec, s[0:1]
	v_mov_b32_e32 v1, 0
	global_load_dword v2, v1, s[14:15]
	v_mov_b32_e32 v1, s9
	v_mov_b32_e32 v3, 11
	v_add_co_u32_e32 v0, vcc, s8, v0
	v_addc_co_u32_e32 v1, vcc, 0, v1, vcc
	v_cmp_lt_i16_sdwa s[0:1], s79, v3 src0_sel:BYTE_0 src1_sel:DWORD
	s_and_b64 vcc, exec, s[0:1]
	s_waitcnt vmcnt(0)
	v_mul_f32_e32 v3, v5, v2
	v_cmp_eq_f32_e64 s[0:1], 1.0, v2
	v_cndmask_b32_e64 v2, v3, v5, s[0:1]
	s_cbranch_vccnz .LBB16_36
; %bb.29:
	v_mov_b32_e32 v3, 25
	v_cmp_gt_i16_sdwa s[0:1], s79, v3 src0_sel:BYTE_0 src1_sel:DWORD
	s_and_b64 vcc, exec, s[0:1]
	s_cbranch_vccz .LBB16_39
; %bb.30:
	v_mov_b32_e32 v3, 28
	v_cmp_gt_i16_sdwa s[0:1], s79, v3 src0_sel:BYTE_0 src1_sel:DWORD
	s_and_b64 vcc, exec, s[0:1]
	s_cbranch_vccz .LBB16_41
	;; [unrolled: 5-line block ×4, first 2 shown]
; %bb.33:
	v_mov_b32_e32 v3, 46
	v_cmp_eq_u16_sdwa s[16:17], s79, v3 src0_sel:BYTE_0 src1_sel:DWORD
	s_mov_b64 s[18:19], 0
	s_mov_b64 s[0:1], -1
	s_and_b64 vcc, exec, s[16:17]
	s_mov_b64 s[16:17], 0
	s_cbranch_vccz .LBB16_50
; %bb.34:
	v_bfe_u32 v3, v2, 16, 1
	s_movk_i32 s0, 0x7fff
	v_add3_u32 v3, v2, v3, s0
	v_lshrrev_b32_e32 v3, 16, v3
	v_mov_b32_e32 v5, 0x7fc0
	v_cmp_o_f32_e32 vcc, v2, v2
	v_cndmask_b32_e32 v3, v5, v3, vcc
	global_store_dword v[0:1], v3, off
	s_mov_b64 s[16:17], -1
	s_mov_b64 s[0:1], 0
	s_branch .LBB16_50
.LBB16_35:
	s_mov_b64 s[2:3], 0
	s_mov_b64 s[0:1], 0
                                        ; implicit-def: $vgpr5
	s_cbranch_execnz .LBB16_184
	s_branch .LBB16_218
.LBB16_36:
	s_mov_b64 s[0:1], 0
	s_mov_b64 s[16:17], 0
	s_cbranch_execnz .LBB16_119
.LBB16_37:
	s_andn2_b64 vcc, exec, s[16:17]
	s_cbranch_vccnz .LBB16_267
	s_branch .LBB16_157
.LBB16_38:
	s_mov_b64 s[16:17], -1
	s_mov_b64 s[2:3], 0
	s_mov_b64 s[0:1], 0
                                        ; implicit-def: $vgpr5
	s_branch .LBB16_165
.LBB16_39:
	s_mov_b64 s[18:19], -1
	s_mov_b64 s[0:1], 0
	s_mov_b64 s[16:17], 0
	s_branch .LBB16_77
.LBB16_40:
	s_mov_b64 s[16:17], -1
	s_mov_b64 s[2:3], 0
	s_mov_b64 s[0:1], 0
                                        ; implicit-def: $vgpr5
	s_branch .LBB16_160
.LBB16_41:
	s_mov_b64 s[18:19], -1
	s_mov_b64 s[0:1], 0
	s_mov_b64 s[16:17], 0
	s_branch .LBB16_60
.LBB16_42:
	s_mov_b64 s[16:17], -1
	s_mov_b64 s[2:3], 0
	s_branch .LBB16_45
.LBB16_43:
	s_mov_b64 s[18:19], -1
	s_mov_b64 s[0:1], 0
	s_mov_b64 s[16:17], 0
	s_branch .LBB16_56
.LBB16_44:
	s_mov_b64 s[2:3], -1
.LBB16_45:
	s_mov_b64 s[0:1], 0
                                        ; implicit-def: $vgpr5
.LBB16_46:
	s_and_b64 vcc, exec, s[16:17]
	s_cbranch_vccz .LBB16_159
; %bb.47:
	v_cmp_eq_u16_e32 vcc, 44, v4
	s_cbranch_vccz .LBB16_158
; %bb.48:
	global_load_ubyte v1, v[2:3], off
	s_movk_i32 s2, 0xff
	v_mov_b32_e32 v5, 0x7f800001
	v_mov_b32_e32 v6, 0x400000
	s_mov_b64 s[0:1], -1
	s_waitcnt vmcnt(0)
	v_lshlrev_b32_e32 v7, 23, v1
	v_cmp_ne_u32_e32 vcc, s2, v1
	v_cndmask_b32_e32 v5, v5, v7, vcc
	v_cmp_ne_u32_e32 vcc, 0, v1
	v_cndmask_b32_e32 v5, v6, v5, vcc
	s_mov_b64 s[2:3], 0
	s_branch .LBB16_159
.LBB16_49:
	s_mov_b64 s[18:19], -1
	s_mov_b64 s[0:1], 0
	s_mov_b64 s[16:17], 0
.LBB16_50:
	s_and_b64 vcc, exec, s[18:19]
	s_cbranch_vccz .LBB16_55
; %bb.51:
	v_mov_b32_e32 v3, 44
	v_cmp_eq_u16_sdwa s[18:19], s79, v3 src0_sel:BYTE_0 src1_sel:DWORD
	s_mov_b64 s[0:1], -1
	s_and_b64 vcc, exec, s[18:19]
	s_cbranch_vccz .LBB16_55
; %bb.52:
	v_bfe_u32 v3, v2, 23, 8
	s_movk_i32 s0, 0xff
	v_cmp_ne_u32_e32 vcc, s0, v3
	v_mov_b32_e32 v5, 0xff
	s_and_saveexec_b64 s[16:17], vcc
; %bb.53:
	s_mov_b32 s0, 0x3fffff
	v_and_b32_e32 v6, 0x400000, v2
	v_and_or_b32 v3, v2, s0, v3
	v_cmp_ne_u32_e32 vcc, 0, v6
	v_cmp_ne_u32_e64 s[0:1], 0, v3
	s_and_b64 s[0:1], vcc, s[0:1]
	v_lshrrev_b32_e32 v5, 23, v2
	v_cndmask_b32_e64 v3, 0, 1, s[0:1]
	v_add_u32_e32 v5, v5, v3
; %bb.54:
	s_or_b64 exec, exec, s[16:17]
	s_mov_b64 s[16:17], -1
	s_mov_b64 s[0:1], 0
	global_store_byte v[0:1], v5, off
.LBB16_55:
	s_mov_b64 s[18:19], 0
.LBB16_56:
	s_and_b64 vcc, exec, s[18:19]
	s_cbranch_vccz .LBB16_59
; %bb.57:
	v_mov_b32_e32 v3, 29
	v_cmp_eq_u16_sdwa s[18:19], s79, v3 src0_sel:BYTE_0 src1_sel:DWORD
	s_mov_b64 s[0:1], -1
	s_and_b64 vcc, exec, s[18:19]
	s_cbranch_vccz .LBB16_59
; %bb.58:
	v_trunc_f32_e32 v3, v2
	v_mul_f32_e32 v5, 0x2f800000, v3
	v_floor_f32_e32 v5, v5
	v_fmac_f32_e32 v3, 0xcf800000, v5
	v_cvt_u32_f32_e32 v7, v5
	v_cvt_u32_f32_e32 v6, v3
	s_mov_b64 s[16:17], -1
	s_mov_b64 s[0:1], 0
	s_mov_b64 s[18:19], 0
	global_store_dwordx2 v[0:1], v[6:7], off
	s_branch .LBB16_60
.LBB16_59:
	s_mov_b64 s[18:19], 0
.LBB16_60:
	s_and_b64 vcc, exec, s[18:19]
	s_cbranch_vccz .LBB16_76
; %bb.61:
	v_mov_b32_e32 v3, 27
	v_cmp_lt_i16_sdwa s[18:19], s79, v3 src0_sel:BYTE_0 src1_sel:DWORD
	s_mov_b64 s[16:17], -1
	s_and_b64 vcc, exec, s[18:19]
	s_cbranch_vccnz .LBB16_67
; %bb.62:
	v_cmp_gt_i16_sdwa s[18:19], s79, v3 src0_sel:BYTE_0 src1_sel:DWORD
	v_cvt_u32_f32_e32 v3, v2
	s_and_b64 vcc, exec, s[18:19]
	s_cbranch_vccz .LBB16_64
; %bb.63:
	s_mov_b64 s[16:17], 0
	global_store_dword v[0:1], v3, off
.LBB16_64:
	s_andn2_b64 vcc, exec, s[16:17]
	s_cbranch_vccnz .LBB16_66
; %bb.65:
	global_store_short v[0:1], v3, off
.LBB16_66:
	s_mov_b64 s[16:17], 0
.LBB16_67:
	s_andn2_b64 vcc, exec, s[16:17]
	s_cbranch_vccnz .LBB16_75
; %bb.68:
	v_and_b32_e32 v3, 0x7fffffff, v2
	s_mov_b32 s16, 0x43800000
	v_cmp_gt_u32_e32 vcc, s16, v3
	v_mov_b32_e32 v5, 0x80
	s_and_saveexec_b64 s[16:17], vcc
	s_cbranch_execz .LBB16_74
; %bb.69:
	s_mov_b32 s18, 0x3bffffff
	v_cmp_lt_u32_e32 vcc, s18, v3
	s_mov_b64 s[18:19], 0
                                        ; implicit-def: $vgpr3
	s_and_saveexec_b64 s[20:21], vcc
	s_xor_b64 s[20:21], exec, s[20:21]
	s_cbranch_execz .LBB16_313
; %bb.70:
	v_bfe_u32 v3, v2, 20, 1
	s_mov_b32 s22, 0x487ffff
	v_add3_u32 v3, v2, v3, s22
	s_mov_b64 s[18:19], exec
	v_lshrrev_b32_e32 v3, 20, v3
	s_or_saveexec_b64 s[20:21], s[20:21]
                                        ; implicit-def: $sgpr22
	s_xor_b64 exec, exec, s[20:21]
	s_cbranch_execnz .LBB16_314
.LBB16_71:
	s_or_b64 exec, exec, s[20:21]
	v_mov_b32_e32 v5, s22
	s_and_saveexec_b64 s[20:21], s[18:19]
.LBB16_72:
	v_lshrrev_b32_e32 v5, 24, v2
	s_movk_i32 s18, 0x80
	v_and_or_b32 v5, v5, s18, v3
.LBB16_73:
	s_or_b64 exec, exec, s[20:21]
.LBB16_74:
	s_or_b64 exec, exec, s[16:17]
	global_store_byte v[0:1], v5, off
.LBB16_75:
	s_mov_b64 s[16:17], -1
.LBB16_76:
	s_mov_b64 s[18:19], 0
.LBB16_77:
	s_and_b64 vcc, exec, s[18:19]
	s_cbranch_vccz .LBB16_118
; %bb.78:
	v_mov_b32_e32 v3, 22
	v_cmp_gt_i16_sdwa s[20:21], s79, v3 src0_sel:BYTE_0 src1_sel:DWORD
	s_mov_b64 s[18:19], -1
	s_and_b64 vcc, exec, s[20:21]
	s_cbranch_vccz .LBB16_110
; %bb.79:
	v_mov_b32_e32 v3, 24
	v_cmp_lt_i16_sdwa s[18:19], s79, v3 src0_sel:BYTE_0 src1_sel:DWORD
	s_mov_b64 s[16:17], -1
	s_and_b64 vcc, exec, s[18:19]
	s_cbranch_vccnz .LBB16_99
; %bb.80:
	v_cmp_gt_i16_sdwa s[18:19], s79, v3 src0_sel:BYTE_0 src1_sel:DWORD
	s_and_b64 vcc, exec, s[18:19]
	s_cbranch_vccz .LBB16_88
; %bb.81:
	v_and_b32_e32 v3, 0x7fffffff, v2
	s_mov_b32 s16, 0x47800000
	v_cmp_gt_u32_e32 vcc, s16, v3
	v_mov_b32_e32 v5, 0x80
	s_and_saveexec_b64 s[16:17], vcc
	s_cbranch_execz .LBB16_87
; %bb.82:
	s_mov_b32 s18, 0x37ffffff
	v_cmp_lt_u32_e32 vcc, s18, v3
	s_mov_b64 s[18:19], 0
                                        ; implicit-def: $vgpr3
	s_and_saveexec_b64 s[20:21], vcc
	s_xor_b64 s[20:21], exec, s[20:21]
	s_cbranch_execz .LBB16_317
; %bb.83:
	v_bfe_u32 v3, v2, 21, 1
	s_mov_b32 s22, 0x88fffff
	v_add3_u32 v3, v2, v3, s22
	s_mov_b64 s[18:19], exec
	v_lshrrev_b32_e32 v3, 21, v3
	s_or_saveexec_b64 s[20:21], s[20:21]
                                        ; implicit-def: $sgpr22
	s_xor_b64 exec, exec, s[20:21]
	s_cbranch_execnz .LBB16_318
.LBB16_84:
	s_or_b64 exec, exec, s[20:21]
	v_mov_b32_e32 v5, s22
	s_and_saveexec_b64 s[20:21], s[18:19]
.LBB16_85:
	v_lshrrev_b32_e32 v5, 24, v2
	s_movk_i32 s18, 0x80
	v_and_or_b32 v5, v5, s18, v3
.LBB16_86:
	s_or_b64 exec, exec, s[20:21]
.LBB16_87:
	s_or_b64 exec, exec, s[16:17]
	s_mov_b64 s[16:17], 0
	global_store_byte v[0:1], v5, off
.LBB16_88:
	s_and_b64 vcc, exec, s[16:17]
	s_cbranch_vccz .LBB16_98
; %bb.89:
	v_and_b32_e32 v5, 0x7fffffff, v2
	s_mov_b32 s16, 0x43f00000
	v_cmp_gt_u32_e32 vcc, s16, v5
                                        ; implicit-def: $vgpr3
	s_and_saveexec_b64 s[16:17], vcc
	s_xor_b64 s[16:17], exec, s[16:17]
	s_cbranch_execz .LBB16_95
; %bb.90:
	s_mov_b32 s18, 0x3c7fffff
	v_cmp_lt_u32_e32 vcc, s18, v5
                                        ; implicit-def: $vgpr3
	s_and_saveexec_b64 s[18:19], vcc
	s_xor_b64 s[18:19], exec, s[18:19]
; %bb.91:
	v_bfe_u32 v3, v2, 20, 1
	s_mov_b32 s20, 0x407ffff
	v_add3_u32 v3, v2, v3, s20
	v_lshrrev_b32_e32 v5, 20, v3
	v_and_b32_e32 v3, 0xff00000, v3
	s_mov_b32 s20, 0x7f00000
	v_mov_b32_e32 v6, 0x7e
	v_cmp_ne_u32_e32 vcc, s20, v3
	v_cndmask_b32_e32 v3, v6, v5, vcc
; %bb.92:
	s_andn2_saveexec_b64 s[18:19], s[18:19]
; %bb.93:
	s_mov_b32 s20, 0x46800000
	v_add_f32_e64 v3, |v2|, s20
; %bb.94:
	s_or_b64 exec, exec, s[18:19]
                                        ; implicit-def: $vgpr5
.LBB16_95:
	s_andn2_saveexec_b64 s[16:17], s[16:17]
; %bb.96:
	s_mov_b32 s18, 0x7f800000
	v_mov_b32_e32 v3, 0x7e
	v_mov_b32_e32 v6, 0x7f
	v_cmp_lt_u32_e32 vcc, s18, v5
	v_cndmask_b32_e32 v3, v3, v6, vcc
; %bb.97:
	s_or_b64 exec, exec, s[16:17]
	v_lshrrev_b32_e32 v5, 24, v2
	s_movk_i32 s16, 0x80
	v_and_or_b32 v3, v5, s16, v3
	global_store_byte v[0:1], v3, off
.LBB16_98:
	s_mov_b64 s[16:17], 0
.LBB16_99:
	s_andn2_b64 vcc, exec, s[16:17]
	s_cbranch_vccnz .LBB16_109
; %bb.100:
	v_and_b32_e32 v5, 0x7fffffff, v2
	s_mov_b32 s16, 0x47800000
	v_cmp_gt_u32_e32 vcc, s16, v5
                                        ; implicit-def: $vgpr3
	s_and_saveexec_b64 s[16:17], vcc
	s_xor_b64 s[16:17], exec, s[16:17]
	s_cbranch_execz .LBB16_106
; %bb.101:
	s_mov_b32 s18, 0x387fffff
	v_cmp_lt_u32_e32 vcc, s18, v5
                                        ; implicit-def: $vgpr3
	s_and_saveexec_b64 s[18:19], vcc
	s_xor_b64 s[18:19], exec, s[18:19]
; %bb.102:
	v_bfe_u32 v3, v2, 21, 1
	s_mov_b32 s20, 0x80fffff
	v_add3_u32 v3, v2, v3, s20
	v_lshrrev_b32_e32 v3, 21, v3
; %bb.103:
	s_andn2_saveexec_b64 s[18:19], s[18:19]
; %bb.104:
	s_mov_b32 s20, 0x43000000
	v_add_f32_e64 v3, |v2|, s20
; %bb.105:
	s_or_b64 exec, exec, s[18:19]
                                        ; implicit-def: $vgpr5
.LBB16_106:
	s_andn2_saveexec_b64 s[16:17], s[16:17]
; %bb.107:
	s_mov_b32 s18, 0x7f800000
	v_mov_b32_e32 v3, 0x7c
	v_mov_b32_e32 v6, 0x7f
	v_cmp_lt_u32_e32 vcc, s18, v5
	v_cndmask_b32_e32 v3, v3, v6, vcc
; %bb.108:
	s_or_b64 exec, exec, s[16:17]
	v_lshrrev_b32_e32 v5, 24, v2
	s_movk_i32 s16, 0x80
	v_and_or_b32 v3, v5, s16, v3
	global_store_byte v[0:1], v3, off
.LBB16_109:
	s_mov_b64 s[18:19], 0
	s_mov_b64 s[16:17], -1
.LBB16_110:
	s_andn2_b64 vcc, exec, s[18:19]
	s_cbranch_vccnz .LBB16_118
; %bb.111:
	v_mov_b32_e32 v3, 14
	v_cmp_gt_i16_sdwa s[20:21], s79, v3 src0_sel:BYTE_0 src1_sel:DWORD
	s_mov_b64 s[18:19], -1
	s_and_b64 vcc, exec, s[20:21]
	s_cbranch_vccz .LBB16_115
; %bb.112:
	v_mov_b32_e32 v3, 15
	v_cmp_eq_u16_sdwa s[18:19], s79, v3 src0_sel:BYTE_0 src1_sel:DWORD
	s_mov_b64 s[0:1], -1
	s_and_b64 vcc, exec, s[18:19]
	s_cbranch_vccz .LBB16_114
; %bb.113:
	v_bfe_u32 v3, v2, 16, 1
	s_movk_i32 s0, 0x7fff
	v_add3_u32 v3, v2, v3, s0
	v_lshrrev_b32_e32 v3, 16, v3
	v_mov_b32_e32 v5, 0x7fc0
	v_cmp_o_f32_e32 vcc, v2, v2
	v_cndmask_b32_e32 v3, v5, v3, vcc
	global_store_short v[0:1], v3, off
	s_mov_b64 s[16:17], -1
	s_mov_b64 s[0:1], 0
.LBB16_114:
	s_mov_b64 s[18:19], 0
.LBB16_115:
	s_and_b64 vcc, exec, s[18:19]
	s_cbranch_vccz .LBB16_118
; %bb.116:
	v_mov_b32_e32 v3, 11
	v_cmp_eq_u16_sdwa s[18:19], s79, v3 src0_sel:BYTE_0 src1_sel:DWORD
	s_mov_b64 s[0:1], -1
	s_and_b64 vcc, exec, s[18:19]
	s_cbranch_vccz .LBB16_118
; %bb.117:
	v_cmp_neq_f32_e32 vcc, 0, v2
	v_cndmask_b32_e64 v3, 0, 1, vcc
	s_mov_b64 s[16:17], -1
	s_mov_b64 s[0:1], 0
	global_store_byte v[0:1], v3, off
.LBB16_118:
	s_branch .LBB16_37
.LBB16_119:
	v_mov_b32_e32 v3, 5
	v_cmp_lt_i16_sdwa s[18:19], s79, v3 src0_sel:BYTE_0 src1_sel:DWORD
	s_mov_b64 s[16:17], -1
	s_and_b64 vcc, exec, s[18:19]
	s_cbranch_vccnz .LBB16_140
; %bb.120:
	v_mov_b32_e32 v3, 8
	v_cmp_lt_i16_sdwa s[18:19], s79, v3 src0_sel:BYTE_0 src1_sel:DWORD
	s_and_b64 vcc, exec, s[18:19]
	s_cbranch_vccnz .LBB16_130
; %bb.121:
	v_mov_b32_e32 v3, 9
	v_cmp_lt_i16_sdwa s[18:19], s79, v3 src0_sel:BYTE_0 src1_sel:DWORD
	s_and_b64 vcc, exec, s[18:19]
	s_cbranch_vccnz .LBB16_127
; %bb.122:
	v_cmp_gt_i16_sdwa s[18:19], s79, v3 src0_sel:BYTE_0 src1_sel:DWORD
	s_and_b64 vcc, exec, s[18:19]
	s_cbranch_vccz .LBB16_124
; %bb.123:
	v_mov_b32_e32 v12, 0
	v_cvt_f64_f32_e32 v[10:11], v2
	v_mov_b32_e32 v13, v12
	global_store_dwordx4 v[0:1], v[10:13], off
	s_mov_b64 s[16:17], 0
.LBB16_124:
	s_andn2_b64 vcc, exec, s[16:17]
	s_cbranch_vccnz .LBB16_126
; %bb.125:
	v_mov_b32_e32 v3, 0
	global_store_dwordx2 v[0:1], v[2:3], off
.LBB16_126:
	s_mov_b64 s[16:17], 0
.LBB16_127:
	s_andn2_b64 vcc, exec, s[16:17]
	s_cbranch_vccnz .LBB16_129
; %bb.128:
	v_cvt_f16_f32_e32 v3, v2
	global_store_dword v[0:1], v3, off
.LBB16_129:
	s_mov_b64 s[16:17], 0
.LBB16_130:
	s_andn2_b64 vcc, exec, s[16:17]
	s_cbranch_vccnz .LBB16_139
; %bb.131:
	v_mov_b32_e32 v3, 6
	v_cmp_lt_i16_sdwa s[18:19], s79, v3 src0_sel:BYTE_0 src1_sel:DWORD
	s_mov_b64 s[16:17], -1
	s_and_b64 vcc, exec, s[18:19]
	s_cbranch_vccnz .LBB16_137
; %bb.132:
	v_cmp_gt_i16_sdwa s[18:19], s79, v3 src0_sel:BYTE_0 src1_sel:DWORD
	s_and_b64 vcc, exec, s[18:19]
	s_cbranch_vccz .LBB16_134
; %bb.133:
	v_cvt_f64_f32_e32 v[6:7], v2
	global_store_dwordx2 v[0:1], v[6:7], off
	s_mov_b64 s[16:17], 0
.LBB16_134:
	s_andn2_b64 vcc, exec, s[16:17]
	s_cbranch_vccnz .LBB16_136
; %bb.135:
	global_store_dword v[0:1], v2, off
.LBB16_136:
	s_mov_b64 s[16:17], 0
.LBB16_137:
	s_andn2_b64 vcc, exec, s[16:17]
	s_cbranch_vccnz .LBB16_139
; %bb.138:
	v_cvt_f16_f32_e32 v3, v2
	global_store_short v[0:1], v3, off
.LBB16_139:
	s_mov_b64 s[16:17], 0
.LBB16_140:
	s_andn2_b64 vcc, exec, s[16:17]
	s_cbranch_vccnz .LBB16_156
; %bb.141:
	v_mov_b32_e32 v3, 2
	v_cmp_lt_i16_sdwa s[18:19], s79, v3 src0_sel:BYTE_0 src1_sel:DWORD
	s_mov_b64 s[16:17], -1
	s_and_b64 vcc, exec, s[18:19]
	s_cbranch_vccnz .LBB16_151
; %bb.142:
	v_mov_b32_e32 v3, 3
	v_cmp_lt_i16_sdwa s[18:19], s79, v3 src0_sel:BYTE_0 src1_sel:DWORD
	s_and_b64 vcc, exec, s[18:19]
	s_cbranch_vccnz .LBB16_148
; %bb.143:
	v_cmp_gt_i16_sdwa s[18:19], s79, v3 src0_sel:BYTE_0 src1_sel:DWORD
	s_and_b64 vcc, exec, s[18:19]
	s_cbranch_vccz .LBB16_145
; %bb.144:
	v_trunc_f32_e32 v3, v2
	s_mov_b32 s16, 0x2f800000
	v_mul_f32_e64 v5, |v3|, s16
	v_floor_f32_e32 v5, v5
	s_mov_b32 s16, 0xcf800000
	v_cvt_u32_f32_e32 v6, v5
	v_fma_f32 v5, v5, s16, |v3|
	v_cvt_u32_f32_e32 v5, v5
	v_ashrrev_i32_e32 v3, 31, v3
	v_xor_b32_e32 v7, v6, v3
	s_mov_b64 s[16:17], 0
	v_xor_b32_e32 v5, v5, v3
	v_sub_co_u32_e32 v6, vcc, v5, v3
	v_subb_co_u32_e32 v7, vcc, v7, v3, vcc
	global_store_dwordx2 v[0:1], v[6:7], off
.LBB16_145:
	s_andn2_b64 vcc, exec, s[16:17]
	s_cbranch_vccnz .LBB16_147
; %bb.146:
	v_cvt_i32_f32_e32 v3, v2
	global_store_dword v[0:1], v3, off
.LBB16_147:
	s_mov_b64 s[16:17], 0
.LBB16_148:
	s_andn2_b64 vcc, exec, s[16:17]
	s_cbranch_vccnz .LBB16_150
; %bb.149:
	v_cvt_i32_f32_e32 v3, v2
	global_store_short v[0:1], v3, off
.LBB16_150:
	s_mov_b64 s[16:17], 0
.LBB16_151:
	s_andn2_b64 vcc, exec, s[16:17]
	s_cbranch_vccnz .LBB16_156
; %bb.152:
	v_mov_b32_e32 v3, 0
	v_cmp_gt_i16_sdwa s[18:19], s79, v3 src0_sel:BYTE_0 src1_sel:DWORD
	s_mov_b64 s[16:17], -1
	s_and_b64 vcc, exec, s[18:19]
	s_cbranch_vccz .LBB16_154
; %bb.153:
	v_cvt_i32_f32_e32 v3, v2
	s_mov_b64 s[16:17], 0
	global_store_byte v[0:1], v3, off
.LBB16_154:
	s_andn2_b64 vcc, exec, s[16:17]
	s_cbranch_vccnz .LBB16_156
; %bb.155:
	v_trunc_f32_e32 v2, v2
	s_mov_b32 s16, 0x2f800000
	v_mul_f32_e64 v3, |v2|, s16
	v_floor_f32_e32 v3, v3
	s_mov_b32 s16, 0xcf800000
	v_fma_f32 v3, v3, s16, |v2|
	v_cvt_u32_f32_e32 v3, v3
	v_ashrrev_i32_e32 v2, 31, v2
	v_xor_b32_e32 v3, v3, v2
	v_sub_u32_e32 v2, v3, v2
	global_store_byte v[0:1], v2, off
.LBB16_156:
.LBB16_157:
	v_add_u32_e32 v8, 0x80, v8
	s_mov_b64 s[16:17], -1
	s_branch .LBB16_268
.LBB16_158:
	s_mov_b64 s[2:3], -1
                                        ; implicit-def: $vgpr5
.LBB16_159:
	s_mov_b64 s[16:17], 0
.LBB16_160:
	s_and_b64 vcc, exec, s[16:17]
	s_cbranch_vccz .LBB16_164
; %bb.161:
	v_cmp_eq_u16_e32 vcc, 29, v4
	s_cbranch_vccz .LBB16_163
; %bb.162:
	global_load_dwordx2 v[6:7], v[2:3], off
	s_mov_b64 s[0:1], -1
	s_mov_b64 s[2:3], 0
	s_mov_b64 s[16:17], 0
	s_waitcnt vmcnt(0)
	v_ffbh_u32_e32 v1, v7
	v_min_u32_e32 v1, 32, v1
	v_lshlrev_b64 v[6:7], v1, v[6:7]
	v_min_u32_e32 v5, 1, v6
	v_or_b32_e32 v5, v7, v5
	v_cvt_f32_u32_e32 v5, v5
	v_sub_u32_e32 v1, 32, v1
	v_ldexp_f32 v5, v5, v1
	s_branch .LBB16_165
.LBB16_163:
	s_mov_b64 s[2:3], -1
                                        ; implicit-def: $vgpr5
.LBB16_164:
	s_mov_b64 s[16:17], 0
.LBB16_165:
	s_and_b64 vcc, exec, s[16:17]
	s_cbranch_vccz .LBB16_183
; %bb.166:
	v_cmp_gt_i16_e32 vcc, 27, v4
	s_cbranch_vccnz .LBB16_169
; %bb.167:
	v_cmp_lt_i16_e32 vcc, 27, v4
	s_cbranch_vccz .LBB16_170
; %bb.168:
	global_load_dword v1, v[2:3], off
	s_mov_b64 s[0:1], 0
	s_waitcnt vmcnt(0)
	v_cvt_f32_u32_e32 v5, v1
	s_branch .LBB16_171
.LBB16_169:
	s_mov_b64 s[0:1], -1
                                        ; implicit-def: $vgpr5
	s_branch .LBB16_174
.LBB16_170:
	s_mov_b64 s[0:1], -1
                                        ; implicit-def: $vgpr5
.LBB16_171:
	s_andn2_b64 vcc, exec, s[0:1]
	s_cbranch_vccnz .LBB16_173
; %bb.172:
	global_load_ushort v1, v[2:3], off
	s_waitcnt vmcnt(0)
	v_cvt_f32_u32_e32 v5, v1
.LBB16_173:
	s_mov_b64 s[0:1], 0
.LBB16_174:
	s_andn2_b64 vcc, exec, s[0:1]
	s_cbranch_vccnz .LBB16_182
; %bb.175:
	global_load_ubyte v1, v[2:3], off
	s_movk_i32 s0, 0x7f
                                        ; implicit-def: $sgpr20
	s_waitcnt vmcnt(0)
	v_cmp_lt_i16_e32 vcc, s0, v1
	s_mov_b64 s[0:1], 0
	s_and_saveexec_b64 s[16:17], vcc
	s_xor_b64 s[16:17], exec, s[16:17]
	s_cbranch_execz .LBB16_195
; %bb.176:
	s_movk_i32 s0, 0x80
	v_cmp_eq_u16_e32 vcc, s0, v1
	s_mov_b64 s[0:1], -1
                                        ; implicit-def: $sgpr20
	s_and_saveexec_b64 s[18:19], vcc
; %bb.177:
	s_mov_b32 s20, 0x7f800001
	s_xor_b64 s[0:1], exec, -1
; %bb.178:
	s_or_b64 exec, exec, s[18:19]
	s_and_b64 s[0:1], s[0:1], exec
	s_or_saveexec_b64 s[16:17], s[16:17]
	v_mov_b32_e32 v5, s20
	s_xor_b64 exec, exec, s[16:17]
	s_cbranch_execnz .LBB16_196
.LBB16_179:
	s_or_b64 exec, exec, s[16:17]
	s_and_saveexec_b64 s[16:17], s[0:1]
	s_cbranch_execz .LBB16_181
.LBB16_180:
	v_lshlrev_b32_e32 v5, 24, v1
	v_and_b32_e32 v1, 0xffff, v1
	v_and_b32_e32 v6, 7, v1
	v_ffbh_u32_e32 v9, v6
	v_min_u32_e32 v9, 32, v9
	v_subrev_u32_e32 v10, 28, v9
	v_bfe_u32 v7, v1, 3, 4
	v_lshlrev_b32_e32 v1, v10, v1
	v_sub_u32_e32 v9, 29, v9
	v_and_b32_e32 v1, 7, v1
	v_cmp_eq_u32_e32 vcc, 0, v7
	v_cndmask_b32_e32 v7, v7, v9, vcc
	v_cndmask_b32_e32 v1, v6, v1, vcc
	v_mov_b32_e32 v6, 0x3b800000
	v_lshlrev_b32_e32 v1, 20, v1
	v_and_b32_e32 v5, 0x80000000, v5
	v_lshl_add_u32 v6, v7, 23, v6
	v_or3_b32 v5, v5, v6, v1
.LBB16_181:
	s_or_b64 exec, exec, s[16:17]
.LBB16_182:
	s_mov_b64 s[0:1], -1
.LBB16_183:
	s_branch .LBB16_218
.LBB16_184:
	v_cmp_lt_i16_e32 vcc, 22, v4
	s_cbranch_vccz .LBB16_194
; %bb.185:
	v_cmp_gt_i16_e32 vcc, 24, v4
	s_cbranch_vccnz .LBB16_197
; %bb.186:
	v_cmp_lt_i16_e32 vcc, 24, v4
	s_cbranch_vccz .LBB16_198
; %bb.187:
	global_load_ubyte v1, v[2:3], off
	s_movk_i32 s0, 0x7f
                                        ; implicit-def: $sgpr20
	s_waitcnt vmcnt(0)
	v_cmp_lt_i16_e32 vcc, s0, v1
	s_mov_b64 s[0:1], 0
	s_and_saveexec_b64 s[16:17], vcc
	s_xor_b64 s[16:17], exec, s[16:17]
	s_cbranch_execz .LBB16_210
; %bb.188:
	s_movk_i32 s0, 0x80
	v_cmp_eq_u16_e32 vcc, s0, v1
	s_mov_b64 s[0:1], -1
                                        ; implicit-def: $sgpr20
	s_and_saveexec_b64 s[18:19], vcc
; %bb.189:
	s_mov_b32 s20, 0x7f800001
	s_xor_b64 s[0:1], exec, -1
; %bb.190:
	s_or_b64 exec, exec, s[18:19]
	s_and_b64 s[0:1], s[0:1], exec
	s_or_saveexec_b64 s[16:17], s[16:17]
	v_mov_b32_e32 v5, s20
	s_xor_b64 exec, exec, s[16:17]
	s_cbranch_execnz .LBB16_211
.LBB16_191:
	s_or_b64 exec, exec, s[16:17]
	s_and_saveexec_b64 s[16:17], s[0:1]
	s_cbranch_execz .LBB16_193
.LBB16_192:
	v_lshlrev_b32_e32 v5, 24, v1
	v_and_b32_e32 v1, 0xffff, v1
	v_and_b32_e32 v6, 3, v1
	v_ffbh_u32_e32 v9, v6
	v_min_u32_e32 v9, 32, v9
	v_subrev_u32_e32 v10, 29, v9
	v_bfe_u32 v7, v1, 2, 5
	v_lshlrev_b32_e32 v1, v10, v1
	v_sub_u32_e32 v9, 30, v9
	v_and_b32_e32 v1, 3, v1
	v_cmp_eq_u32_e32 vcc, 0, v7
	v_cndmask_b32_e32 v7, v7, v9, vcc
	v_cndmask_b32_e32 v1, v6, v1, vcc
	v_mov_b32_e32 v6, 0x37800000
	v_lshlrev_b32_e32 v1, 21, v1
	v_and_b32_e32 v5, 0x80000000, v5
	v_lshl_add_u32 v6, v7, 23, v6
	v_or3_b32 v5, v5, v6, v1
.LBB16_193:
	s_or_b64 exec, exec, s[16:17]
	s_mov_b64 s[0:1], 0
	s_branch .LBB16_199
.LBB16_194:
	s_mov_b64 s[16:17], -1
                                        ; implicit-def: $vgpr5
	s_branch .LBB16_205
.LBB16_195:
	s_or_saveexec_b64 s[16:17], s[16:17]
	v_mov_b32_e32 v5, s20
	s_xor_b64 exec, exec, s[16:17]
	s_cbranch_execz .LBB16_179
.LBB16_196:
	v_cmp_ne_u16_e32 vcc, 0, v1
	s_andn2_b64 s[0:1], s[0:1], exec
	s_and_b64 s[18:19], vcc, exec
	v_mov_b32_e32 v5, 0
	s_or_b64 s[0:1], s[0:1], s[18:19]
	s_or_b64 exec, exec, s[16:17]
	s_and_saveexec_b64 s[16:17], s[0:1]
	s_cbranch_execnz .LBB16_180
	s_branch .LBB16_181
.LBB16_197:
	s_mov_b64 s[0:1], -1
                                        ; implicit-def: $vgpr5
	s_branch .LBB16_202
.LBB16_198:
	s_mov_b64 s[0:1], -1
                                        ; implicit-def: $vgpr5
.LBB16_199:
	s_and_b64 vcc, exec, s[0:1]
	s_cbranch_vccz .LBB16_201
; %bb.200:
	global_load_ubyte v1, v[2:3], off
	s_mov_b32 s0, 0x7f800000
	s_waitcnt vmcnt(0)
	v_lshlrev_b32_e32 v1, 24, v1
	v_and_b32_e32 v5, 0x7f000000, v1
	v_ffbh_u32_e32 v6, v5
	v_min_u32_e32 v6, 32, v6
	v_sub_u32_e64 v6, v6, 4 clamp
	v_lshlrev_b32_e32 v9, v6, v5
	v_lshlrev_b32_e32 v6, 23, v6
	v_lshrrev_b32_e32 v9, 4, v9
	v_add_u32_e32 v7, 0x1000000, v5
	v_sub_u32_e32 v6, v9, v6
	v_ashrrev_i32_e32 v7, 8, v7
	v_add_u32_e32 v6, 0x3c000000, v6
	v_and_or_b32 v6, v7, s0, v6
	v_cmp_ne_u32_e32 vcc, 0, v5
	v_cndmask_b32_e32 v5, 0, v6, vcc
	s_brev_b32 s0, 1
	v_and_or_b32 v5, v1, s0, v5
.LBB16_201:
	s_mov_b64 s[0:1], 0
.LBB16_202:
	s_andn2_b64 vcc, exec, s[0:1]
	s_cbranch_vccnz .LBB16_204
; %bb.203:
	global_load_ubyte v1, v[2:3], off
	s_movk_i32 s0, 0x7f00
	s_brev_b32 s1, 16
	s_waitcnt vmcnt(0)
	v_lshlrev_b16_e32 v5, 8, v1
	v_lshlrev_b32_e32 v1, 25, v1
	v_lshrrev_b32_e32 v6, 4, v1
	v_and_or_b32 v7, v5, s0, 0.5
	v_or_b32_e32 v6, 0x70000000, v6
	v_add_f32_e32 v7, -0.5, v7
	v_mul_f32_e32 v6, 0x7800000, v6
	v_cmp_gt_u32_e32 vcc, s1, v1
	v_bfe_i32 v5, v5, 0, 16
	v_cndmask_b32_e32 v1, v6, v7, vcc
	s_brev_b32 s0, 1
	v_and_or_b32 v5, v5, s0, v1
.LBB16_204:
	s_mov_b64 s[16:17], 0
	s_mov_b64 s[0:1], -1
.LBB16_205:
	s_andn2_b64 vcc, exec, s[16:17]
	s_cbranch_vccnz .LBB16_218
; %bb.206:
	v_cmp_lt_i16_e32 vcc, 14, v4
	s_cbranch_vccz .LBB16_209
; %bb.207:
	v_cmp_eq_u16_e32 vcc, 15, v4
	s_cbranch_vccz .LBB16_212
; %bb.208:
	global_load_ushort v1, v[2:3], off
	s_mov_b64 s[0:1], -1
	s_mov_b64 s[2:3], 0
	s_waitcnt vmcnt(0)
	v_lshlrev_b32_e32 v5, 16, v1
	s_branch .LBB16_213
.LBB16_209:
	s_mov_b64 s[16:17], -1
                                        ; implicit-def: $vgpr5
	s_branch .LBB16_214
.LBB16_210:
	s_or_saveexec_b64 s[16:17], s[16:17]
	v_mov_b32_e32 v5, s20
	s_xor_b64 exec, exec, s[16:17]
	s_cbranch_execz .LBB16_191
.LBB16_211:
	v_cmp_ne_u16_e32 vcc, 0, v1
	s_andn2_b64 s[0:1], s[0:1], exec
	s_and_b64 s[18:19], vcc, exec
	v_mov_b32_e32 v5, 0
	s_or_b64 s[0:1], s[0:1], s[18:19]
	s_or_b64 exec, exec, s[16:17]
	s_and_saveexec_b64 s[16:17], s[0:1]
	s_cbranch_execnz .LBB16_192
	s_branch .LBB16_193
.LBB16_212:
	s_mov_b64 s[2:3], -1
                                        ; implicit-def: $vgpr5
.LBB16_213:
	s_mov_b64 s[16:17], 0
.LBB16_214:
	s_and_b64 vcc, exec, s[16:17]
	s_cbranch_vccz .LBB16_218
; %bb.215:
	v_cmp_eq_u16_e32 vcc, 11, v4
	s_cbranch_vccz .LBB16_217
; %bb.216:
	global_load_ubyte v1, v[2:3], off
	s_mov_b64 s[0:1], -1
	s_mov_b64 s[2:3], 0
	s_waitcnt vmcnt(0)
	v_cmp_ne_u16_e32 vcc, 0, v1
	v_cndmask_b32_e64 v5, 0, 1.0, vcc
	s_branch .LBB16_218
.LBB16_217:
	s_mov_b64 s[2:3], -1
                                        ; implicit-def: $vgpr5
.LBB16_218:
	s_branch .LBB16_25
.LBB16_219:
	v_cmp_gt_i16_e32 vcc, 5, v4
	s_cbranch_vccnz .LBB16_224
; %bb.220:
	v_cmp_gt_i16_e32 vcc, 8, v4
	s_cbranch_vccnz .LBB16_225
; %bb.221:
	;; [unrolled: 3-line block ×3, first 2 shown]
	v_cmp_lt_i16_e32 vcc, 9, v4
	s_cbranch_vccz .LBB16_227
; %bb.223:
	global_load_dwordx2 v[6:7], v[2:3], off
	s_mov_b64 s[0:1], 0
	s_waitcnt vmcnt(0)
	v_cvt_f32_f64_e32 v5, v[6:7]
	s_branch .LBB16_228
.LBB16_224:
                                        ; implicit-def: $vgpr5
	s_branch .LBB16_246
.LBB16_225:
	s_mov_b64 s[0:1], -1
                                        ; implicit-def: $vgpr5
	s_branch .LBB16_234
.LBB16_226:
	s_mov_b64 s[0:1], -1
                                        ; implicit-def: $vgpr5
	s_branch .LBB16_231
.LBB16_227:
	s_mov_b64 s[0:1], -1
                                        ; implicit-def: $vgpr5
.LBB16_228:
	s_andn2_b64 vcc, exec, s[0:1]
	s_cbranch_vccnz .LBB16_230
; %bb.229:
	global_load_dword v5, v[2:3], off
.LBB16_230:
	s_mov_b64 s[0:1], 0
.LBB16_231:
	s_andn2_b64 vcc, exec, s[0:1]
	s_cbranch_vccnz .LBB16_233
; %bb.232:
	global_load_dword v1, v[2:3], off
	s_waitcnt vmcnt(0)
	v_cvt_f32_f16_e32 v5, v1
.LBB16_233:
	s_mov_b64 s[0:1], 0
.LBB16_234:
	s_andn2_b64 vcc, exec, s[0:1]
	s_cbranch_vccnz .LBB16_245
; %bb.235:
	v_cmp_gt_i16_e32 vcc, 6, v4
	s_cbranch_vccnz .LBB16_238
; %bb.236:
	v_cmp_lt_i16_e32 vcc, 6, v4
	s_cbranch_vccz .LBB16_239
; %bb.237:
	global_load_dwordx2 v[6:7], v[2:3], off
	s_mov_b64 s[0:1], 0
	s_waitcnt vmcnt(0)
	v_cvt_f32_f64_e32 v5, v[6:7]
	s_branch .LBB16_240
.LBB16_238:
	s_mov_b64 s[0:1], -1
                                        ; implicit-def: $vgpr5
	s_branch .LBB16_243
.LBB16_239:
	s_mov_b64 s[0:1], -1
                                        ; implicit-def: $vgpr5
.LBB16_240:
	s_andn2_b64 vcc, exec, s[0:1]
	s_cbranch_vccnz .LBB16_242
; %bb.241:
	global_load_dword v5, v[2:3], off
.LBB16_242:
	s_mov_b64 s[0:1], 0
.LBB16_243:
	s_andn2_b64 vcc, exec, s[0:1]
	s_cbranch_vccnz .LBB16_245
; %bb.244:
	global_load_ushort v1, v[2:3], off
	s_waitcnt vmcnt(0)
	v_cvt_f32_f16_e32 v5, v1
.LBB16_245:
	s_cbranch_execnz .LBB16_265
.LBB16_246:
	v_cmp_gt_i16_e32 vcc, 2, v4
	s_cbranch_vccnz .LBB16_250
; %bb.247:
	v_cmp_gt_i16_e32 vcc, 3, v4
	s_cbranch_vccnz .LBB16_251
; %bb.248:
	v_cmp_lt_i16_e32 vcc, 3, v4
	s_cbranch_vccz .LBB16_252
; %bb.249:
	global_load_dwordx2 v[6:7], v[2:3], off
	s_mov_b64 s[0:1], 0
	s_waitcnt vmcnt(0)
	v_xor_b32_e32 v5, v6, v7
	v_ffbh_i32_e32 v1, v7
	v_ashrrev_i32_e32 v5, 31, v5
	v_add_u32_e32 v1, -1, v1
	v_add_u32_e32 v5, 32, v5
	v_min_u32_e32 v1, v1, v5
	v_lshlrev_b64 v[6:7], v1, v[6:7]
	v_min_u32_e32 v5, 1, v6
	v_or_b32_e32 v5, v7, v5
	v_cvt_f32_i32_e32 v5, v5
	v_sub_u32_e32 v1, 32, v1
	v_ldexp_f32 v5, v5, v1
	s_branch .LBB16_253
.LBB16_250:
	s_mov_b64 s[0:1], -1
                                        ; implicit-def: $vgpr5
	s_branch .LBB16_259
.LBB16_251:
	s_mov_b64 s[0:1], -1
                                        ; implicit-def: $vgpr5
	s_branch .LBB16_256
.LBB16_252:
	s_mov_b64 s[0:1], -1
                                        ; implicit-def: $vgpr5
.LBB16_253:
	s_andn2_b64 vcc, exec, s[0:1]
	s_cbranch_vccnz .LBB16_255
; %bb.254:
	global_load_dword v1, v[2:3], off
	s_waitcnt vmcnt(0)
	v_cvt_f32_i32_e32 v5, v1
.LBB16_255:
	s_mov_b64 s[0:1], 0
.LBB16_256:
	s_andn2_b64 vcc, exec, s[0:1]
	s_cbranch_vccnz .LBB16_258
; %bb.257:
	global_load_sshort v1, v[2:3], off
	s_waitcnt vmcnt(0)
	v_cvt_f32_i32_e32 v5, v1
.LBB16_258:
	s_mov_b64 s[0:1], 0
.LBB16_259:
	s_andn2_b64 vcc, exec, s[0:1]
	s_cbranch_vccnz .LBB16_265
; %bb.260:
	v_cmp_lt_i16_e32 vcc, 0, v4
	s_cbranch_vccz .LBB16_262
; %bb.261:
	global_load_sbyte v1, v[2:3], off
	s_mov_b64 s[0:1], 0
	s_waitcnt vmcnt(0)
	v_cvt_f32_i32_e32 v5, v1
	s_branch .LBB16_263
.LBB16_262:
	s_mov_b64 s[0:1], -1
                                        ; implicit-def: $vgpr5
.LBB16_263:
	s_andn2_b64 vcc, exec, s[0:1]
	s_cbranch_vccnz .LBB16_265
; %bb.264:
	global_load_ubyte v1, v[2:3], off
	s_waitcnt vmcnt(0)
	v_cvt_f32_ubyte0_e32 v5, v1
.LBB16_265:
	s_branch .LBB16_26
.LBB16_266:
	s_mov_b64 s[0:1], 0
.LBB16_267:
	s_mov_b64 s[16:17], 0
                                        ; implicit-def: $vgpr8
.LBB16_268:
	s_and_b64 s[56:57], s[0:1], exec
	s_and_b64 s[58:59], s[2:3], exec
	s_orn2_b64 s[2:3], s[16:17], exec
.LBB16_269:
	s_or_b64 exec, exec, s[60:61]
	s_mov_b64 s[16:17], 0
	s_mov_b64 s[0:1], 0
                                        ; implicit-def: $vgpr2_vgpr3
                                        ; implicit-def: $vgpr0
                                        ; implicit-def: $vgpr5
	s_and_saveexec_b64 s[60:61], s[2:3]
	s_cbranch_execz .LBB16_277
; %bb.270:
	v_cmp_gt_i32_e32 vcc, s76, v8
	s_mov_b64 s[0:1], -1
	s_mov_b64 s[62:63], s[58:59]
	s_mov_b64 s[64:65], s[56:57]
	s_and_saveexec_b64 s[66:67], vcc
	s_cbranch_execz .LBB16_548
; %bb.271:
	s_andn2_b64 vcc, exec, s[44:45]
	s_cbranch_vccnz .LBB16_280
; %bb.272:
	s_mov_b32 s62, 0
	s_andn2_b64 vcc, exec, s[54:55]
	v_mov_b32_e32 v2, 0
	v_mov_b32_e32 v0, 0
	s_cbranch_vccnz .LBB16_286
; %bb.273:
	s_add_i32 s70, s77, 1
	s_cmp_eq_u32 s78, 2
	s_cbranch_scc1 .LBB16_281
; %bb.274:
	s_and_b32 s62, s70, 28
	s_mov_b32 s63, 0
	v_mov_b32_e32 v0, 0
	s_mov_b64 s[64:65], s[34:35]
	s_mov_b64 s[68:69], s[52:53]
	v_mov_b32_e32 v3, v8
	v_mov_b32_e32 v2, 0
.LBB16_275:                             ; =>This Inner Loop Header: Depth=1
	s_load_dwordx8 s[24:31], s[64:65], 0x4
	s_load_dwordx4 s[0:3], s[64:65], 0x24
	s_load_dwordx8 s[16:23], s[68:69], 0x0
	s_add_u32 s64, s64, 48
	s_addc_u32 s65, s65, 0
	s_waitcnt lgkmcnt(0)
	v_mul_hi_u32 v1, s25, v3
	v_add_u32_e32 v1, v3, v1
	v_lshrrev_b32_e32 v1, s26, v1
	s_waitcnt vmcnt(0)
	v_mul_lo_u32 v5, v1, s24
	v_mul_hi_u32 v6, s28, v1
	v_sub_u32_e32 v3, v3, v5
	v_add_u32_e32 v5, v1, v6
	v_lshrrev_b32_e32 v5, s29, v5
	v_mul_lo_u32 v7, v5, s27
	v_mul_hi_u32 v9, s31, v5
	v_sub_u32_e32 v1, v1, v7
	v_add_u32_e32 v7, v5, v9
	v_mul_lo_u32 v6, v3, s17
	v_mul_lo_u32 v3, v3, s16
	;; [unrolled: 1-line block ×4, first 2 shown]
	v_lshrrev_b32_e32 v7, s0, v7
	v_add3_u32 v0, v3, v0, v1
	v_mul_hi_u32 v3, s2, v7
	v_add_u32_e32 v3, v7, v3
	v_lshrrev_b32_e32 v3, s3, v3
	s_add_i32 s63, s63, 4
	v_add3_u32 v1, v6, v2, v9
	v_mul_lo_u32 v2, v7, s30
	v_mul_lo_u32 v6, v3, s1
	s_add_u32 s68, s68, 32
	v_sub_u32_e32 v2, v5, v2
	v_sub_u32_e32 v6, v7, v6
	s_addc_u32 s69, s69, 0
	v_mul_lo_u32 v5, v2, s20
	v_mul_lo_u32 v2, v2, s21
	;; [unrolled: 1-line block ×4, first 2 shown]
	s_cmp_eq_u32 s62, s63
	v_add3_u32 v2, v2, v1, v6
	v_add3_u32 v0, v5, v0, v7
	s_cbranch_scc0 .LBB16_275
; %bb.276:
	v_mov_b32_e32 v1, v2
	s_branch .LBB16_282
.LBB16_277:
	s_or_b64 exec, exec, s[60:61]
	s_mov_b64 s[2:3], 0
	s_and_saveexec_b64 s[10:11], s[58:59]
	s_cbranch_execnz .LBB16_928
.LBB16_278:
	s_or_b64 exec, exec, s[10:11]
	s_and_saveexec_b64 s[10:11], s[64:65]
	s_xor_b64 s[10:11], exec, s[10:11]
	s_cbranch_execz .LBB16_929
.LBB16_279:
	global_load_ubyte v1, v[2:3], off
	s_or_b64 s[0:1], s[0:1], exec
	s_waitcnt vmcnt(0)
	v_cmp_ne_u16_e32 vcc, 0, v1
	v_cndmask_b32_e64 v5, 0, 1.0, vcc
	s_or_b64 exec, exec, s[10:11]
	s_and_saveexec_b64 s[10:11], s[16:17]
	s_cbranch_execz .LBB16_975
	s_branch .LBB16_930
.LBB16_280:
                                        ; implicit-def: $vgpr2
                                        ; implicit-def: $vgpr0
	s_andn2_b64 vcc, exec, s[0:1]
	s_cbranch_vccz .LBB16_287
	s_branch .LBB16_289
.LBB16_281:
	s_mov_b32 s63, s62
	v_pk_mov_b32 v[0:1], s[62:63], s[62:63] op_sel:[0,1]
                                        ; implicit-def: $vgpr2
	v_mov_b32_e32 v3, v8
.LBB16_282:
	s_and_b32 s16, s70, 3
	s_cmp_eq_u32 s16, 0
	s_cbranch_scc1 .LBB16_286
; %bb.283:
	s_lshl_b32 s0, s62, 3
	s_add_u32 s0, s0, s34
	s_addc_u32 s1, s35, 0
	s_add_u32 s0, s0, 0xc4
	s_addc_u32 s1, s1, 0
	s_mul_i32 s2, s62, 12
	s_add_u32 s2, s34, s2
	s_addc_u32 s3, s35, 0
.LBB16_284:                             ; =>This Inner Loop Header: Depth=1
	s_load_dwordx2 s[18:19], s[2:3], 0x4
	s_load_dword s17, s[2:3], 0xc
	s_load_dwordx2 s[20:21], s[0:1], 0x0
	v_mov_b32_e32 v2, v1
	s_add_u32 s2, s2, 12
	s_waitcnt lgkmcnt(0)
	v_mul_hi_u32 v1, s19, v3
	v_add_u32_e32 v1, v3, v1
	v_lshrrev_b32_e32 v1, s17, v1
	s_addc_u32 s3, s3, 0
	s_waitcnt vmcnt(0)
	v_mul_lo_u32 v5, v1, s18
	s_add_u32 s0, s0, 8
	v_sub_u32_e32 v5, v3, v5
	v_mov_b32_e32 v3, v1
	s_addc_u32 s1, s1, 0
	s_add_i32 s16, s16, -1
	v_mad_u64_u32 v[6:7], s[18:19], v5, s21, v[2:3]
	v_mad_u64_u32 v[0:1], s[18:19], v5, s20, v[0:1]
	s_cmp_lg_u32 s16, 0
	v_mov_b32_e32 v1, v6
	s_cbranch_scc1 .LBB16_284
; %bb.285:
	v_mov_b32_e32 v2, v1
.LBB16_286:
	s_cbranch_execnz .LBB16_289
.LBB16_287:
	v_mul_hi_u32 v0, s37, v8
	v_add_u32_e32 v0, v8, v0
	v_lshrrev_b32_e32 v1, s38, v0
	v_mul_lo_u32 v0, v1, s36
	v_sub_u32_e32 v0, v8, v0
	v_mul_lo_u32 v2, v0, s41
	s_andn2_b64 vcc, exec, s[50:51]
	v_mul_lo_u32 v0, v0, s40
	s_cbranch_vccnz .LBB16_289
; %bb.288:
	v_mul_hi_u32 v3, s48, v1
	v_add_u32_e32 v3, v1, v3
	v_lshrrev_b32_e32 v3, s49, v3
	v_mul_lo_u32 v3, v3, s39
	v_sub_u32_e32 v3, v1, v3
	v_mad_u64_u32 v[0:1], s[0:1], v3, s42, v[0:1]
	v_mad_u64_u32 v[2:3], s[0:1], v3, s43, v[2:3]
.LBB16_289:
	v_mov_b32_e32 v1, s11
	v_add_co_u32_e32 v2, vcc, s10, v2
	v_addc_co_u32_e32 v3, vcc, 0, v1, vcc
	v_cmp_gt_i16_e32 vcc, 11, v4
	s_cbranch_vccnz .LBB16_296
; %bb.290:
	v_cmp_lt_i16_e32 vcc, 25, v4
	s_cbranch_vccz .LBB16_307
; %bb.291:
	v_cmp_lt_i16_e32 vcc, 28, v4
	s_cbranch_vccz .LBB16_309
	;; [unrolled: 3-line block ×4, first 2 shown]
; %bb.294:
	v_cmp_eq_u16_e32 vcc, 46, v4
	s_mov_b64 s[16:17], 0
	s_cbranch_vccz .LBB16_319
; %bb.295:
	global_load_dword v1, v[2:3], off
	s_mov_b64 s[0:1], -1
	s_mov_b64 s[2:3], 0
	s_waitcnt vmcnt(0)
	v_lshlrev_b32_e32 v5, 16, v1
	s_branch .LBB16_320
.LBB16_296:
	s_mov_b64 s[0:1], 0
                                        ; implicit-def: $vgpr5
	s_mov_b64 s[2:3], s[58:59]
	s_cbranch_execnz .LBB16_497
.LBB16_297:
	s_andn2_b64 vcc, exec, s[0:1]
	s_cbranch_vccnz .LBB16_545
.LBB16_298:
	s_mov_b32 s0, 0x7f800000
	s_waitcnt vmcnt(0)
	v_cmp_nlg_f32_e64 s[16:17], |v5|, s0
	s_and_saveexec_b64 s[0:1], s[16:17]
	s_cbranch_execz .LBB16_300
; %bb.299:
	v_mov_b32_e32 v1, 0
	v_mov_b32_e32 v2, 1.0
	global_store_dword v1, v2, s[12:13]
.LBB16_300:
	s_or_b64 exec, exec, s[0:1]
	v_mov_b32_e32 v1, 0
	global_load_dword v2, v1, s[14:15]
	v_mov_b32_e32 v1, s9
	v_mov_b32_e32 v3, 11
	v_add_co_u32_e32 v0, vcc, s8, v0
	v_addc_co_u32_e32 v1, vcc, 0, v1, vcc
	v_cmp_lt_i16_sdwa s[0:1], s79, v3 src0_sel:BYTE_0 src1_sel:DWORD
	s_and_b64 vcc, exec, s[0:1]
	s_waitcnt vmcnt(0)
	v_mul_f32_e32 v3, v5, v2
	v_cmp_eq_f32_e64 s[0:1], 1.0, v2
	v_cndmask_b32_e64 v2, v3, v5, s[0:1]
	s_cbranch_vccnz .LBB16_308
; %bb.301:
	v_mov_b32_e32 v3, 25
	v_cmp_gt_i16_sdwa s[0:1], s79, v3 src0_sel:BYTE_0 src1_sel:DWORD
	s_and_b64 vcc, exec, s[0:1]
	s_cbranch_vccz .LBB16_310
; %bb.302:
	v_mov_b32_e32 v3, 28
	v_cmp_gt_i16_sdwa s[0:1], s79, v3 src0_sel:BYTE_0 src1_sel:DWORD
	s_and_b64 vcc, exec, s[0:1]
	s_cbranch_vccz .LBB16_312
	;; [unrolled: 5-line block ×4, first 2 shown]
; %bb.305:
	v_mov_b32_e32 v3, 46
	v_cmp_eq_u16_sdwa s[16:17], s79, v3 src0_sel:BYTE_0 src1_sel:DWORD
	s_mov_b64 s[18:19], 0
	s_mov_b64 s[0:1], -1
	s_and_b64 vcc, exec, s[16:17]
	s_mov_b64 s[16:17], 0
	s_cbranch_vccz .LBB16_324
; %bb.306:
	v_bfe_u32 v3, v2, 16, 1
	s_movk_i32 s0, 0x7fff
	v_add3_u32 v3, v2, v3, s0
	v_lshrrev_b32_e32 v3, 16, v3
	v_mov_b32_e32 v5, 0x7fc0
	v_cmp_o_f32_e32 vcc, v2, v2
	v_cndmask_b32_e32 v3, v5, v3, vcc
	global_store_dword v[0:1], v3, off
	s_mov_b64 s[16:17], -1
	s_mov_b64 s[0:1], 0
	s_branch .LBB16_324
.LBB16_307:
	s_mov_b64 s[16:17], -1
	s_mov_b64 s[0:1], 0
	s_mov_b64 s[2:3], s[58:59]
                                        ; implicit-def: $vgpr5
	s_branch .LBB16_461
.LBB16_308:
	s_mov_b64 s[18:19], -1
	s_mov_b64 s[16:17], 0
	s_mov_b64 s[0:1], s[56:57]
	s_branch .LBB16_393
.LBB16_309:
	s_mov_b64 s[16:17], -1
	s_mov_b64 s[0:1], 0
	s_mov_b64 s[2:3], s[58:59]
                                        ; implicit-def: $vgpr5
	s_branch .LBB16_442
.LBB16_310:
	s_mov_b64 s[18:19], -1
	s_mov_b64 s[16:17], 0
	s_mov_b64 s[0:1], s[56:57]
	s_branch .LBB16_351
.LBB16_311:
	s_mov_b64 s[16:17], -1
	s_mov_b64 s[0:1], 0
	s_mov_b64 s[2:3], s[58:59]
                                        ; implicit-def: $vgpr5
	s_branch .LBB16_437
.LBB16_312:
	s_mov_b64 s[18:19], -1
	s_mov_b64 s[16:17], 0
	s_mov_b64 s[0:1], s[56:57]
	s_branch .LBB16_334
.LBB16_313:
	s_or_saveexec_b64 s[20:21], s[20:21]
                                        ; implicit-def: $sgpr22
	s_xor_b64 exec, exec, s[20:21]
	s_cbranch_execz .LBB16_71
.LBB16_314:
	s_mov_b32 s22, 0x46000000
	v_add_f32_e64 v3, |v2|, s22
	v_and_b32_e32 v3, 0xff, v3
	v_cmp_ne_u32_e32 vcc, 0, v3
	s_andn2_b64 s[18:19], s[18:19], exec
	s_and_b64 s[24:25], vcc, exec
	s_mov_b32 s22, 0
	s_or_b64 s[18:19], s[18:19], s[24:25]
	s_or_b64 exec, exec, s[20:21]
	v_mov_b32_e32 v5, s22
	s_and_saveexec_b64 s[20:21], s[18:19]
	s_cbranch_execnz .LBB16_72
	s_branch .LBB16_73
.LBB16_315:
	s_mov_b64 s[16:17], -1
	s_mov_b64 s[0:1], 0
	s_mov_b64 s[2:3], s[58:59]
                                        ; implicit-def: $vgpr5
	s_branch .LBB16_320
.LBB16_316:
	s_mov_b64 s[18:19], -1
	s_mov_b64 s[16:17], 0
	s_mov_b64 s[0:1], s[56:57]
	s_branch .LBB16_330
.LBB16_317:
	s_or_saveexec_b64 s[20:21], s[20:21]
                                        ; implicit-def: $sgpr22
	s_xor_b64 exec, exec, s[20:21]
	s_cbranch_execz .LBB16_84
.LBB16_318:
	s_mov_b32 s22, 0x42800000
	v_add_f32_e64 v3, |v2|, s22
	v_and_b32_e32 v3, 0xff, v3
	v_cmp_ne_u32_e32 vcc, 0, v3
	s_andn2_b64 s[18:19], s[18:19], exec
	s_and_b64 s[24:25], vcc, exec
	s_mov_b32 s22, 0
	s_or_b64 s[18:19], s[18:19], s[24:25]
	s_or_b64 exec, exec, s[20:21]
	v_mov_b32_e32 v5, s22
	s_and_saveexec_b64 s[20:21], s[18:19]
	s_cbranch_execnz .LBB16_85
	s_branch .LBB16_86
.LBB16_319:
	s_mov_b64 s[2:3], -1
                                        ; implicit-def: $vgpr5
	s_mov_b64 s[0:1], 0
.LBB16_320:
	s_and_b64 vcc, exec, s[16:17]
	s_cbranch_vccz .LBB16_436
; %bb.321:
	v_cmp_eq_u16_e32 vcc, 44, v4
	s_cbranch_vccz .LBB16_435
; %bb.322:
	global_load_ubyte v1, v[2:3], off
	s_movk_i32 s2, 0xff
	s_waitcnt vmcnt(1)
	v_mov_b32_e32 v5, 0x7f800001
	v_mov_b32_e32 v6, 0x400000
	s_mov_b64 s[0:1], -1
	s_waitcnt vmcnt(0)
	v_lshlrev_b32_e32 v7, 23, v1
	v_cmp_ne_u32_e32 vcc, s2, v1
	v_cndmask_b32_e32 v5, v5, v7, vcc
	v_cmp_ne_u32_e32 vcc, 0, v1
	v_cndmask_b32_e32 v5, v6, v5, vcc
	s_mov_b64 s[2:3], 0
	s_branch .LBB16_436
.LBB16_323:
	s_mov_b64 s[18:19], -1
	s_mov_b64 s[16:17], 0
	s_mov_b64 s[0:1], s[56:57]
.LBB16_324:
	s_and_b64 vcc, exec, s[18:19]
	s_cbranch_vccz .LBB16_329
; %bb.325:
	v_mov_b32_e32 v3, 44
	v_cmp_eq_u16_sdwa s[18:19], s79, v3 src0_sel:BYTE_0 src1_sel:DWORD
	s_mov_b64 s[0:1], -1
	s_and_b64 vcc, exec, s[18:19]
	s_cbranch_vccz .LBB16_329
; %bb.326:
	v_bfe_u32 v3, v2, 23, 8
	s_movk_i32 s0, 0xff
	v_cmp_ne_u32_e32 vcc, s0, v3
	v_mov_b32_e32 v5, 0xff
	s_and_saveexec_b64 s[16:17], vcc
; %bb.327:
	s_mov_b32 s0, 0x3fffff
	v_and_b32_e32 v6, 0x400000, v2
	v_and_or_b32 v3, v2, s0, v3
	v_cmp_ne_u32_e32 vcc, 0, v6
	v_cmp_ne_u32_e64 s[0:1], 0, v3
	s_and_b64 s[0:1], vcc, s[0:1]
	v_lshrrev_b32_e32 v5, 23, v2
	v_cndmask_b32_e64 v3, 0, 1, s[0:1]
	v_add_u32_e32 v5, v5, v3
; %bb.328:
	s_or_b64 exec, exec, s[16:17]
	s_mov_b64 s[16:17], -1
	s_mov_b64 s[0:1], 0
	global_store_byte v[0:1], v5, off
.LBB16_329:
	s_mov_b64 s[18:19], 0
.LBB16_330:
	s_and_b64 vcc, exec, s[18:19]
	s_cbranch_vccz .LBB16_333
; %bb.331:
	v_mov_b32_e32 v3, 29
	v_cmp_eq_u16_sdwa s[18:19], s79, v3 src0_sel:BYTE_0 src1_sel:DWORD
	s_mov_b64 s[0:1], -1
	s_and_b64 vcc, exec, s[18:19]
	s_cbranch_vccz .LBB16_333
; %bb.332:
	v_trunc_f32_e32 v3, v2
	v_mul_f32_e32 v5, 0x2f800000, v3
	v_floor_f32_e32 v5, v5
	v_fmac_f32_e32 v3, 0xcf800000, v5
	v_cvt_u32_f32_e32 v7, v5
	v_cvt_u32_f32_e32 v6, v3
	s_mov_b64 s[16:17], -1
	s_mov_b64 s[0:1], 0
	s_mov_b64 s[18:19], 0
	global_store_dwordx2 v[0:1], v[6:7], off
	s_branch .LBB16_334
.LBB16_333:
	s_mov_b64 s[18:19], 0
.LBB16_334:
	s_and_b64 vcc, exec, s[18:19]
	s_cbranch_vccz .LBB16_350
; %bb.335:
	v_mov_b32_e32 v3, 27
	v_cmp_lt_i16_sdwa s[18:19], s79, v3 src0_sel:BYTE_0 src1_sel:DWORD
	s_mov_b64 s[16:17], -1
	s_and_b64 vcc, exec, s[18:19]
	s_cbranch_vccnz .LBB16_341
; %bb.336:
	v_cmp_gt_i16_sdwa s[18:19], s79, v3 src0_sel:BYTE_0 src1_sel:DWORD
	v_cvt_u32_f32_e32 v3, v2
	s_and_b64 vcc, exec, s[18:19]
	s_cbranch_vccz .LBB16_338
; %bb.337:
	s_mov_b64 s[16:17], 0
	global_store_dword v[0:1], v3, off
.LBB16_338:
	s_andn2_b64 vcc, exec, s[16:17]
	s_cbranch_vccnz .LBB16_340
; %bb.339:
	global_store_short v[0:1], v3, off
.LBB16_340:
	s_mov_b64 s[16:17], 0
.LBB16_341:
	s_andn2_b64 vcc, exec, s[16:17]
	s_cbranch_vccnz .LBB16_349
; %bb.342:
	v_and_b32_e32 v3, 0x7fffffff, v2
	s_mov_b32 s16, 0x43800000
	v_cmp_gt_u32_e32 vcc, s16, v3
	v_mov_b32_e32 v5, 0x80
	s_and_saveexec_b64 s[16:17], vcc
	s_cbranch_execz .LBB16_348
; %bb.343:
	s_mov_b32 s18, 0x3bffffff
	v_cmp_lt_u32_e32 vcc, s18, v3
	s_mov_b64 s[18:19], 0
                                        ; implicit-def: $vgpr3
	s_and_saveexec_b64 s[20:21], vcc
	s_xor_b64 s[20:21], exec, s[20:21]
	s_cbranch_execz .LBB16_577
; %bb.344:
	v_bfe_u32 v3, v2, 20, 1
	s_mov_b32 s22, 0x487ffff
	v_add3_u32 v3, v2, v3, s22
	s_mov_b64 s[18:19], exec
	v_lshrrev_b32_e32 v3, 20, v3
	s_or_saveexec_b64 s[20:21], s[20:21]
                                        ; implicit-def: $sgpr22
	s_xor_b64 exec, exec, s[20:21]
	s_cbranch_execnz .LBB16_578
.LBB16_345:
	s_or_b64 exec, exec, s[20:21]
	v_mov_b32_e32 v5, s22
	s_and_saveexec_b64 s[20:21], s[18:19]
.LBB16_346:
	v_lshrrev_b32_e32 v5, 24, v2
	s_movk_i32 s18, 0x80
	v_and_or_b32 v5, v5, s18, v3
.LBB16_347:
	s_or_b64 exec, exec, s[20:21]
.LBB16_348:
	s_or_b64 exec, exec, s[16:17]
	global_store_byte v[0:1], v5, off
.LBB16_349:
	s_mov_b64 s[16:17], -1
.LBB16_350:
	s_mov_b64 s[18:19], 0
.LBB16_351:
	s_and_b64 vcc, exec, s[18:19]
	s_cbranch_vccz .LBB16_392
; %bb.352:
	v_mov_b32_e32 v3, 22
	v_cmp_gt_i16_sdwa s[20:21], s79, v3 src0_sel:BYTE_0 src1_sel:DWORD
	s_mov_b64 s[18:19], -1
	s_and_b64 vcc, exec, s[20:21]
	s_cbranch_vccz .LBB16_384
; %bb.353:
	v_mov_b32_e32 v3, 24
	v_cmp_lt_i16_sdwa s[18:19], s79, v3 src0_sel:BYTE_0 src1_sel:DWORD
	s_mov_b64 s[16:17], -1
	s_and_b64 vcc, exec, s[18:19]
	s_cbranch_vccnz .LBB16_373
; %bb.354:
	v_cmp_gt_i16_sdwa s[18:19], s79, v3 src0_sel:BYTE_0 src1_sel:DWORD
	s_and_b64 vcc, exec, s[18:19]
	s_cbranch_vccz .LBB16_362
; %bb.355:
	v_and_b32_e32 v3, 0x7fffffff, v2
	s_mov_b32 s16, 0x47800000
	v_cmp_gt_u32_e32 vcc, s16, v3
	v_mov_b32_e32 v5, 0x80
	s_and_saveexec_b64 s[16:17], vcc
	s_cbranch_execz .LBB16_361
; %bb.356:
	s_mov_b32 s18, 0x37ffffff
	v_cmp_lt_u32_e32 vcc, s18, v3
	s_mov_b64 s[18:19], 0
                                        ; implicit-def: $vgpr3
	s_and_saveexec_b64 s[20:21], vcc
	s_xor_b64 s[20:21], exec, s[20:21]
	s_cbranch_execz .LBB16_580
; %bb.357:
	v_bfe_u32 v3, v2, 21, 1
	s_mov_b32 s22, 0x88fffff
	v_add3_u32 v3, v2, v3, s22
	s_mov_b64 s[18:19], exec
	v_lshrrev_b32_e32 v3, 21, v3
	s_or_saveexec_b64 s[20:21], s[20:21]
                                        ; implicit-def: $sgpr22
	s_xor_b64 exec, exec, s[20:21]
	s_cbranch_execnz .LBB16_581
.LBB16_358:
	s_or_b64 exec, exec, s[20:21]
	v_mov_b32_e32 v5, s22
	s_and_saveexec_b64 s[20:21], s[18:19]
.LBB16_359:
	v_lshrrev_b32_e32 v5, 24, v2
	s_movk_i32 s18, 0x80
	v_and_or_b32 v5, v5, s18, v3
.LBB16_360:
	s_or_b64 exec, exec, s[20:21]
.LBB16_361:
	s_or_b64 exec, exec, s[16:17]
	s_mov_b64 s[16:17], 0
	global_store_byte v[0:1], v5, off
.LBB16_362:
	s_and_b64 vcc, exec, s[16:17]
	s_cbranch_vccz .LBB16_372
; %bb.363:
	v_and_b32_e32 v5, 0x7fffffff, v2
	s_mov_b32 s16, 0x43f00000
	v_cmp_gt_u32_e32 vcc, s16, v5
                                        ; implicit-def: $vgpr3
	s_and_saveexec_b64 s[16:17], vcc
	s_xor_b64 s[16:17], exec, s[16:17]
	s_cbranch_execz .LBB16_369
; %bb.364:
	s_mov_b32 s18, 0x3c7fffff
	v_cmp_lt_u32_e32 vcc, s18, v5
                                        ; implicit-def: $vgpr3
	s_and_saveexec_b64 s[18:19], vcc
	s_xor_b64 s[18:19], exec, s[18:19]
; %bb.365:
	v_bfe_u32 v3, v2, 20, 1
	s_mov_b32 s20, 0x407ffff
	v_add3_u32 v3, v2, v3, s20
	v_lshrrev_b32_e32 v5, 20, v3
	v_and_b32_e32 v3, 0xff00000, v3
	s_mov_b32 s20, 0x7f00000
	v_mov_b32_e32 v6, 0x7e
	v_cmp_ne_u32_e32 vcc, s20, v3
	v_cndmask_b32_e32 v3, v6, v5, vcc
; %bb.366:
	s_andn2_saveexec_b64 s[18:19], s[18:19]
; %bb.367:
	s_mov_b32 s20, 0x46800000
	v_add_f32_e64 v3, |v2|, s20
; %bb.368:
	s_or_b64 exec, exec, s[18:19]
                                        ; implicit-def: $vgpr5
.LBB16_369:
	s_andn2_saveexec_b64 s[16:17], s[16:17]
; %bb.370:
	s_mov_b32 s18, 0x7f800000
	v_mov_b32_e32 v3, 0x7e
	v_mov_b32_e32 v6, 0x7f
	v_cmp_lt_u32_e32 vcc, s18, v5
	v_cndmask_b32_e32 v3, v3, v6, vcc
; %bb.371:
	s_or_b64 exec, exec, s[16:17]
	v_lshrrev_b32_e32 v5, 24, v2
	s_movk_i32 s16, 0x80
	v_and_or_b32 v3, v5, s16, v3
	global_store_byte v[0:1], v3, off
.LBB16_372:
	s_mov_b64 s[16:17], 0
.LBB16_373:
	s_andn2_b64 vcc, exec, s[16:17]
	s_cbranch_vccnz .LBB16_383
; %bb.374:
	v_and_b32_e32 v5, 0x7fffffff, v2
	s_mov_b32 s16, 0x47800000
	v_cmp_gt_u32_e32 vcc, s16, v5
                                        ; implicit-def: $vgpr3
	s_and_saveexec_b64 s[16:17], vcc
	s_xor_b64 s[16:17], exec, s[16:17]
	s_cbranch_execz .LBB16_380
; %bb.375:
	s_mov_b32 s18, 0x387fffff
	v_cmp_lt_u32_e32 vcc, s18, v5
                                        ; implicit-def: $vgpr3
	s_and_saveexec_b64 s[18:19], vcc
	s_xor_b64 s[18:19], exec, s[18:19]
; %bb.376:
	v_bfe_u32 v3, v2, 21, 1
	s_mov_b32 s20, 0x80fffff
	v_add3_u32 v3, v2, v3, s20
	v_lshrrev_b32_e32 v3, 21, v3
; %bb.377:
	s_andn2_saveexec_b64 s[18:19], s[18:19]
; %bb.378:
	s_mov_b32 s20, 0x43000000
	v_add_f32_e64 v3, |v2|, s20
; %bb.379:
	s_or_b64 exec, exec, s[18:19]
                                        ; implicit-def: $vgpr5
.LBB16_380:
	s_andn2_saveexec_b64 s[16:17], s[16:17]
; %bb.381:
	s_mov_b32 s18, 0x7f800000
	v_mov_b32_e32 v3, 0x7c
	v_mov_b32_e32 v6, 0x7f
	v_cmp_lt_u32_e32 vcc, s18, v5
	v_cndmask_b32_e32 v3, v3, v6, vcc
; %bb.382:
	s_or_b64 exec, exec, s[16:17]
	v_lshrrev_b32_e32 v5, 24, v2
	s_movk_i32 s16, 0x80
	v_and_or_b32 v3, v5, s16, v3
	global_store_byte v[0:1], v3, off
.LBB16_383:
	s_mov_b64 s[18:19], 0
	s_mov_b64 s[16:17], -1
.LBB16_384:
	s_andn2_b64 vcc, exec, s[18:19]
	s_cbranch_vccnz .LBB16_392
; %bb.385:
	v_mov_b32_e32 v3, 14
	v_cmp_gt_i16_sdwa s[20:21], s79, v3 src0_sel:BYTE_0 src1_sel:DWORD
	s_mov_b64 s[18:19], -1
	s_and_b64 vcc, exec, s[20:21]
	s_cbranch_vccz .LBB16_389
; %bb.386:
	v_mov_b32_e32 v3, 15
	v_cmp_eq_u16_sdwa s[18:19], s79, v3 src0_sel:BYTE_0 src1_sel:DWORD
	s_mov_b64 s[0:1], -1
	s_and_b64 vcc, exec, s[18:19]
	s_cbranch_vccz .LBB16_388
; %bb.387:
	v_bfe_u32 v3, v2, 16, 1
	s_movk_i32 s0, 0x7fff
	v_add3_u32 v3, v2, v3, s0
	v_lshrrev_b32_e32 v3, 16, v3
	v_mov_b32_e32 v5, 0x7fc0
	v_cmp_o_f32_e32 vcc, v2, v2
	v_cndmask_b32_e32 v3, v5, v3, vcc
	global_store_short v[0:1], v3, off
	s_mov_b64 s[16:17], -1
	s_mov_b64 s[0:1], 0
.LBB16_388:
	s_mov_b64 s[18:19], 0
.LBB16_389:
	s_and_b64 vcc, exec, s[18:19]
	s_cbranch_vccz .LBB16_392
; %bb.390:
	v_mov_b32_e32 v3, 11
	v_cmp_eq_u16_sdwa s[18:19], s79, v3 src0_sel:BYTE_0 src1_sel:DWORD
	s_mov_b64 s[0:1], -1
	s_and_b64 vcc, exec, s[18:19]
	s_cbranch_vccz .LBB16_392
; %bb.391:
	v_cmp_neq_f32_e32 vcc, 0, v2
	v_cndmask_b32_e64 v3, 0, 1, vcc
	s_mov_b64 s[16:17], -1
	s_mov_b64 s[0:1], 0
	global_store_byte v[0:1], v3, off
.LBB16_392:
	s_mov_b64 s[18:19], 0
.LBB16_393:
	s_and_b64 vcc, exec, s[18:19]
	s_cbranch_vccz .LBB16_432
; %bb.394:
	v_mov_b32_e32 v3, 5
	v_cmp_lt_i16_sdwa s[18:19], s79, v3 src0_sel:BYTE_0 src1_sel:DWORD
	s_mov_b64 s[16:17], -1
	s_and_b64 vcc, exec, s[18:19]
	s_cbranch_vccnz .LBB16_415
; %bb.395:
	v_mov_b32_e32 v3, 8
	v_cmp_lt_i16_sdwa s[18:19], s79, v3 src0_sel:BYTE_0 src1_sel:DWORD
	s_and_b64 vcc, exec, s[18:19]
	s_cbranch_vccnz .LBB16_405
; %bb.396:
	v_mov_b32_e32 v3, 9
	v_cmp_lt_i16_sdwa s[18:19], s79, v3 src0_sel:BYTE_0 src1_sel:DWORD
	s_and_b64 vcc, exec, s[18:19]
	s_cbranch_vccnz .LBB16_402
; %bb.397:
	v_cmp_gt_i16_sdwa s[18:19], s79, v3 src0_sel:BYTE_0 src1_sel:DWORD
	s_and_b64 vcc, exec, s[18:19]
	s_cbranch_vccz .LBB16_399
; %bb.398:
	v_mov_b32_e32 v12, 0
	v_cvt_f64_f32_e32 v[10:11], v2
	v_mov_b32_e32 v13, v12
	s_mov_b64 s[16:17], 0
	global_store_dwordx4 v[0:1], v[10:13], off
.LBB16_399:
	s_andn2_b64 vcc, exec, s[16:17]
	s_cbranch_vccnz .LBB16_401
; %bb.400:
	v_mov_b32_e32 v3, 0
	global_store_dwordx2 v[0:1], v[2:3], off
.LBB16_401:
	s_mov_b64 s[16:17], 0
.LBB16_402:
	s_andn2_b64 vcc, exec, s[16:17]
	s_cbranch_vccnz .LBB16_404
; %bb.403:
	v_cvt_f16_f32_e32 v3, v2
	global_store_dword v[0:1], v3, off
.LBB16_404:
	s_mov_b64 s[16:17], 0
.LBB16_405:
	s_andn2_b64 vcc, exec, s[16:17]
	s_cbranch_vccnz .LBB16_414
; %bb.406:
	v_mov_b32_e32 v3, 6
	v_cmp_lt_i16_sdwa s[18:19], s79, v3 src0_sel:BYTE_0 src1_sel:DWORD
	s_mov_b64 s[16:17], -1
	s_and_b64 vcc, exec, s[18:19]
	s_cbranch_vccnz .LBB16_412
; %bb.407:
	v_cmp_gt_i16_sdwa s[18:19], s79, v3 src0_sel:BYTE_0 src1_sel:DWORD
	s_and_b64 vcc, exec, s[18:19]
	s_cbranch_vccz .LBB16_409
; %bb.408:
	v_cvt_f64_f32_e32 v[6:7], v2
	s_mov_b64 s[16:17], 0
	global_store_dwordx2 v[0:1], v[6:7], off
.LBB16_409:
	s_andn2_b64 vcc, exec, s[16:17]
	s_cbranch_vccnz .LBB16_411
; %bb.410:
	global_store_dword v[0:1], v2, off
.LBB16_411:
	s_mov_b64 s[16:17], 0
.LBB16_412:
	s_andn2_b64 vcc, exec, s[16:17]
	s_cbranch_vccnz .LBB16_414
; %bb.413:
	v_cvt_f16_f32_e32 v3, v2
	global_store_short v[0:1], v3, off
.LBB16_414:
	s_mov_b64 s[16:17], 0
.LBB16_415:
	s_andn2_b64 vcc, exec, s[16:17]
	s_cbranch_vccnz .LBB16_431
; %bb.416:
	v_mov_b32_e32 v3, 2
	v_cmp_lt_i16_sdwa s[18:19], s79, v3 src0_sel:BYTE_0 src1_sel:DWORD
	s_mov_b64 s[16:17], -1
	s_and_b64 vcc, exec, s[18:19]
	s_cbranch_vccnz .LBB16_426
; %bb.417:
	v_mov_b32_e32 v3, 3
	v_cmp_lt_i16_sdwa s[18:19], s79, v3 src0_sel:BYTE_0 src1_sel:DWORD
	s_and_b64 vcc, exec, s[18:19]
	s_cbranch_vccnz .LBB16_423
; %bb.418:
	v_cmp_gt_i16_sdwa s[18:19], s79, v3 src0_sel:BYTE_0 src1_sel:DWORD
	s_and_b64 vcc, exec, s[18:19]
	s_cbranch_vccz .LBB16_420
; %bb.419:
	v_trunc_f32_e32 v3, v2
	s_mov_b32 s16, 0x2f800000
	v_mul_f32_e64 v5, |v3|, s16
	v_floor_f32_e32 v5, v5
	s_mov_b32 s16, 0xcf800000
	v_cvt_u32_f32_e32 v6, v5
	v_fma_f32 v5, v5, s16, |v3|
	v_cvt_u32_f32_e32 v5, v5
	v_ashrrev_i32_e32 v3, 31, v3
	v_xor_b32_e32 v7, v6, v3
	s_mov_b64 s[16:17], 0
	v_xor_b32_e32 v5, v5, v3
	v_sub_co_u32_e32 v6, vcc, v5, v3
	v_subb_co_u32_e32 v7, vcc, v7, v3, vcc
	global_store_dwordx2 v[0:1], v[6:7], off
.LBB16_420:
	s_andn2_b64 vcc, exec, s[16:17]
	s_cbranch_vccnz .LBB16_422
; %bb.421:
	v_cvt_i32_f32_e32 v3, v2
	global_store_dword v[0:1], v3, off
.LBB16_422:
	s_mov_b64 s[16:17], 0
.LBB16_423:
	s_andn2_b64 vcc, exec, s[16:17]
	s_cbranch_vccnz .LBB16_425
; %bb.424:
	v_cvt_i32_f32_e32 v3, v2
	global_store_short v[0:1], v3, off
.LBB16_425:
	s_mov_b64 s[16:17], 0
.LBB16_426:
	s_andn2_b64 vcc, exec, s[16:17]
	s_cbranch_vccnz .LBB16_431
; %bb.427:
	v_mov_b32_e32 v3, 0
	v_cmp_gt_i16_sdwa s[18:19], s79, v3 src0_sel:BYTE_0 src1_sel:DWORD
	s_mov_b64 s[16:17], -1
	s_and_b64 vcc, exec, s[18:19]
	s_cbranch_vccz .LBB16_429
; %bb.428:
	v_cvt_i32_f32_e32 v3, v2
	s_mov_b64 s[16:17], 0
	global_store_byte v[0:1], v3, off
.LBB16_429:
	s_andn2_b64 vcc, exec, s[16:17]
	s_cbranch_vccnz .LBB16_431
; %bb.430:
	v_trunc_f32_e32 v2, v2
	s_mov_b32 s16, 0x2f800000
	v_mul_f32_e64 v3, |v2|, s16
	v_floor_f32_e32 v3, v3
	s_mov_b32 s16, 0xcf800000
	v_fma_f32 v3, v3, s16, |v2|
	v_cvt_u32_f32_e32 v3, v3
	v_ashrrev_i32_e32 v2, 31, v2
	v_xor_b32_e32 v3, v3, v2
	v_sub_u32_e32 v2, v3, v2
	global_store_byte v[0:1], v2, off
.LBB16_431:
	s_mov_b64 s[16:17], -1
.LBB16_432:
	s_andn2_b64 vcc, exec, s[16:17]
	s_cbranch_vccnz .LBB16_434
; %bb.433:
	v_add_u32_e32 v8, 0x80, v8
	s_mov_b64 s[16:17], -1
	s_branch .LBB16_547
.LBB16_434:
	s_mov_b64 s[16:17], 0
	s_branch .LBB16_546
.LBB16_435:
	s_mov_b64 s[2:3], -1
                                        ; implicit-def: $vgpr5
.LBB16_436:
	s_mov_b64 s[16:17], 0
.LBB16_437:
	s_and_b64 vcc, exec, s[16:17]
	s_cbranch_vccz .LBB16_441
; %bb.438:
	v_cmp_eq_u16_e32 vcc, 29, v4
	s_cbranch_vccz .LBB16_440
; %bb.439:
	global_load_dwordx2 v[6:7], v[2:3], off
	s_mov_b64 s[0:1], -1
	s_mov_b64 s[2:3], 0
	s_mov_b64 s[16:17], 0
	s_waitcnt vmcnt(0)
	v_ffbh_u32_e32 v1, v7
	v_min_u32_e32 v1, 32, v1
	v_lshlrev_b64 v[6:7], v1, v[6:7]
	v_min_u32_e32 v5, 1, v6
	v_or_b32_e32 v5, v7, v5
	v_cvt_f32_u32_e32 v5, v5
	v_sub_u32_e32 v1, 32, v1
	v_ldexp_f32 v5, v5, v1
	s_branch .LBB16_442
.LBB16_440:
	s_mov_b64 s[2:3], -1
                                        ; implicit-def: $vgpr5
.LBB16_441:
	s_mov_b64 s[16:17], 0
.LBB16_442:
	s_and_b64 vcc, exec, s[16:17]
	s_cbranch_vccz .LBB16_460
; %bb.443:
	v_cmp_gt_i16_e32 vcc, 27, v4
	s_cbranch_vccnz .LBB16_446
; %bb.444:
	v_cmp_lt_i16_e32 vcc, 27, v4
	s_cbranch_vccz .LBB16_447
; %bb.445:
	global_load_dword v1, v[2:3], off
	s_mov_b64 s[0:1], 0
	s_waitcnt vmcnt(0)
	v_cvt_f32_u32_e32 v5, v1
	s_branch .LBB16_448
.LBB16_446:
	s_mov_b64 s[0:1], -1
                                        ; implicit-def: $vgpr5
	s_branch .LBB16_451
.LBB16_447:
	s_mov_b64 s[0:1], -1
                                        ; implicit-def: $vgpr5
.LBB16_448:
	s_andn2_b64 vcc, exec, s[0:1]
	s_cbranch_vccnz .LBB16_450
; %bb.449:
	global_load_ushort v1, v[2:3], off
	s_waitcnt vmcnt(0)
	v_cvt_f32_u32_e32 v5, v1
.LBB16_450:
	s_mov_b64 s[0:1], 0
.LBB16_451:
	s_andn2_b64 vcc, exec, s[0:1]
	s_cbranch_vccnz .LBB16_459
; %bb.452:
	global_load_ubyte v1, v[2:3], off
	s_movk_i32 s0, 0x7f
                                        ; implicit-def: $sgpr20
	s_waitcnt vmcnt(0)
	v_cmp_lt_i16_e32 vcc, s0, v1
	s_mov_b64 s[0:1], 0
	s_and_saveexec_b64 s[16:17], vcc
	s_xor_b64 s[16:17], exec, s[16:17]
	s_cbranch_execz .LBB16_473
; %bb.453:
	s_movk_i32 s0, 0x80
	v_cmp_eq_u16_e32 vcc, s0, v1
	s_mov_b64 s[0:1], -1
                                        ; implicit-def: $sgpr20
	s_and_saveexec_b64 s[18:19], vcc
; %bb.454:
	s_mov_b32 s20, 0x7f800001
	s_xor_b64 s[0:1], exec, -1
; %bb.455:
	s_or_b64 exec, exec, s[18:19]
	s_and_b64 s[0:1], s[0:1], exec
	s_or_saveexec_b64 s[16:17], s[16:17]
	v_mov_b32_e32 v5, s20
	s_xor_b64 exec, exec, s[16:17]
	s_cbranch_execnz .LBB16_474
.LBB16_456:
	s_or_b64 exec, exec, s[16:17]
	s_and_saveexec_b64 s[16:17], s[0:1]
	s_cbranch_execz .LBB16_458
.LBB16_457:
	v_lshlrev_b32_e32 v5, 24, v1
	v_and_b32_e32 v1, 0xffff, v1
	v_and_b32_e32 v6, 7, v1
	v_ffbh_u32_e32 v9, v6
	v_min_u32_e32 v9, 32, v9
	v_subrev_u32_e32 v10, 28, v9
	v_bfe_u32 v7, v1, 3, 4
	v_lshlrev_b32_e32 v1, v10, v1
	v_sub_u32_e32 v9, 29, v9
	v_and_b32_e32 v1, 7, v1
	v_cmp_eq_u32_e32 vcc, 0, v7
	v_cndmask_b32_e32 v7, v7, v9, vcc
	v_cndmask_b32_e32 v1, v6, v1, vcc
	v_mov_b32_e32 v6, 0x3b800000
	v_lshlrev_b32_e32 v1, 20, v1
	v_and_b32_e32 v5, 0x80000000, v5
	v_lshl_add_u32 v6, v7, 23, v6
	v_or3_b32 v5, v5, v6, v1
.LBB16_458:
	s_or_b64 exec, exec, s[16:17]
.LBB16_459:
	s_mov_b64 s[0:1], -1
.LBB16_460:
	s_mov_b64 s[16:17], 0
.LBB16_461:
	s_and_b64 vcc, exec, s[16:17]
	s_cbranch_vccz .LBB16_496
; %bb.462:
	v_cmp_lt_i16_e32 vcc, 22, v4
	s_cbranch_vccz .LBB16_472
; %bb.463:
	v_cmp_gt_i16_e32 vcc, 24, v4
	s_cbranch_vccnz .LBB16_475
; %bb.464:
	v_cmp_lt_i16_e32 vcc, 24, v4
	s_cbranch_vccz .LBB16_476
; %bb.465:
	global_load_ubyte v1, v[2:3], off
	s_movk_i32 s0, 0x7f
                                        ; implicit-def: $sgpr20
	s_waitcnt vmcnt(0)
	v_cmp_lt_i16_e32 vcc, s0, v1
	s_mov_b64 s[0:1], 0
	s_and_saveexec_b64 s[16:17], vcc
	s_xor_b64 s[16:17], exec, s[16:17]
	s_cbranch_execz .LBB16_488
; %bb.466:
	s_movk_i32 s0, 0x80
	v_cmp_eq_u16_e32 vcc, s0, v1
	s_mov_b64 s[0:1], -1
                                        ; implicit-def: $sgpr20
	s_and_saveexec_b64 s[18:19], vcc
; %bb.467:
	s_mov_b32 s20, 0x7f800001
	s_xor_b64 s[0:1], exec, -1
; %bb.468:
	s_or_b64 exec, exec, s[18:19]
	s_and_b64 s[0:1], s[0:1], exec
	s_or_saveexec_b64 s[16:17], s[16:17]
	v_mov_b32_e32 v5, s20
	s_xor_b64 exec, exec, s[16:17]
	s_cbranch_execnz .LBB16_489
.LBB16_469:
	s_or_b64 exec, exec, s[16:17]
	s_and_saveexec_b64 s[16:17], s[0:1]
	s_cbranch_execz .LBB16_471
.LBB16_470:
	v_lshlrev_b32_e32 v5, 24, v1
	v_and_b32_e32 v1, 0xffff, v1
	v_and_b32_e32 v6, 3, v1
	v_ffbh_u32_e32 v9, v6
	v_min_u32_e32 v9, 32, v9
	v_subrev_u32_e32 v10, 29, v9
	v_bfe_u32 v7, v1, 2, 5
	v_lshlrev_b32_e32 v1, v10, v1
	v_sub_u32_e32 v9, 30, v9
	v_and_b32_e32 v1, 3, v1
	v_cmp_eq_u32_e32 vcc, 0, v7
	v_cndmask_b32_e32 v7, v7, v9, vcc
	v_cndmask_b32_e32 v1, v6, v1, vcc
	v_mov_b32_e32 v6, 0x37800000
	v_lshlrev_b32_e32 v1, 21, v1
	v_and_b32_e32 v5, 0x80000000, v5
	v_lshl_add_u32 v6, v7, 23, v6
	v_or3_b32 v5, v5, v6, v1
.LBB16_471:
	s_or_b64 exec, exec, s[16:17]
	s_mov_b64 s[0:1], 0
	s_branch .LBB16_477
.LBB16_472:
	s_mov_b64 s[16:17], -1
                                        ; implicit-def: $vgpr5
	s_branch .LBB16_483
.LBB16_473:
	s_or_saveexec_b64 s[16:17], s[16:17]
	v_mov_b32_e32 v5, s20
	s_xor_b64 exec, exec, s[16:17]
	s_cbranch_execz .LBB16_456
.LBB16_474:
	v_cmp_ne_u16_e32 vcc, 0, v1
	s_andn2_b64 s[0:1], s[0:1], exec
	s_and_b64 s[18:19], vcc, exec
	v_mov_b32_e32 v5, 0
	s_or_b64 s[0:1], s[0:1], s[18:19]
	s_or_b64 exec, exec, s[16:17]
	s_and_saveexec_b64 s[16:17], s[0:1]
	s_cbranch_execnz .LBB16_457
	s_branch .LBB16_458
.LBB16_475:
	s_mov_b64 s[0:1], -1
                                        ; implicit-def: $vgpr5
	s_branch .LBB16_480
.LBB16_476:
	s_mov_b64 s[0:1], -1
                                        ; implicit-def: $vgpr5
.LBB16_477:
	s_and_b64 vcc, exec, s[0:1]
	s_cbranch_vccz .LBB16_479
; %bb.478:
	global_load_ubyte v1, v[2:3], off
	s_mov_b32 s0, 0x7f800000
	s_waitcnt vmcnt(0)
	v_lshlrev_b32_e32 v1, 24, v1
	v_and_b32_e32 v5, 0x7f000000, v1
	v_ffbh_u32_e32 v6, v5
	v_min_u32_e32 v6, 32, v6
	v_sub_u32_e64 v6, v6, 4 clamp
	v_lshlrev_b32_e32 v9, v6, v5
	v_lshlrev_b32_e32 v6, 23, v6
	v_lshrrev_b32_e32 v9, 4, v9
	v_add_u32_e32 v7, 0x1000000, v5
	v_sub_u32_e32 v6, v9, v6
	v_ashrrev_i32_e32 v7, 8, v7
	v_add_u32_e32 v6, 0x3c000000, v6
	v_and_or_b32 v6, v7, s0, v6
	v_cmp_ne_u32_e32 vcc, 0, v5
	v_cndmask_b32_e32 v5, 0, v6, vcc
	s_brev_b32 s0, 1
	v_and_or_b32 v5, v1, s0, v5
.LBB16_479:
	s_mov_b64 s[0:1], 0
.LBB16_480:
	s_andn2_b64 vcc, exec, s[0:1]
	s_cbranch_vccnz .LBB16_482
; %bb.481:
	global_load_ubyte v1, v[2:3], off
	s_movk_i32 s0, 0x7f00
	s_brev_b32 s1, 16
	s_waitcnt vmcnt(0)
	v_lshlrev_b16_e32 v5, 8, v1
	v_lshlrev_b32_e32 v1, 25, v1
	v_lshrrev_b32_e32 v6, 4, v1
	v_and_or_b32 v7, v5, s0, 0.5
	v_or_b32_e32 v6, 0x70000000, v6
	v_add_f32_e32 v7, -0.5, v7
	v_mul_f32_e32 v6, 0x7800000, v6
	v_cmp_gt_u32_e32 vcc, s1, v1
	v_bfe_i32 v5, v5, 0, 16
	v_cndmask_b32_e32 v1, v6, v7, vcc
	s_brev_b32 s0, 1
	v_and_or_b32 v5, v5, s0, v1
.LBB16_482:
	s_mov_b64 s[16:17], 0
	s_mov_b64 s[0:1], -1
.LBB16_483:
	s_andn2_b64 vcc, exec, s[16:17]
	s_cbranch_vccnz .LBB16_496
; %bb.484:
	v_cmp_lt_i16_e32 vcc, 14, v4
	s_cbranch_vccz .LBB16_487
; %bb.485:
	v_cmp_eq_u16_e32 vcc, 15, v4
	s_cbranch_vccz .LBB16_490
; %bb.486:
	global_load_ushort v1, v[2:3], off
	s_mov_b64 s[0:1], -1
	s_mov_b64 s[2:3], 0
	s_waitcnt vmcnt(0)
	v_lshlrev_b32_e32 v5, 16, v1
	s_branch .LBB16_491
.LBB16_487:
	s_mov_b64 s[16:17], -1
                                        ; implicit-def: $vgpr5
	s_branch .LBB16_492
.LBB16_488:
	s_or_saveexec_b64 s[16:17], s[16:17]
	v_mov_b32_e32 v5, s20
	s_xor_b64 exec, exec, s[16:17]
	s_cbranch_execz .LBB16_469
.LBB16_489:
	v_cmp_ne_u16_e32 vcc, 0, v1
	s_andn2_b64 s[0:1], s[0:1], exec
	s_and_b64 s[18:19], vcc, exec
	v_mov_b32_e32 v5, 0
	s_or_b64 s[0:1], s[0:1], s[18:19]
	s_or_b64 exec, exec, s[16:17]
	s_and_saveexec_b64 s[16:17], s[0:1]
	s_cbranch_execnz .LBB16_470
	s_branch .LBB16_471
.LBB16_490:
	s_mov_b64 s[2:3], -1
                                        ; implicit-def: $vgpr5
.LBB16_491:
	s_mov_b64 s[16:17], 0
.LBB16_492:
	s_and_b64 vcc, exec, s[16:17]
	s_cbranch_vccz .LBB16_496
; %bb.493:
	v_cmp_eq_u16_e32 vcc, 11, v4
	s_cbranch_vccz .LBB16_495
; %bb.494:
	global_load_ubyte v1, v[2:3], off
	s_mov_b64 s[0:1], -1
	s_mov_b64 s[2:3], 0
	s_waitcnt vmcnt(0)
	v_cmp_ne_u16_e32 vcc, 0, v1
	v_cndmask_b32_e64 v5, 0, 1.0, vcc
	s_branch .LBB16_496
.LBB16_495:
	s_mov_b64 s[2:3], -1
                                        ; implicit-def: $vgpr5
.LBB16_496:
	s_branch .LBB16_297
.LBB16_497:
	v_cmp_gt_i16_e32 vcc, 5, v4
	s_cbranch_vccnz .LBB16_502
; %bb.498:
	v_cmp_gt_i16_e32 vcc, 8, v4
	s_cbranch_vccnz .LBB16_503
; %bb.499:
	;; [unrolled: 3-line block ×3, first 2 shown]
	v_cmp_lt_i16_e32 vcc, 9, v4
	s_cbranch_vccz .LBB16_505
; %bb.501:
	global_load_dwordx2 v[6:7], v[2:3], off
	s_mov_b64 s[0:1], 0
	s_waitcnt vmcnt(0)
	v_cvt_f32_f64_e32 v5, v[6:7]
	s_branch .LBB16_506
.LBB16_502:
	s_mov_b64 s[0:1], -1
                                        ; implicit-def: $vgpr5
	s_branch .LBB16_524
.LBB16_503:
	s_mov_b64 s[0:1], -1
                                        ; implicit-def: $vgpr5
	s_branch .LBB16_512
.LBB16_504:
	s_mov_b64 s[0:1], -1
                                        ; implicit-def: $vgpr5
	s_branch .LBB16_509
.LBB16_505:
	s_mov_b64 s[0:1], -1
                                        ; implicit-def: $vgpr5
.LBB16_506:
	s_andn2_b64 vcc, exec, s[0:1]
	s_cbranch_vccnz .LBB16_508
; %bb.507:
	global_load_dword v5, v[2:3], off
.LBB16_508:
	s_mov_b64 s[0:1], 0
.LBB16_509:
	s_andn2_b64 vcc, exec, s[0:1]
	s_cbranch_vccnz .LBB16_511
; %bb.510:
	global_load_dword v1, v[2:3], off
	s_waitcnt vmcnt(0)
	v_cvt_f32_f16_e32 v5, v1
.LBB16_511:
	s_mov_b64 s[0:1], 0
.LBB16_512:
	s_andn2_b64 vcc, exec, s[0:1]
	s_cbranch_vccnz .LBB16_523
; %bb.513:
	v_cmp_gt_i16_e32 vcc, 6, v4
	s_cbranch_vccnz .LBB16_516
; %bb.514:
	v_cmp_lt_i16_e32 vcc, 6, v4
	s_cbranch_vccz .LBB16_517
; %bb.515:
	global_load_dwordx2 v[6:7], v[2:3], off
	s_mov_b64 s[0:1], 0
	s_waitcnt vmcnt(0)
	v_cvt_f32_f64_e32 v5, v[6:7]
	s_branch .LBB16_518
.LBB16_516:
	s_mov_b64 s[0:1], -1
                                        ; implicit-def: $vgpr5
	s_branch .LBB16_521
.LBB16_517:
	s_mov_b64 s[0:1], -1
                                        ; implicit-def: $vgpr5
.LBB16_518:
	s_andn2_b64 vcc, exec, s[0:1]
	s_cbranch_vccnz .LBB16_520
; %bb.519:
	global_load_dword v5, v[2:3], off
.LBB16_520:
	s_mov_b64 s[0:1], 0
.LBB16_521:
	s_andn2_b64 vcc, exec, s[0:1]
	s_cbranch_vccnz .LBB16_523
; %bb.522:
	global_load_ushort v1, v[2:3], off
	s_waitcnt vmcnt(0)
	v_cvt_f32_f16_e32 v5, v1
.LBB16_523:
	s_mov_b64 s[0:1], 0
.LBB16_524:
	s_andn2_b64 vcc, exec, s[0:1]
	s_cbranch_vccnz .LBB16_544
; %bb.525:
	v_cmp_gt_i16_e32 vcc, 2, v4
	s_cbranch_vccnz .LBB16_529
; %bb.526:
	v_cmp_gt_i16_e32 vcc, 3, v4
	s_cbranch_vccnz .LBB16_530
; %bb.527:
	v_cmp_lt_i16_e32 vcc, 3, v4
	s_cbranch_vccz .LBB16_531
; %bb.528:
	global_load_dwordx2 v[6:7], v[2:3], off
	s_mov_b64 s[0:1], 0
	s_waitcnt vmcnt(0)
	v_xor_b32_e32 v5, v6, v7
	v_ffbh_i32_e32 v1, v7
	v_ashrrev_i32_e32 v5, 31, v5
	v_add_u32_e32 v1, -1, v1
	v_add_u32_e32 v5, 32, v5
	v_min_u32_e32 v1, v1, v5
	v_lshlrev_b64 v[6:7], v1, v[6:7]
	v_min_u32_e32 v5, 1, v6
	v_or_b32_e32 v5, v7, v5
	v_cvt_f32_i32_e32 v5, v5
	v_sub_u32_e32 v1, 32, v1
	v_ldexp_f32 v5, v5, v1
	s_branch .LBB16_532
.LBB16_529:
	s_mov_b64 s[0:1], -1
                                        ; implicit-def: $vgpr5
	s_branch .LBB16_538
.LBB16_530:
	s_mov_b64 s[0:1], -1
                                        ; implicit-def: $vgpr5
	s_branch .LBB16_535
.LBB16_531:
	s_mov_b64 s[0:1], -1
                                        ; implicit-def: $vgpr5
.LBB16_532:
	s_andn2_b64 vcc, exec, s[0:1]
	s_cbranch_vccnz .LBB16_534
; %bb.533:
	global_load_dword v1, v[2:3], off
	s_waitcnt vmcnt(0)
	v_cvt_f32_i32_e32 v5, v1
.LBB16_534:
	s_mov_b64 s[0:1], 0
.LBB16_535:
	s_andn2_b64 vcc, exec, s[0:1]
	s_cbranch_vccnz .LBB16_537
; %bb.536:
	global_load_sshort v1, v[2:3], off
	s_waitcnt vmcnt(0)
	v_cvt_f32_i32_e32 v5, v1
.LBB16_537:
	s_mov_b64 s[0:1], 0
.LBB16_538:
	s_andn2_b64 vcc, exec, s[0:1]
	s_cbranch_vccnz .LBB16_544
; %bb.539:
	v_cmp_lt_i16_e32 vcc, 0, v4
	s_cbranch_vccz .LBB16_541
; %bb.540:
	global_load_sbyte v1, v[2:3], off
	s_mov_b64 s[0:1], 0
	s_waitcnt vmcnt(0)
	v_cvt_f32_i32_e32 v5, v1
	s_branch .LBB16_542
.LBB16_541:
	s_mov_b64 s[0:1], -1
                                        ; implicit-def: $vgpr5
.LBB16_542:
	s_andn2_b64 vcc, exec, s[0:1]
	s_cbranch_vccnz .LBB16_544
; %bb.543:
	global_load_ubyte v1, v[2:3], off
	s_waitcnt vmcnt(0)
	v_cvt_f32_ubyte0_e32 v5, v1
.LBB16_544:
	s_branch .LBB16_298
.LBB16_545:
	s_mov_b64 s[16:17], 0
	s_mov_b64 s[0:1], s[56:57]
.LBB16_546:
                                        ; implicit-def: $vgpr8
.LBB16_547:
	s_andn2_b64 s[18:19], s[56:57], exec
	s_and_b64 s[0:1], s[0:1], exec
	s_or_b64 s[64:65], s[18:19], s[0:1]
	s_andn2_b64 s[0:1], s[58:59], exec
	s_and_b64 s[2:3], s[2:3], exec
	s_or_b64 s[62:63], s[0:1], s[2:3]
	s_orn2_b64 s[0:1], s[16:17], exec
.LBB16_548:
	s_or_b64 exec, exec, s[66:67]
	s_mov_b64 s[2:3], 0
	s_mov_b64 s[16:17], 0
	;; [unrolled: 1-line block ×3, first 2 shown]
                                        ; implicit-def: $vgpr2_vgpr3
                                        ; implicit-def: $vgpr0
                                        ; implicit-def: $vgpr5
	s_and_saveexec_b64 s[66:67], s[0:1]
	s_cbranch_execz .LBB16_927
; %bb.549:
	v_cmp_gt_i32_e32 vcc, s76, v8
	s_mov_b64 s[2:3], -1
	s_mov_b64 s[70:71], s[62:63]
	s_mov_b64 s[72:73], s[64:65]
	s_and_saveexec_b64 s[68:69], vcc
	s_cbranch_execz .LBB16_826
; %bb.550:
	s_andn2_b64 vcc, exec, s[44:45]
	s_cbranch_vccnz .LBB16_556
; %bb.551:
	s_mov_b32 s70, 0
	s_andn2_b64 vcc, exec, s[54:55]
	v_mov_b32_e32 v2, 0
	v_mov_b32_e32 v0, 0
	s_cbranch_vccnz .LBB16_562
; %bb.552:
	s_add_i32 s80, s77, 1
	s_cmp_eq_u32 s78, 2
	s_cbranch_scc1 .LBB16_557
; %bb.553:
	s_and_b32 s70, s80, 28
	s_mov_b32 s71, 0
	v_mov_b32_e32 v0, 0
	s_mov_b64 s[72:73], s[34:35]
	s_mov_b64 s[74:75], s[52:53]
	v_mov_b32_e32 v3, v8
	v_mov_b32_e32 v2, 0
.LBB16_554:                             ; =>This Inner Loop Header: Depth=1
	s_load_dwordx8 s[24:31], s[72:73], 0x4
	s_load_dwordx4 s[0:3], s[72:73], 0x24
	s_load_dwordx8 s[16:23], s[74:75], 0x0
	s_add_u32 s72, s72, 48
	s_addc_u32 s73, s73, 0
	s_waitcnt lgkmcnt(0)
	v_mul_hi_u32 v1, s25, v3
	v_add_u32_e32 v1, v3, v1
	v_lshrrev_b32_e32 v1, s26, v1
	s_waitcnt vmcnt(0)
	v_mul_lo_u32 v5, v1, s24
	v_mul_hi_u32 v6, s28, v1
	v_sub_u32_e32 v3, v3, v5
	v_add_u32_e32 v5, v1, v6
	v_lshrrev_b32_e32 v5, s29, v5
	v_mul_lo_u32 v7, v5, s27
	v_mul_hi_u32 v9, s31, v5
	v_sub_u32_e32 v1, v1, v7
	v_add_u32_e32 v7, v5, v9
	v_mul_lo_u32 v6, v3, s17
	v_mul_lo_u32 v3, v3, s16
	;; [unrolled: 1-line block ×4, first 2 shown]
	v_lshrrev_b32_e32 v7, s0, v7
	v_add3_u32 v0, v3, v0, v1
	v_mul_hi_u32 v3, s2, v7
	v_add_u32_e32 v3, v7, v3
	v_lshrrev_b32_e32 v3, s3, v3
	s_add_i32 s71, s71, 4
	v_add3_u32 v1, v6, v2, v9
	v_mul_lo_u32 v2, v7, s30
	v_mul_lo_u32 v6, v3, s1
	s_add_u32 s74, s74, 32
	v_sub_u32_e32 v2, v5, v2
	v_sub_u32_e32 v6, v7, v6
	s_addc_u32 s75, s75, 0
	v_mul_lo_u32 v5, v2, s20
	v_mul_lo_u32 v2, v2, s21
	;; [unrolled: 1-line block ×4, first 2 shown]
	s_cmp_eq_u32 s70, s71
	v_add3_u32 v2, v2, v1, v6
	v_add3_u32 v0, v5, v0, v7
	s_cbranch_scc0 .LBB16_554
; %bb.555:
	v_mov_b32_e32 v1, v2
	s_branch .LBB16_558
.LBB16_556:
	s_mov_b64 s[0:1], -1
                                        ; implicit-def: $vgpr2
                                        ; implicit-def: $vgpr0
	s_branch .LBB16_563
.LBB16_557:
	s_mov_b32 s71, s70
	v_pk_mov_b32 v[0:1], s[70:71], s[70:71] op_sel:[0,1]
                                        ; implicit-def: $vgpr2
	v_mov_b32_e32 v3, v8
.LBB16_558:
	s_and_b32 s16, s80, 3
	s_cmp_eq_u32 s16, 0
	s_cbranch_scc1 .LBB16_562
; %bb.559:
	s_lshl_b32 s0, s70, 3
	s_add_u32 s0, s0, s34
	s_addc_u32 s1, s35, 0
	s_add_u32 s0, s0, 0xc4
	s_addc_u32 s1, s1, 0
	s_mul_i32 s2, s70, 12
	s_add_u32 s2, s34, s2
	s_addc_u32 s3, s35, 0
.LBB16_560:                             ; =>This Inner Loop Header: Depth=1
	s_load_dwordx2 s[18:19], s[2:3], 0x4
	s_load_dword s17, s[2:3], 0xc
	s_load_dwordx2 s[20:21], s[0:1], 0x0
	v_mov_b32_e32 v2, v1
	s_add_u32 s2, s2, 12
	s_waitcnt lgkmcnt(0)
	v_mul_hi_u32 v1, s19, v3
	v_add_u32_e32 v1, v3, v1
	v_lshrrev_b32_e32 v1, s17, v1
	s_addc_u32 s3, s3, 0
	s_waitcnt vmcnt(0)
	v_mul_lo_u32 v5, v1, s18
	s_add_u32 s0, s0, 8
	v_sub_u32_e32 v5, v3, v5
	v_mov_b32_e32 v3, v1
	s_addc_u32 s1, s1, 0
	s_add_i32 s16, s16, -1
	v_mad_u64_u32 v[6:7], s[18:19], v5, s21, v[2:3]
	v_mad_u64_u32 v[0:1], s[18:19], v5, s20, v[0:1]
	s_cmp_lg_u32 s16, 0
	v_mov_b32_e32 v1, v6
	s_cbranch_scc1 .LBB16_560
; %bb.561:
	v_mov_b32_e32 v2, v1
.LBB16_562:
	s_mov_b64 s[0:1], 0
.LBB16_563:
	s_andn2_b64 vcc, exec, s[0:1]
	s_cbranch_vccnz .LBB16_566
; %bb.564:
	v_mul_hi_u32 v0, s37, v8
	v_add_u32_e32 v0, v8, v0
	v_lshrrev_b32_e32 v1, s38, v0
	v_mul_lo_u32 v0, v1, s36
	v_sub_u32_e32 v0, v8, v0
	v_mul_lo_u32 v2, v0, s41
	s_andn2_b64 vcc, exec, s[50:51]
	v_mul_lo_u32 v0, v0, s40
	s_cbranch_vccnz .LBB16_566
; %bb.565:
	v_mul_hi_u32 v3, s48, v1
	v_add_u32_e32 v3, v1, v3
	v_lshrrev_b32_e32 v3, s49, v3
	v_mul_lo_u32 v3, v3, s39
	v_sub_u32_e32 v3, v1, v3
	v_mad_u64_u32 v[0:1], s[0:1], v3, s42, v[0:1]
	v_mad_u64_u32 v[2:3], s[0:1], v3, s43, v[2:3]
.LBB16_566:
	v_mov_b32_e32 v1, s11
	v_add_co_u32_e32 v2, vcc, s10, v2
	v_addc_co_u32_e32 v3, vcc, 0, v1, vcc
	v_cmp_gt_i16_e32 vcc, 11, v4
	s_cbranch_vccnz .LBB16_573
; %bb.567:
	v_cmp_lt_i16_e32 vcc, 25, v4
	s_cbranch_vccz .LBB16_574
; %bb.568:
	v_cmp_lt_i16_e32 vcc, 28, v4
	s_cbranch_vccz .LBB16_575
	;; [unrolled: 3-line block ×4, first 2 shown]
; %bb.571:
	v_cmp_eq_u16_e32 vcc, 46, v4
	s_mov_b64 s[16:17], 0
	s_cbranch_vccz .LBB16_582
; %bb.572:
	global_load_dword v1, v[2:3], off
	s_mov_b64 s[0:1], -1
	s_mov_b64 s[2:3], 0
	s_waitcnt vmcnt(0)
	v_lshlrev_b32_e32 v5, 16, v1
	s_branch .LBB16_583
.LBB16_573:
	s_mov_b64 s[16:17], -1
	s_mov_b64 s[0:1], 0
                                        ; implicit-def: $vgpr5
	s_mov_b64 s[2:3], s[62:63]
	s_branch .LBB16_648
.LBB16_574:
	s_mov_b64 s[16:17], -1
	s_mov_b64 s[0:1], 0
	s_mov_b64 s[2:3], s[62:63]
                                        ; implicit-def: $vgpr5
	s_branch .LBB16_612
.LBB16_575:
	s_mov_b64 s[16:17], -1
	s_mov_b64 s[0:1], 0
	s_mov_b64 s[2:3], s[62:63]
                                        ; implicit-def: $vgpr5
	s_branch .LBB16_593
.LBB16_576:
	s_mov_b64 s[16:17], -1
	s_mov_b64 s[0:1], 0
	s_mov_b64 s[2:3], s[62:63]
                                        ; implicit-def: $vgpr5
	s_branch .LBB16_588
.LBB16_577:
	s_or_saveexec_b64 s[20:21], s[20:21]
                                        ; implicit-def: $sgpr22
	s_xor_b64 exec, exec, s[20:21]
	s_cbranch_execz .LBB16_345
.LBB16_578:
	s_mov_b32 s22, 0x46000000
	v_add_f32_e64 v3, |v2|, s22
	v_and_b32_e32 v3, 0xff, v3
	v_cmp_ne_u32_e32 vcc, 0, v3
	s_andn2_b64 s[18:19], s[18:19], exec
	s_and_b64 s[24:25], vcc, exec
	s_mov_b32 s22, 0
	s_or_b64 s[18:19], s[18:19], s[24:25]
	s_or_b64 exec, exec, s[20:21]
	v_mov_b32_e32 v5, s22
	s_and_saveexec_b64 s[20:21], s[18:19]
	s_cbranch_execnz .LBB16_346
	s_branch .LBB16_347
.LBB16_579:
	s_mov_b64 s[16:17], -1
	s_mov_b64 s[0:1], 0
	s_mov_b64 s[2:3], s[62:63]
                                        ; implicit-def: $vgpr5
	s_branch .LBB16_583
.LBB16_580:
	s_or_saveexec_b64 s[20:21], s[20:21]
                                        ; implicit-def: $sgpr22
	s_xor_b64 exec, exec, s[20:21]
	s_cbranch_execz .LBB16_358
.LBB16_581:
	s_mov_b32 s22, 0x42800000
	v_add_f32_e64 v3, |v2|, s22
	v_and_b32_e32 v3, 0xff, v3
	v_cmp_ne_u32_e32 vcc, 0, v3
	s_andn2_b64 s[18:19], s[18:19], exec
	s_and_b64 s[24:25], vcc, exec
	s_mov_b32 s22, 0
	s_or_b64 s[18:19], s[18:19], s[24:25]
	s_or_b64 exec, exec, s[20:21]
	v_mov_b32_e32 v5, s22
	s_and_saveexec_b64 s[20:21], s[18:19]
	s_cbranch_execnz .LBB16_359
	s_branch .LBB16_360
.LBB16_582:
	s_mov_b64 s[2:3], -1
                                        ; implicit-def: $vgpr5
	s_mov_b64 s[0:1], 0
.LBB16_583:
	s_and_b64 vcc, exec, s[16:17]
	s_cbranch_vccz .LBB16_587
; %bb.584:
	v_cmp_eq_u16_e32 vcc, 44, v4
	s_cbranch_vccz .LBB16_586
; %bb.585:
	global_load_ubyte v1, v[2:3], off
	s_movk_i32 s2, 0xff
	s_waitcnt vmcnt(1)
	v_mov_b32_e32 v5, 0x7f800001
	v_mov_b32_e32 v6, 0x400000
	s_mov_b64 s[0:1], -1
	s_waitcnt vmcnt(0)
	v_lshlrev_b32_e32 v7, 23, v1
	v_cmp_ne_u32_e32 vcc, s2, v1
	v_cndmask_b32_e32 v5, v5, v7, vcc
	v_cmp_ne_u32_e32 vcc, 0, v1
	v_cndmask_b32_e32 v5, v6, v5, vcc
	s_mov_b64 s[2:3], 0
	s_branch .LBB16_587
.LBB16_586:
	s_mov_b64 s[2:3], -1
                                        ; implicit-def: $vgpr5
.LBB16_587:
	s_mov_b64 s[16:17], 0
.LBB16_588:
	s_and_b64 vcc, exec, s[16:17]
	s_cbranch_vccz .LBB16_592
; %bb.589:
	v_cmp_eq_u16_e32 vcc, 29, v4
	s_cbranch_vccz .LBB16_591
; %bb.590:
	global_load_dwordx2 v[6:7], v[2:3], off
	s_mov_b64 s[0:1], -1
	s_mov_b64 s[2:3], 0
	s_mov_b64 s[16:17], 0
	s_waitcnt vmcnt(0)
	v_ffbh_u32_e32 v1, v7
	v_min_u32_e32 v1, 32, v1
	v_lshlrev_b64 v[6:7], v1, v[6:7]
	v_min_u32_e32 v5, 1, v6
	v_or_b32_e32 v5, v7, v5
	v_cvt_f32_u32_e32 v5, v5
	v_sub_u32_e32 v1, 32, v1
	v_ldexp_f32 v5, v5, v1
	s_branch .LBB16_593
.LBB16_591:
	s_mov_b64 s[2:3], -1
                                        ; implicit-def: $vgpr5
.LBB16_592:
	s_mov_b64 s[16:17], 0
.LBB16_593:
	s_and_b64 vcc, exec, s[16:17]
	s_cbranch_vccz .LBB16_611
; %bb.594:
	v_cmp_gt_i16_e32 vcc, 27, v4
	s_cbranch_vccnz .LBB16_597
; %bb.595:
	v_cmp_lt_i16_e32 vcc, 27, v4
	s_cbranch_vccz .LBB16_598
; %bb.596:
	global_load_dword v1, v[2:3], off
	s_mov_b64 s[0:1], 0
	s_waitcnt vmcnt(0)
	v_cvt_f32_u32_e32 v5, v1
	s_branch .LBB16_599
.LBB16_597:
	s_mov_b64 s[0:1], -1
                                        ; implicit-def: $vgpr5
	s_branch .LBB16_602
.LBB16_598:
	s_mov_b64 s[0:1], -1
                                        ; implicit-def: $vgpr5
.LBB16_599:
	s_andn2_b64 vcc, exec, s[0:1]
	s_cbranch_vccnz .LBB16_601
; %bb.600:
	global_load_ushort v1, v[2:3], off
	s_waitcnt vmcnt(0)
	v_cvt_f32_u32_e32 v5, v1
.LBB16_601:
	s_mov_b64 s[0:1], 0
.LBB16_602:
	s_andn2_b64 vcc, exec, s[0:1]
	s_cbranch_vccnz .LBB16_610
; %bb.603:
	global_load_ubyte v1, v[2:3], off
	s_movk_i32 s0, 0x7f
                                        ; implicit-def: $sgpr20
	s_waitcnt vmcnt(0)
	v_cmp_lt_i16_e32 vcc, s0, v1
	s_mov_b64 s[0:1], 0
	s_and_saveexec_b64 s[16:17], vcc
	s_xor_b64 s[16:17], exec, s[16:17]
	s_cbranch_execz .LBB16_624
; %bb.604:
	s_movk_i32 s0, 0x80
	v_cmp_eq_u16_e32 vcc, s0, v1
	s_mov_b64 s[0:1], -1
                                        ; implicit-def: $sgpr20
	s_and_saveexec_b64 s[18:19], vcc
; %bb.605:
	s_mov_b32 s20, 0x7f800001
	s_xor_b64 s[0:1], exec, -1
; %bb.606:
	s_or_b64 exec, exec, s[18:19]
	s_and_b64 s[0:1], s[0:1], exec
	s_or_saveexec_b64 s[16:17], s[16:17]
	v_mov_b32_e32 v5, s20
	s_xor_b64 exec, exec, s[16:17]
	s_cbranch_execnz .LBB16_625
.LBB16_607:
	s_or_b64 exec, exec, s[16:17]
	s_and_saveexec_b64 s[16:17], s[0:1]
	s_cbranch_execz .LBB16_609
.LBB16_608:
	v_lshlrev_b32_e32 v5, 24, v1
	v_and_b32_e32 v1, 0xffff, v1
	v_and_b32_e32 v6, 7, v1
	v_ffbh_u32_e32 v9, v6
	v_min_u32_e32 v9, 32, v9
	v_subrev_u32_e32 v10, 28, v9
	v_bfe_u32 v7, v1, 3, 4
	v_lshlrev_b32_e32 v1, v10, v1
	v_sub_u32_e32 v9, 29, v9
	v_and_b32_e32 v1, 7, v1
	v_cmp_eq_u32_e32 vcc, 0, v7
	v_cndmask_b32_e32 v7, v7, v9, vcc
	v_cndmask_b32_e32 v1, v6, v1, vcc
	v_mov_b32_e32 v6, 0x3b800000
	v_lshlrev_b32_e32 v1, 20, v1
	v_and_b32_e32 v5, 0x80000000, v5
	v_lshl_add_u32 v6, v7, 23, v6
	v_or3_b32 v5, v5, v6, v1
.LBB16_609:
	s_or_b64 exec, exec, s[16:17]
.LBB16_610:
	s_mov_b64 s[0:1], -1
.LBB16_611:
	s_mov_b64 s[16:17], 0
.LBB16_612:
	s_and_b64 vcc, exec, s[16:17]
	s_cbranch_vccz .LBB16_647
; %bb.613:
	v_cmp_lt_i16_e32 vcc, 22, v4
	s_cbranch_vccz .LBB16_623
; %bb.614:
	v_cmp_gt_i16_e32 vcc, 24, v4
	s_cbranch_vccnz .LBB16_626
; %bb.615:
	v_cmp_lt_i16_e32 vcc, 24, v4
	s_cbranch_vccz .LBB16_627
; %bb.616:
	global_load_ubyte v1, v[2:3], off
	s_movk_i32 s0, 0x7f
                                        ; implicit-def: $sgpr20
	s_waitcnt vmcnt(0)
	v_cmp_lt_i16_e32 vcc, s0, v1
	s_mov_b64 s[0:1], 0
	s_and_saveexec_b64 s[16:17], vcc
	s_xor_b64 s[16:17], exec, s[16:17]
	s_cbranch_execz .LBB16_639
; %bb.617:
	s_movk_i32 s0, 0x80
	v_cmp_eq_u16_e32 vcc, s0, v1
	s_mov_b64 s[0:1], -1
                                        ; implicit-def: $sgpr20
	s_and_saveexec_b64 s[18:19], vcc
; %bb.618:
	s_mov_b32 s20, 0x7f800001
	s_xor_b64 s[0:1], exec, -1
; %bb.619:
	s_or_b64 exec, exec, s[18:19]
	s_and_b64 s[0:1], s[0:1], exec
	s_or_saveexec_b64 s[16:17], s[16:17]
	v_mov_b32_e32 v5, s20
	s_xor_b64 exec, exec, s[16:17]
	s_cbranch_execnz .LBB16_640
.LBB16_620:
	s_or_b64 exec, exec, s[16:17]
	s_and_saveexec_b64 s[16:17], s[0:1]
	s_cbranch_execz .LBB16_622
.LBB16_621:
	v_lshlrev_b32_e32 v5, 24, v1
	v_and_b32_e32 v1, 0xffff, v1
	v_and_b32_e32 v6, 3, v1
	v_ffbh_u32_e32 v9, v6
	v_min_u32_e32 v9, 32, v9
	v_subrev_u32_e32 v10, 29, v9
	v_bfe_u32 v7, v1, 2, 5
	v_lshlrev_b32_e32 v1, v10, v1
	v_sub_u32_e32 v9, 30, v9
	v_and_b32_e32 v1, 3, v1
	v_cmp_eq_u32_e32 vcc, 0, v7
	v_cndmask_b32_e32 v7, v7, v9, vcc
	v_cndmask_b32_e32 v1, v6, v1, vcc
	v_mov_b32_e32 v6, 0x37800000
	v_lshlrev_b32_e32 v1, 21, v1
	v_and_b32_e32 v5, 0x80000000, v5
	v_lshl_add_u32 v6, v7, 23, v6
	v_or3_b32 v5, v5, v6, v1
.LBB16_622:
	s_or_b64 exec, exec, s[16:17]
	s_mov_b64 s[0:1], 0
	s_branch .LBB16_628
.LBB16_623:
	s_mov_b64 s[16:17], -1
                                        ; implicit-def: $vgpr5
	s_branch .LBB16_634
.LBB16_624:
	s_or_saveexec_b64 s[16:17], s[16:17]
	v_mov_b32_e32 v5, s20
	s_xor_b64 exec, exec, s[16:17]
	s_cbranch_execz .LBB16_607
.LBB16_625:
	v_cmp_ne_u16_e32 vcc, 0, v1
	s_andn2_b64 s[0:1], s[0:1], exec
	s_and_b64 s[18:19], vcc, exec
	v_mov_b32_e32 v5, 0
	s_or_b64 s[0:1], s[0:1], s[18:19]
	s_or_b64 exec, exec, s[16:17]
	s_and_saveexec_b64 s[16:17], s[0:1]
	s_cbranch_execnz .LBB16_608
	s_branch .LBB16_609
.LBB16_626:
	s_mov_b64 s[0:1], -1
                                        ; implicit-def: $vgpr5
	s_branch .LBB16_631
.LBB16_627:
	s_mov_b64 s[0:1], -1
                                        ; implicit-def: $vgpr5
.LBB16_628:
	s_and_b64 vcc, exec, s[0:1]
	s_cbranch_vccz .LBB16_630
; %bb.629:
	global_load_ubyte v1, v[2:3], off
	s_mov_b32 s0, 0x7f800000
	s_waitcnt vmcnt(0)
	v_lshlrev_b32_e32 v1, 24, v1
	v_and_b32_e32 v5, 0x7f000000, v1
	v_ffbh_u32_e32 v6, v5
	v_min_u32_e32 v6, 32, v6
	v_sub_u32_e64 v6, v6, 4 clamp
	v_lshlrev_b32_e32 v9, v6, v5
	v_lshlrev_b32_e32 v6, 23, v6
	v_lshrrev_b32_e32 v9, 4, v9
	v_add_u32_e32 v7, 0x1000000, v5
	v_sub_u32_e32 v6, v9, v6
	v_ashrrev_i32_e32 v7, 8, v7
	v_add_u32_e32 v6, 0x3c000000, v6
	v_and_or_b32 v6, v7, s0, v6
	v_cmp_ne_u32_e32 vcc, 0, v5
	v_cndmask_b32_e32 v5, 0, v6, vcc
	s_brev_b32 s0, 1
	v_and_or_b32 v5, v1, s0, v5
.LBB16_630:
	s_mov_b64 s[0:1], 0
.LBB16_631:
	s_andn2_b64 vcc, exec, s[0:1]
	s_cbranch_vccnz .LBB16_633
; %bb.632:
	global_load_ubyte v1, v[2:3], off
	s_movk_i32 s0, 0x7f00
	s_brev_b32 s1, 16
	s_waitcnt vmcnt(0)
	v_lshlrev_b16_e32 v5, 8, v1
	v_lshlrev_b32_e32 v1, 25, v1
	v_lshrrev_b32_e32 v6, 4, v1
	v_and_or_b32 v7, v5, s0, 0.5
	v_or_b32_e32 v6, 0x70000000, v6
	v_add_f32_e32 v7, -0.5, v7
	v_mul_f32_e32 v6, 0x7800000, v6
	v_cmp_gt_u32_e32 vcc, s1, v1
	v_bfe_i32 v5, v5, 0, 16
	v_cndmask_b32_e32 v1, v6, v7, vcc
	s_brev_b32 s0, 1
	v_and_or_b32 v5, v5, s0, v1
.LBB16_633:
	s_mov_b64 s[16:17], 0
	s_mov_b64 s[0:1], -1
.LBB16_634:
	s_andn2_b64 vcc, exec, s[16:17]
	s_cbranch_vccnz .LBB16_647
; %bb.635:
	v_cmp_lt_i16_e32 vcc, 14, v4
	s_cbranch_vccz .LBB16_638
; %bb.636:
	v_cmp_eq_u16_e32 vcc, 15, v4
	s_cbranch_vccz .LBB16_641
; %bb.637:
	global_load_ushort v1, v[2:3], off
	s_mov_b64 s[0:1], -1
	s_mov_b64 s[2:3], 0
	s_waitcnt vmcnt(0)
	v_lshlrev_b32_e32 v5, 16, v1
	s_branch .LBB16_642
.LBB16_638:
	s_mov_b64 s[16:17], -1
                                        ; implicit-def: $vgpr5
	s_branch .LBB16_643
.LBB16_639:
	s_or_saveexec_b64 s[16:17], s[16:17]
	v_mov_b32_e32 v5, s20
	s_xor_b64 exec, exec, s[16:17]
	s_cbranch_execz .LBB16_620
.LBB16_640:
	v_cmp_ne_u16_e32 vcc, 0, v1
	s_andn2_b64 s[0:1], s[0:1], exec
	s_and_b64 s[18:19], vcc, exec
	v_mov_b32_e32 v5, 0
	s_or_b64 s[0:1], s[0:1], s[18:19]
	s_or_b64 exec, exec, s[16:17]
	s_and_saveexec_b64 s[16:17], s[0:1]
	s_cbranch_execnz .LBB16_621
	s_branch .LBB16_622
.LBB16_641:
	s_mov_b64 s[2:3], -1
                                        ; implicit-def: $vgpr5
.LBB16_642:
	s_mov_b64 s[16:17], 0
.LBB16_643:
	s_and_b64 vcc, exec, s[16:17]
	s_cbranch_vccz .LBB16_647
; %bb.644:
	v_cmp_eq_u16_e32 vcc, 11, v4
	s_cbranch_vccz .LBB16_646
; %bb.645:
	global_load_ubyte v1, v[2:3], off
	s_mov_b64 s[0:1], -1
	s_mov_b64 s[2:3], 0
	s_waitcnt vmcnt(0)
	v_cmp_ne_u16_e32 vcc, 0, v1
	v_cndmask_b32_e64 v5, 0, 1.0, vcc
	s_branch .LBB16_647
.LBB16_646:
	s_mov_b64 s[2:3], -1
                                        ; implicit-def: $vgpr5
.LBB16_647:
	s_mov_b64 s[16:17], 0
.LBB16_648:
	s_and_b64 vcc, exec, s[16:17]
	s_cbranch_vccz .LBB16_697
; %bb.649:
	v_cmp_gt_i16_e32 vcc, 5, v4
	s_cbranch_vccnz .LBB16_654
; %bb.650:
	v_cmp_gt_i16_e32 vcc, 8, v4
	s_cbranch_vccnz .LBB16_655
; %bb.651:
	v_cmp_gt_i16_e32 vcc, 9, v4
	s_cbranch_vccnz .LBB16_656
; %bb.652:
	v_cmp_lt_i16_e32 vcc, 9, v4
	s_cbranch_vccz .LBB16_657
; %bb.653:
	global_load_dwordx2 v[6:7], v[2:3], off
	s_mov_b64 s[0:1], 0
	s_waitcnt vmcnt(0)
	v_cvt_f32_f64_e32 v5, v[6:7]
	s_branch .LBB16_658
.LBB16_654:
	s_mov_b64 s[0:1], -1
                                        ; implicit-def: $vgpr5
	s_branch .LBB16_676
.LBB16_655:
	s_mov_b64 s[0:1], -1
                                        ; implicit-def: $vgpr5
	s_branch .LBB16_664
.LBB16_656:
	s_mov_b64 s[0:1], -1
                                        ; implicit-def: $vgpr5
	s_branch .LBB16_661
.LBB16_657:
	s_mov_b64 s[0:1], -1
                                        ; implicit-def: $vgpr5
.LBB16_658:
	s_andn2_b64 vcc, exec, s[0:1]
	s_cbranch_vccnz .LBB16_660
; %bb.659:
	global_load_dword v5, v[2:3], off
.LBB16_660:
	s_mov_b64 s[0:1], 0
.LBB16_661:
	s_andn2_b64 vcc, exec, s[0:1]
	s_cbranch_vccnz .LBB16_663
; %bb.662:
	global_load_dword v1, v[2:3], off
	s_waitcnt vmcnt(0)
	v_cvt_f32_f16_e32 v5, v1
.LBB16_663:
	s_mov_b64 s[0:1], 0
.LBB16_664:
	s_andn2_b64 vcc, exec, s[0:1]
	s_cbranch_vccnz .LBB16_675
; %bb.665:
	v_cmp_gt_i16_e32 vcc, 6, v4
	s_cbranch_vccnz .LBB16_668
; %bb.666:
	v_cmp_lt_i16_e32 vcc, 6, v4
	s_cbranch_vccz .LBB16_669
; %bb.667:
	global_load_dwordx2 v[6:7], v[2:3], off
	s_mov_b64 s[0:1], 0
	s_waitcnt vmcnt(0)
	v_cvt_f32_f64_e32 v5, v[6:7]
	s_branch .LBB16_670
.LBB16_668:
	s_mov_b64 s[0:1], -1
                                        ; implicit-def: $vgpr5
	s_branch .LBB16_673
.LBB16_669:
	s_mov_b64 s[0:1], -1
                                        ; implicit-def: $vgpr5
.LBB16_670:
	s_andn2_b64 vcc, exec, s[0:1]
	s_cbranch_vccnz .LBB16_672
; %bb.671:
	global_load_dword v5, v[2:3], off
.LBB16_672:
	s_mov_b64 s[0:1], 0
.LBB16_673:
	s_andn2_b64 vcc, exec, s[0:1]
	s_cbranch_vccnz .LBB16_675
; %bb.674:
	global_load_ushort v1, v[2:3], off
	s_waitcnt vmcnt(0)
	v_cvt_f32_f16_e32 v5, v1
.LBB16_675:
	s_mov_b64 s[0:1], 0
.LBB16_676:
	s_andn2_b64 vcc, exec, s[0:1]
	s_cbranch_vccnz .LBB16_696
; %bb.677:
	v_cmp_gt_i16_e32 vcc, 2, v4
	s_cbranch_vccnz .LBB16_681
; %bb.678:
	v_cmp_gt_i16_e32 vcc, 3, v4
	s_cbranch_vccnz .LBB16_682
; %bb.679:
	v_cmp_lt_i16_e32 vcc, 3, v4
	s_cbranch_vccz .LBB16_683
; %bb.680:
	global_load_dwordx2 v[6:7], v[2:3], off
	s_mov_b64 s[0:1], 0
	s_waitcnt vmcnt(0)
	v_xor_b32_e32 v5, v6, v7
	v_ffbh_i32_e32 v1, v7
	v_ashrrev_i32_e32 v5, 31, v5
	v_add_u32_e32 v1, -1, v1
	v_add_u32_e32 v5, 32, v5
	v_min_u32_e32 v1, v1, v5
	v_lshlrev_b64 v[6:7], v1, v[6:7]
	v_min_u32_e32 v5, 1, v6
	v_or_b32_e32 v5, v7, v5
	v_cvt_f32_i32_e32 v5, v5
	v_sub_u32_e32 v1, 32, v1
	v_ldexp_f32 v5, v5, v1
	s_branch .LBB16_684
.LBB16_681:
	s_mov_b64 s[0:1], -1
                                        ; implicit-def: $vgpr5
	s_branch .LBB16_690
.LBB16_682:
	s_mov_b64 s[0:1], -1
                                        ; implicit-def: $vgpr5
	s_branch .LBB16_687
.LBB16_683:
	s_mov_b64 s[0:1], -1
                                        ; implicit-def: $vgpr5
.LBB16_684:
	s_andn2_b64 vcc, exec, s[0:1]
	s_cbranch_vccnz .LBB16_686
; %bb.685:
	global_load_dword v1, v[2:3], off
	s_waitcnt vmcnt(0)
	v_cvt_f32_i32_e32 v5, v1
.LBB16_686:
	s_mov_b64 s[0:1], 0
.LBB16_687:
	s_andn2_b64 vcc, exec, s[0:1]
	s_cbranch_vccnz .LBB16_689
; %bb.688:
	global_load_sshort v1, v[2:3], off
	s_waitcnt vmcnt(0)
	v_cvt_f32_i32_e32 v5, v1
.LBB16_689:
	s_mov_b64 s[0:1], 0
.LBB16_690:
	s_andn2_b64 vcc, exec, s[0:1]
	s_cbranch_vccnz .LBB16_696
; %bb.691:
	v_cmp_lt_i16_e32 vcc, 0, v4
	s_cbranch_vccz .LBB16_693
; %bb.692:
	global_load_sbyte v1, v[2:3], off
	s_mov_b64 s[0:1], 0
	s_waitcnt vmcnt(0)
	v_cvt_f32_i32_e32 v5, v1
	s_branch .LBB16_694
.LBB16_693:
	s_mov_b64 s[0:1], -1
                                        ; implicit-def: $vgpr5
.LBB16_694:
	s_andn2_b64 vcc, exec, s[0:1]
	s_cbranch_vccnz .LBB16_696
; %bb.695:
	global_load_ubyte v1, v[2:3], off
	s_waitcnt vmcnt(0)
	v_cvt_f32_ubyte0_e32 v5, v1
.LBB16_696:
	s_mov_b64 s[0:1], -1
.LBB16_697:
	s_andn2_b64 vcc, exec, s[0:1]
	s_cbranch_vccnz .LBB16_707
; %bb.698:
	s_mov_b32 s0, 0x7f800000
	s_waitcnt vmcnt(0)
	v_cmp_nlg_f32_e64 s[16:17], |v5|, s0
	s_and_saveexec_b64 s[0:1], s[16:17]
	s_cbranch_execz .LBB16_700
; %bb.699:
	v_mov_b32_e32 v1, 0
	v_mov_b32_e32 v2, 1.0
	global_store_dword v1, v2, s[12:13]
.LBB16_700:
	s_or_b64 exec, exec, s[0:1]
	v_mov_b32_e32 v1, 0
	global_load_dword v2, v1, s[14:15]
	v_mov_b32_e32 v1, s9
	v_mov_b32_e32 v3, 11
	v_add_co_u32_e32 v0, vcc, s8, v0
	v_addc_co_u32_e32 v1, vcc, 0, v1, vcc
	v_cmp_lt_i16_sdwa s[0:1], s79, v3 src0_sel:BYTE_0 src1_sel:DWORD
	s_and_b64 vcc, exec, s[0:1]
	s_waitcnt vmcnt(0)
	v_mul_f32_e32 v3, v5, v2
	v_cmp_eq_f32_e64 s[0:1], 1.0, v2
	v_cndmask_b32_e64 v2, v3, v5, s[0:1]
	s_cbranch_vccnz .LBB16_708
; %bb.701:
	v_mov_b32_e32 v3, 25
	v_cmp_gt_i16_sdwa s[0:1], s79, v3 src0_sel:BYTE_0 src1_sel:DWORD
	s_and_b64 vcc, exec, s[0:1]
	s_cbranch_vccz .LBB16_709
; %bb.702:
	v_mov_b32_e32 v3, 28
	v_cmp_gt_i16_sdwa s[0:1], s79, v3 src0_sel:BYTE_0 src1_sel:DWORD
	s_and_b64 vcc, exec, s[0:1]
	s_cbranch_vccz .LBB16_710
	;; [unrolled: 5-line block ×4, first 2 shown]
; %bb.705:
	v_mov_b32_e32 v3, 46
	v_cmp_eq_u16_sdwa s[16:17], s79, v3 src0_sel:BYTE_0 src1_sel:DWORD
	s_mov_b64 s[18:19], 0
	s_mov_b64 s[0:1], -1
	s_and_b64 vcc, exec, s[16:17]
	s_mov_b64 s[16:17], 0
	s_cbranch_vccz .LBB16_713
; %bb.706:
	v_bfe_u32 v3, v2, 16, 1
	s_movk_i32 s0, 0x7fff
	v_add3_u32 v3, v2, v3, s0
	v_lshrrev_b32_e32 v3, 16, v3
	v_mov_b32_e32 v5, 0x7fc0
	v_cmp_o_f32_e32 vcc, v2, v2
	v_cndmask_b32_e32 v3, v5, v3, vcc
	global_store_dword v[0:1], v3, off
	s_mov_b64 s[16:17], -1
	s_mov_b64 s[0:1], 0
	s_branch .LBB16_713
.LBB16_707:
	s_mov_b64 s[16:17], 0
	s_mov_b64 s[0:1], s[64:65]
	s_branch .LBB16_824
.LBB16_708:
	s_mov_b64 s[18:19], -1
	s_mov_b64 s[16:17], 0
	s_mov_b64 s[0:1], s[64:65]
	s_branch .LBB16_782
.LBB16_709:
	s_mov_b64 s[18:19], -1
	s_mov_b64 s[16:17], 0
	s_mov_b64 s[0:1], s[64:65]
	s_branch .LBB16_740
.LBB16_710:
	s_mov_b64 s[18:19], -1
	s_mov_b64 s[16:17], 0
	s_mov_b64 s[0:1], s[64:65]
	s_branch .LBB16_723
.LBB16_711:
	s_mov_b64 s[18:19], -1
	s_mov_b64 s[16:17], 0
	s_mov_b64 s[0:1], s[64:65]
	s_branch .LBB16_719
.LBB16_712:
	s_mov_b64 s[18:19], -1
	s_mov_b64 s[16:17], 0
	s_mov_b64 s[0:1], s[64:65]
.LBB16_713:
	s_and_b64 vcc, exec, s[18:19]
	s_cbranch_vccz .LBB16_718
; %bb.714:
	v_mov_b32_e32 v3, 44
	v_cmp_eq_u16_sdwa s[18:19], s79, v3 src0_sel:BYTE_0 src1_sel:DWORD
	s_mov_b64 s[0:1], -1
	s_and_b64 vcc, exec, s[18:19]
	s_cbranch_vccz .LBB16_718
; %bb.715:
	v_bfe_u32 v3, v2, 23, 8
	s_movk_i32 s0, 0xff
	v_cmp_ne_u32_e32 vcc, s0, v3
	v_mov_b32_e32 v5, 0xff
	s_and_saveexec_b64 s[16:17], vcc
; %bb.716:
	s_mov_b32 s0, 0x3fffff
	v_and_b32_e32 v6, 0x400000, v2
	v_and_or_b32 v3, v2, s0, v3
	v_cmp_ne_u32_e32 vcc, 0, v6
	v_cmp_ne_u32_e64 s[0:1], 0, v3
	s_and_b64 s[0:1], vcc, s[0:1]
	v_lshrrev_b32_e32 v5, 23, v2
	v_cndmask_b32_e64 v3, 0, 1, s[0:1]
	v_add_u32_e32 v5, v5, v3
; %bb.717:
	s_or_b64 exec, exec, s[16:17]
	s_mov_b64 s[16:17], -1
	s_mov_b64 s[0:1], 0
	global_store_byte v[0:1], v5, off
.LBB16_718:
	s_mov_b64 s[18:19], 0
.LBB16_719:
	s_and_b64 vcc, exec, s[18:19]
	s_cbranch_vccz .LBB16_722
; %bb.720:
	v_mov_b32_e32 v3, 29
	v_cmp_eq_u16_sdwa s[18:19], s79, v3 src0_sel:BYTE_0 src1_sel:DWORD
	s_mov_b64 s[0:1], -1
	s_and_b64 vcc, exec, s[18:19]
	s_cbranch_vccz .LBB16_722
; %bb.721:
	v_trunc_f32_e32 v3, v2
	v_mul_f32_e32 v5, 0x2f800000, v3
	v_floor_f32_e32 v5, v5
	v_fmac_f32_e32 v3, 0xcf800000, v5
	v_cvt_u32_f32_e32 v7, v5
	v_cvt_u32_f32_e32 v6, v3
	s_mov_b64 s[16:17], -1
	s_mov_b64 s[0:1], 0
	s_mov_b64 s[18:19], 0
	global_store_dwordx2 v[0:1], v[6:7], off
	s_branch .LBB16_723
.LBB16_722:
	s_mov_b64 s[18:19], 0
.LBB16_723:
	s_and_b64 vcc, exec, s[18:19]
	s_cbranch_vccz .LBB16_739
; %bb.724:
	v_mov_b32_e32 v3, 27
	v_cmp_lt_i16_sdwa s[18:19], s79, v3 src0_sel:BYTE_0 src1_sel:DWORD
	s_mov_b64 s[16:17], -1
	s_and_b64 vcc, exec, s[18:19]
	s_cbranch_vccnz .LBB16_730
; %bb.725:
	v_cmp_gt_i16_sdwa s[18:19], s79, v3 src0_sel:BYTE_0 src1_sel:DWORD
	v_cvt_u32_f32_e32 v3, v2
	s_and_b64 vcc, exec, s[18:19]
	s_cbranch_vccz .LBB16_727
; %bb.726:
	s_mov_b64 s[16:17], 0
	global_store_dword v[0:1], v3, off
.LBB16_727:
	s_andn2_b64 vcc, exec, s[16:17]
	s_cbranch_vccnz .LBB16_729
; %bb.728:
	global_store_short v[0:1], v3, off
.LBB16_729:
	s_mov_b64 s[16:17], 0
.LBB16_730:
	s_andn2_b64 vcc, exec, s[16:17]
	s_cbranch_vccnz .LBB16_738
; %bb.731:
	v_and_b32_e32 v3, 0x7fffffff, v2
	s_mov_b32 s16, 0x43800000
	v_cmp_gt_u32_e32 vcc, s16, v3
	v_mov_b32_e32 v5, 0x80
	s_and_saveexec_b64 s[16:17], vcc
	s_cbranch_execz .LBB16_737
; %bb.732:
	s_mov_b32 s18, 0x3bffffff
	v_cmp_lt_u32_e32 vcc, s18, v3
	s_mov_b64 s[18:19], 0
                                        ; implicit-def: $vgpr3
	s_and_saveexec_b64 s[20:21], vcc
	s_xor_b64 s[20:21], exec, s[20:21]
	s_cbranch_execz .LBB16_855
; %bb.733:
	v_bfe_u32 v3, v2, 20, 1
	s_mov_b32 s22, 0x487ffff
	v_add3_u32 v3, v2, v3, s22
	s_mov_b64 s[18:19], exec
	v_lshrrev_b32_e32 v3, 20, v3
	s_or_saveexec_b64 s[20:21], s[20:21]
                                        ; implicit-def: $sgpr22
	s_xor_b64 exec, exec, s[20:21]
	s_cbranch_execnz .LBB16_856
.LBB16_734:
	s_or_b64 exec, exec, s[20:21]
	v_mov_b32_e32 v5, s22
	s_and_saveexec_b64 s[20:21], s[18:19]
.LBB16_735:
	v_lshrrev_b32_e32 v5, 24, v2
	s_movk_i32 s18, 0x80
	v_and_or_b32 v5, v5, s18, v3
.LBB16_736:
	s_or_b64 exec, exec, s[20:21]
.LBB16_737:
	s_or_b64 exec, exec, s[16:17]
	global_store_byte v[0:1], v5, off
.LBB16_738:
	s_mov_b64 s[16:17], -1
.LBB16_739:
	s_mov_b64 s[18:19], 0
.LBB16_740:
	s_and_b64 vcc, exec, s[18:19]
	s_cbranch_vccz .LBB16_781
; %bb.741:
	v_mov_b32_e32 v3, 22
	v_cmp_gt_i16_sdwa s[20:21], s79, v3 src0_sel:BYTE_0 src1_sel:DWORD
	s_mov_b64 s[18:19], -1
	s_and_b64 vcc, exec, s[20:21]
	s_cbranch_vccz .LBB16_773
; %bb.742:
	v_mov_b32_e32 v3, 24
	v_cmp_lt_i16_sdwa s[18:19], s79, v3 src0_sel:BYTE_0 src1_sel:DWORD
	s_mov_b64 s[16:17], -1
	s_and_b64 vcc, exec, s[18:19]
	s_cbranch_vccnz .LBB16_762
; %bb.743:
	v_cmp_gt_i16_sdwa s[18:19], s79, v3 src0_sel:BYTE_0 src1_sel:DWORD
	s_and_b64 vcc, exec, s[18:19]
	s_cbranch_vccz .LBB16_751
; %bb.744:
	v_and_b32_e32 v3, 0x7fffffff, v2
	s_mov_b32 s16, 0x47800000
	v_cmp_gt_u32_e32 vcc, s16, v3
	v_mov_b32_e32 v5, 0x80
	s_and_saveexec_b64 s[16:17], vcc
	s_cbranch_execz .LBB16_750
; %bb.745:
	s_mov_b32 s18, 0x37ffffff
	v_cmp_lt_u32_e32 vcc, s18, v3
	s_mov_b64 s[18:19], 0
                                        ; implicit-def: $vgpr3
	s_and_saveexec_b64 s[20:21], vcc
	s_xor_b64 s[20:21], exec, s[20:21]
	s_cbranch_execz .LBB16_858
; %bb.746:
	v_bfe_u32 v3, v2, 21, 1
	s_mov_b32 s22, 0x88fffff
	v_add3_u32 v3, v2, v3, s22
	s_mov_b64 s[18:19], exec
	v_lshrrev_b32_e32 v3, 21, v3
	s_or_saveexec_b64 s[20:21], s[20:21]
                                        ; implicit-def: $sgpr22
	s_xor_b64 exec, exec, s[20:21]
	s_cbranch_execnz .LBB16_859
.LBB16_747:
	s_or_b64 exec, exec, s[20:21]
	v_mov_b32_e32 v5, s22
	s_and_saveexec_b64 s[20:21], s[18:19]
.LBB16_748:
	v_lshrrev_b32_e32 v5, 24, v2
	s_movk_i32 s18, 0x80
	v_and_or_b32 v5, v5, s18, v3
.LBB16_749:
	s_or_b64 exec, exec, s[20:21]
.LBB16_750:
	s_or_b64 exec, exec, s[16:17]
	s_mov_b64 s[16:17], 0
	global_store_byte v[0:1], v5, off
.LBB16_751:
	s_and_b64 vcc, exec, s[16:17]
	s_cbranch_vccz .LBB16_761
; %bb.752:
	v_and_b32_e32 v5, 0x7fffffff, v2
	s_mov_b32 s16, 0x43f00000
	v_cmp_gt_u32_e32 vcc, s16, v5
                                        ; implicit-def: $vgpr3
	s_and_saveexec_b64 s[16:17], vcc
	s_xor_b64 s[16:17], exec, s[16:17]
	s_cbranch_execz .LBB16_758
; %bb.753:
	s_mov_b32 s18, 0x3c7fffff
	v_cmp_lt_u32_e32 vcc, s18, v5
                                        ; implicit-def: $vgpr3
	s_and_saveexec_b64 s[18:19], vcc
	s_xor_b64 s[18:19], exec, s[18:19]
; %bb.754:
	v_bfe_u32 v3, v2, 20, 1
	s_mov_b32 s20, 0x407ffff
	v_add3_u32 v3, v2, v3, s20
	v_lshrrev_b32_e32 v5, 20, v3
	v_and_b32_e32 v3, 0xff00000, v3
	s_mov_b32 s20, 0x7f00000
	v_mov_b32_e32 v6, 0x7e
	v_cmp_ne_u32_e32 vcc, s20, v3
	v_cndmask_b32_e32 v3, v6, v5, vcc
; %bb.755:
	s_andn2_saveexec_b64 s[18:19], s[18:19]
; %bb.756:
	s_mov_b32 s20, 0x46800000
	v_add_f32_e64 v3, |v2|, s20
; %bb.757:
	s_or_b64 exec, exec, s[18:19]
                                        ; implicit-def: $vgpr5
.LBB16_758:
	s_andn2_saveexec_b64 s[16:17], s[16:17]
; %bb.759:
	s_mov_b32 s18, 0x7f800000
	v_mov_b32_e32 v3, 0x7e
	v_mov_b32_e32 v6, 0x7f
	v_cmp_lt_u32_e32 vcc, s18, v5
	v_cndmask_b32_e32 v3, v3, v6, vcc
; %bb.760:
	s_or_b64 exec, exec, s[16:17]
	v_lshrrev_b32_e32 v5, 24, v2
	s_movk_i32 s16, 0x80
	v_and_or_b32 v3, v5, s16, v3
	global_store_byte v[0:1], v3, off
.LBB16_761:
	s_mov_b64 s[16:17], 0
.LBB16_762:
	s_andn2_b64 vcc, exec, s[16:17]
	s_cbranch_vccnz .LBB16_772
; %bb.763:
	v_and_b32_e32 v5, 0x7fffffff, v2
	s_mov_b32 s16, 0x47800000
	v_cmp_gt_u32_e32 vcc, s16, v5
                                        ; implicit-def: $vgpr3
	s_and_saveexec_b64 s[16:17], vcc
	s_xor_b64 s[16:17], exec, s[16:17]
	s_cbranch_execz .LBB16_769
; %bb.764:
	s_mov_b32 s18, 0x387fffff
	v_cmp_lt_u32_e32 vcc, s18, v5
                                        ; implicit-def: $vgpr3
	s_and_saveexec_b64 s[18:19], vcc
	s_xor_b64 s[18:19], exec, s[18:19]
; %bb.765:
	v_bfe_u32 v3, v2, 21, 1
	s_mov_b32 s20, 0x80fffff
	v_add3_u32 v3, v2, v3, s20
	v_lshrrev_b32_e32 v3, 21, v3
; %bb.766:
	s_andn2_saveexec_b64 s[18:19], s[18:19]
; %bb.767:
	s_mov_b32 s20, 0x43000000
	v_add_f32_e64 v3, |v2|, s20
; %bb.768:
	s_or_b64 exec, exec, s[18:19]
                                        ; implicit-def: $vgpr5
.LBB16_769:
	s_andn2_saveexec_b64 s[16:17], s[16:17]
; %bb.770:
	s_mov_b32 s18, 0x7f800000
	v_mov_b32_e32 v3, 0x7c
	v_mov_b32_e32 v6, 0x7f
	v_cmp_lt_u32_e32 vcc, s18, v5
	v_cndmask_b32_e32 v3, v3, v6, vcc
; %bb.771:
	s_or_b64 exec, exec, s[16:17]
	v_lshrrev_b32_e32 v5, 24, v2
	s_movk_i32 s16, 0x80
	v_and_or_b32 v3, v5, s16, v3
	global_store_byte v[0:1], v3, off
.LBB16_772:
	s_mov_b64 s[18:19], 0
	s_mov_b64 s[16:17], -1
.LBB16_773:
	s_andn2_b64 vcc, exec, s[18:19]
	s_cbranch_vccnz .LBB16_781
; %bb.774:
	v_mov_b32_e32 v3, 14
	v_cmp_gt_i16_sdwa s[20:21], s79, v3 src0_sel:BYTE_0 src1_sel:DWORD
	s_mov_b64 s[18:19], -1
	s_and_b64 vcc, exec, s[20:21]
	s_cbranch_vccz .LBB16_778
; %bb.775:
	v_mov_b32_e32 v3, 15
	v_cmp_eq_u16_sdwa s[18:19], s79, v3 src0_sel:BYTE_0 src1_sel:DWORD
	s_mov_b64 s[0:1], -1
	s_and_b64 vcc, exec, s[18:19]
	s_cbranch_vccz .LBB16_777
; %bb.776:
	v_bfe_u32 v3, v2, 16, 1
	s_movk_i32 s0, 0x7fff
	v_add3_u32 v3, v2, v3, s0
	v_lshrrev_b32_e32 v3, 16, v3
	v_mov_b32_e32 v5, 0x7fc0
	v_cmp_o_f32_e32 vcc, v2, v2
	v_cndmask_b32_e32 v3, v5, v3, vcc
	global_store_short v[0:1], v3, off
	s_mov_b64 s[16:17], -1
	s_mov_b64 s[0:1], 0
.LBB16_777:
	s_mov_b64 s[18:19], 0
.LBB16_778:
	s_and_b64 vcc, exec, s[18:19]
	s_cbranch_vccz .LBB16_781
; %bb.779:
	v_mov_b32_e32 v3, 11
	v_cmp_eq_u16_sdwa s[18:19], s79, v3 src0_sel:BYTE_0 src1_sel:DWORD
	s_mov_b64 s[0:1], -1
	s_and_b64 vcc, exec, s[18:19]
	s_cbranch_vccz .LBB16_781
; %bb.780:
	v_cmp_neq_f32_e32 vcc, 0, v2
	v_cndmask_b32_e64 v3, 0, 1, vcc
	s_mov_b64 s[16:17], -1
	s_mov_b64 s[0:1], 0
	global_store_byte v[0:1], v3, off
.LBB16_781:
	s_mov_b64 s[18:19], 0
.LBB16_782:
	s_and_b64 vcc, exec, s[18:19]
	s_cbranch_vccz .LBB16_821
; %bb.783:
	v_mov_b32_e32 v3, 5
	v_cmp_lt_i16_sdwa s[18:19], s79, v3 src0_sel:BYTE_0 src1_sel:DWORD
	s_mov_b64 s[16:17], -1
	s_and_b64 vcc, exec, s[18:19]
	s_cbranch_vccnz .LBB16_804
; %bb.784:
	v_mov_b32_e32 v3, 8
	v_cmp_lt_i16_sdwa s[18:19], s79, v3 src0_sel:BYTE_0 src1_sel:DWORD
	s_and_b64 vcc, exec, s[18:19]
	s_cbranch_vccnz .LBB16_794
; %bb.785:
	v_mov_b32_e32 v3, 9
	v_cmp_lt_i16_sdwa s[18:19], s79, v3 src0_sel:BYTE_0 src1_sel:DWORD
	s_and_b64 vcc, exec, s[18:19]
	s_cbranch_vccnz .LBB16_791
; %bb.786:
	v_cmp_gt_i16_sdwa s[18:19], s79, v3 src0_sel:BYTE_0 src1_sel:DWORD
	s_and_b64 vcc, exec, s[18:19]
	s_cbranch_vccz .LBB16_788
; %bb.787:
	v_mov_b32_e32 v12, 0
	v_cvt_f64_f32_e32 v[10:11], v2
	v_mov_b32_e32 v13, v12
	s_mov_b64 s[16:17], 0
	global_store_dwordx4 v[0:1], v[10:13], off
.LBB16_788:
	s_andn2_b64 vcc, exec, s[16:17]
	s_cbranch_vccnz .LBB16_790
; %bb.789:
	v_mov_b32_e32 v3, 0
	global_store_dwordx2 v[0:1], v[2:3], off
.LBB16_790:
	s_mov_b64 s[16:17], 0
.LBB16_791:
	s_andn2_b64 vcc, exec, s[16:17]
	s_cbranch_vccnz .LBB16_793
; %bb.792:
	v_cvt_f16_f32_e32 v3, v2
	global_store_dword v[0:1], v3, off
.LBB16_793:
	s_mov_b64 s[16:17], 0
.LBB16_794:
	s_andn2_b64 vcc, exec, s[16:17]
	s_cbranch_vccnz .LBB16_803
; %bb.795:
	v_mov_b32_e32 v3, 6
	v_cmp_lt_i16_sdwa s[18:19], s79, v3 src0_sel:BYTE_0 src1_sel:DWORD
	s_mov_b64 s[16:17], -1
	s_and_b64 vcc, exec, s[18:19]
	s_cbranch_vccnz .LBB16_801
; %bb.796:
	v_cmp_gt_i16_sdwa s[18:19], s79, v3 src0_sel:BYTE_0 src1_sel:DWORD
	s_and_b64 vcc, exec, s[18:19]
	s_cbranch_vccz .LBB16_798
; %bb.797:
	v_cvt_f64_f32_e32 v[6:7], v2
	s_mov_b64 s[16:17], 0
	global_store_dwordx2 v[0:1], v[6:7], off
.LBB16_798:
	s_andn2_b64 vcc, exec, s[16:17]
	s_cbranch_vccnz .LBB16_800
; %bb.799:
	global_store_dword v[0:1], v2, off
.LBB16_800:
	s_mov_b64 s[16:17], 0
.LBB16_801:
	s_andn2_b64 vcc, exec, s[16:17]
	s_cbranch_vccnz .LBB16_803
; %bb.802:
	v_cvt_f16_f32_e32 v3, v2
	global_store_short v[0:1], v3, off
.LBB16_803:
	s_mov_b64 s[16:17], 0
.LBB16_804:
	s_andn2_b64 vcc, exec, s[16:17]
	s_cbranch_vccnz .LBB16_820
; %bb.805:
	v_mov_b32_e32 v3, 2
	v_cmp_lt_i16_sdwa s[18:19], s79, v3 src0_sel:BYTE_0 src1_sel:DWORD
	s_mov_b64 s[16:17], -1
	s_and_b64 vcc, exec, s[18:19]
	s_cbranch_vccnz .LBB16_815
; %bb.806:
	v_mov_b32_e32 v3, 3
	v_cmp_lt_i16_sdwa s[18:19], s79, v3 src0_sel:BYTE_0 src1_sel:DWORD
	s_and_b64 vcc, exec, s[18:19]
	s_cbranch_vccnz .LBB16_812
; %bb.807:
	v_cmp_gt_i16_sdwa s[18:19], s79, v3 src0_sel:BYTE_0 src1_sel:DWORD
	s_and_b64 vcc, exec, s[18:19]
	s_cbranch_vccz .LBB16_809
; %bb.808:
	v_trunc_f32_e32 v3, v2
	s_mov_b32 s16, 0x2f800000
	v_mul_f32_e64 v5, |v3|, s16
	v_floor_f32_e32 v5, v5
	s_mov_b32 s16, 0xcf800000
	v_cvt_u32_f32_e32 v6, v5
	v_fma_f32 v5, v5, s16, |v3|
	v_cvt_u32_f32_e32 v5, v5
	v_ashrrev_i32_e32 v3, 31, v3
	v_xor_b32_e32 v7, v6, v3
	s_mov_b64 s[16:17], 0
	v_xor_b32_e32 v5, v5, v3
	v_sub_co_u32_e32 v6, vcc, v5, v3
	v_subb_co_u32_e32 v7, vcc, v7, v3, vcc
	global_store_dwordx2 v[0:1], v[6:7], off
.LBB16_809:
	s_andn2_b64 vcc, exec, s[16:17]
	s_cbranch_vccnz .LBB16_811
; %bb.810:
	v_cvt_i32_f32_e32 v3, v2
	global_store_dword v[0:1], v3, off
.LBB16_811:
	s_mov_b64 s[16:17], 0
.LBB16_812:
	s_andn2_b64 vcc, exec, s[16:17]
	s_cbranch_vccnz .LBB16_814
; %bb.813:
	v_cvt_i32_f32_e32 v3, v2
	global_store_short v[0:1], v3, off
.LBB16_814:
	s_mov_b64 s[16:17], 0
.LBB16_815:
	s_andn2_b64 vcc, exec, s[16:17]
	s_cbranch_vccnz .LBB16_820
; %bb.816:
	v_mov_b32_e32 v3, 0
	v_cmp_gt_i16_sdwa s[18:19], s79, v3 src0_sel:BYTE_0 src1_sel:DWORD
	s_mov_b64 s[16:17], -1
	s_and_b64 vcc, exec, s[18:19]
	s_cbranch_vccz .LBB16_818
; %bb.817:
	v_cvt_i32_f32_e32 v3, v2
	s_mov_b64 s[16:17], 0
	global_store_byte v[0:1], v3, off
.LBB16_818:
	s_andn2_b64 vcc, exec, s[16:17]
	s_cbranch_vccnz .LBB16_820
; %bb.819:
	v_trunc_f32_e32 v2, v2
	s_mov_b32 s16, 0x2f800000
	v_mul_f32_e64 v3, |v2|, s16
	v_floor_f32_e32 v3, v3
	s_mov_b32 s16, 0xcf800000
	v_fma_f32 v3, v3, s16, |v2|
	v_cvt_u32_f32_e32 v3, v3
	v_ashrrev_i32_e32 v2, 31, v2
	v_xor_b32_e32 v3, v3, v2
	v_sub_u32_e32 v2, v3, v2
	global_store_byte v[0:1], v2, off
.LBB16_820:
	s_mov_b64 s[16:17], -1
.LBB16_821:
	s_andn2_b64 vcc, exec, s[16:17]
	s_cbranch_vccnz .LBB16_823
; %bb.822:
	v_add_u32_e32 v8, 0x80, v8
	s_mov_b64 s[16:17], -1
	s_branch .LBB16_825
.LBB16_823:
	s_mov_b64 s[16:17], 0
.LBB16_824:
                                        ; implicit-def: $vgpr8
.LBB16_825:
	s_andn2_b64 s[18:19], s[64:65], exec
	s_and_b64 s[0:1], s[0:1], exec
	s_or_b64 s[72:73], s[18:19], s[0:1]
	s_andn2_b64 s[0:1], s[62:63], exec
	s_and_b64 s[2:3], s[2:3], exec
	s_or_b64 s[70:71], s[0:1], s[2:3]
	s_orn2_b64 s[2:3], s[16:17], exec
.LBB16_826:
	s_or_b64 exec, exec, s[68:69]
	s_mov_b64 s[0:1], 0
	s_mov_b64 s[16:17], 0
	;; [unrolled: 1-line block ×3, first 2 shown]
                                        ; implicit-def: $vgpr2_vgpr3
                                        ; implicit-def: $vgpr0
                                        ; implicit-def: $vgpr5
	s_and_saveexec_b64 s[68:69], s[2:3]
	s_cbranch_execz .LBB16_926
; %bb.827:
	v_cmp_gt_i32_e32 vcc, s76, v8
	s_mov_b64 s[2:3], 0
	s_mov_b64 s[20:21], s[70:71]
                                        ; implicit-def: $vgpr2_vgpr3
                                        ; implicit-def: $vgpr0
                                        ; implicit-def: $vgpr5
	s_and_saveexec_b64 s[74:75], vcc
	s_cbranch_execz .LBB16_925
; %bb.828:
	s_andn2_b64 vcc, exec, s[44:45]
	s_cbranch_vccnz .LBB16_834
; %bb.829:
	s_mov_b32 s76, 0
	s_andn2_b64 vcc, exec, s[54:55]
	v_mov_b32_e32 v2, 0
	v_mov_b32_e32 v0, 0
	s_cbranch_vccnz .LBB16_840
; %bb.830:
	s_add_i32 s80, s77, 1
	s_cmp_eq_u32 s78, 2
	s_cbranch_scc1 .LBB16_835
; %bb.831:
	s_and_b32 s76, s80, 28
	s_mov_b32 s77, 0
	v_mov_b32_e32 v0, 0
	s_mov_b64 s[54:55], s[34:35]
	v_mov_b32_e32 v3, v8
	v_mov_b32_e32 v2, 0
.LBB16_832:                             ; =>This Inner Loop Header: Depth=1
	s_load_dwordx8 s[24:31], s[54:55], 0x4
	s_load_dwordx4 s[0:3], s[54:55], 0x24
	s_load_dwordx8 s[16:23], s[52:53], 0x0
	s_add_u32 s54, s54, 48
	s_addc_u32 s55, s55, 0
	s_waitcnt lgkmcnt(0)
	v_mul_hi_u32 v1, s25, v3
	v_add_u32_e32 v1, v3, v1
	v_lshrrev_b32_e32 v1, s26, v1
	s_waitcnt vmcnt(0)
	v_mul_lo_u32 v5, v1, s24
	v_mul_hi_u32 v6, s28, v1
	v_sub_u32_e32 v3, v3, v5
	v_add_u32_e32 v5, v1, v6
	v_lshrrev_b32_e32 v5, s29, v5
	v_mul_lo_u32 v7, v5, s27
	v_mul_hi_u32 v9, s31, v5
	v_sub_u32_e32 v1, v1, v7
	v_add_u32_e32 v7, v5, v9
	v_mul_lo_u32 v6, v3, s17
	v_mul_lo_u32 v3, v3, s16
	;; [unrolled: 1-line block ×4, first 2 shown]
	v_lshrrev_b32_e32 v7, s0, v7
	v_add3_u32 v0, v3, v0, v1
	v_mul_hi_u32 v3, s2, v7
	v_add_u32_e32 v3, v7, v3
	v_lshrrev_b32_e32 v3, s3, v3
	s_add_i32 s77, s77, 4
	v_add3_u32 v1, v6, v2, v9
	v_mul_lo_u32 v2, v7, s30
	v_mul_lo_u32 v6, v3, s1
	s_add_u32 s52, s52, 32
	v_sub_u32_e32 v2, v5, v2
	v_sub_u32_e32 v6, v7, v6
	s_addc_u32 s53, s53, 0
	v_mul_lo_u32 v5, v2, s20
	v_mul_lo_u32 v2, v2, s21
	;; [unrolled: 1-line block ×4, first 2 shown]
	s_cmp_eq_u32 s76, s77
	v_add3_u32 v2, v2, v1, v6
	v_add3_u32 v0, v5, v0, v7
	s_cbranch_scc0 .LBB16_832
; %bb.833:
	v_mov_b32_e32 v1, v2
	s_branch .LBB16_836
.LBB16_834:
	s_mov_b64 s[0:1], -1
                                        ; implicit-def: $vgpr2
                                        ; implicit-def: $vgpr0
	s_branch .LBB16_841
.LBB16_835:
	s_mov_b32 s77, s76
	v_pk_mov_b32 v[0:1], s[76:77], s[76:77] op_sel:[0,1]
                                        ; implicit-def: $vgpr2
	v_mov_b32_e32 v3, v8
.LBB16_836:
	s_and_b32 s16, s80, 3
	s_cmp_eq_u32 s16, 0
	s_cbranch_scc1 .LBB16_840
; %bb.837:
	s_lshl_b32 s0, s76, 3
	s_add_u32 s0, s0, s34
	s_addc_u32 s1, s35, 0
	s_add_u32 s0, s0, 0xc4
	s_addc_u32 s1, s1, 0
	s_mul_i32 s2, s76, 12
	s_add_u32 s2, s34, s2
	s_addc_u32 s3, s35, 0
.LBB16_838:                             ; =>This Inner Loop Header: Depth=1
	s_load_dwordx2 s[18:19], s[2:3], 0x4
	s_load_dword s17, s[2:3], 0xc
	s_load_dwordx2 s[20:21], s[0:1], 0x0
	v_mov_b32_e32 v2, v1
	s_add_u32 s2, s2, 12
	s_waitcnt lgkmcnt(0)
	v_mul_hi_u32 v1, s19, v3
	v_add_u32_e32 v1, v3, v1
	v_lshrrev_b32_e32 v1, s17, v1
	s_addc_u32 s3, s3, 0
	s_waitcnt vmcnt(0)
	v_mul_lo_u32 v5, v1, s18
	s_add_u32 s0, s0, 8
	v_sub_u32_e32 v5, v3, v5
	v_mov_b32_e32 v3, v1
	s_addc_u32 s1, s1, 0
	s_add_i32 s16, s16, -1
	v_mad_u64_u32 v[6:7], s[18:19], v5, s21, v[2:3]
	v_mad_u64_u32 v[0:1], s[18:19], v5, s20, v[0:1]
	s_cmp_lg_u32 s16, 0
	v_mov_b32_e32 v1, v6
	s_cbranch_scc1 .LBB16_838
; %bb.839:
	v_mov_b32_e32 v2, v1
.LBB16_840:
	s_mov_b64 s[0:1], 0
.LBB16_841:
	s_andn2_b64 vcc, exec, s[0:1]
	s_cbranch_vccnz .LBB16_844
; %bb.842:
	v_mul_hi_u32 v0, s37, v8
	v_add_u32_e32 v0, v8, v0
	v_lshrrev_b32_e32 v1, s38, v0
	v_mul_lo_u32 v0, v1, s36
	v_sub_u32_e32 v0, v8, v0
	v_mul_lo_u32 v2, v0, s41
	s_andn2_b64 vcc, exec, s[50:51]
	v_mul_lo_u32 v0, v0, s40
	s_cbranch_vccnz .LBB16_844
; %bb.843:
	v_mul_hi_u32 v3, s48, v1
	v_add_u32_e32 v3, v1, v3
	v_lshrrev_b32_e32 v3, s49, v3
	v_mul_lo_u32 v3, v3, s39
	v_sub_u32_e32 v3, v1, v3
	v_mad_u64_u32 v[0:1], s[0:1], v3, s42, v[0:1]
	v_mad_u64_u32 v[2:3], s[0:1], v3, s43, v[2:3]
.LBB16_844:
	v_mov_b32_e32 v1, s11
	v_add_co_u32_e32 v2, vcc, s10, v2
	v_addc_co_u32_e32 v3, vcc, 0, v1, vcc
	v_cmp_gt_i16_e32 vcc, 11, v4
	s_cbranch_vccnz .LBB16_851
; %bb.845:
	v_cmp_lt_i16_e32 vcc, 25, v4
	s_mov_b64 s[2:3], 0
	s_cbranch_vccz .LBB16_852
; %bb.846:
	v_cmp_lt_i16_e32 vcc, 28, v4
	s_cbranch_vccz .LBB16_853
; %bb.847:
	v_cmp_lt_i16_e32 vcc, 43, v4
	s_cbranch_vccz .LBB16_854
; %bb.848:
	v_cmp_lt_i16_e32 vcc, 45, v4
	s_cbranch_vccz .LBB16_857
; %bb.849:
	v_cmp_eq_u16_e32 vcc, 46, v4
	s_mov_b64 s[16:17], 0
	s_cbranch_vccz .LBB16_860
; %bb.850:
	global_load_dword v1, v[2:3], off
	s_mov_b64 s[0:1], 0
	s_mov_b64 s[10:11], -1
	s_waitcnt vmcnt(0)
	v_lshlrev_b32_e32 v5, 16, v1
	s_branch .LBB16_861
.LBB16_851:
	s_mov_b64 s[16:17], -1
	s_mov_b64 s[10:11], 0
	s_mov_b64 s[2:3], 0
	;; [unrolled: 1-line block ×3, first 2 shown]
                                        ; implicit-def: $vgpr5
	s_branch .LBB16_924
.LBB16_852:
	s_mov_b64 s[16:17], -1
	s_mov_b64 s[10:11], 0
	s_mov_b64 s[0:1], s[70:71]
                                        ; implicit-def: $vgpr5
	s_branch .LBB16_890
.LBB16_853:
	s_mov_b64 s[16:17], -1
	s_mov_b64 s[10:11], 0
	s_mov_b64 s[0:1], s[70:71]
                                        ; implicit-def: $vgpr5
	s_branch .LBB16_871
.LBB16_854:
	s_mov_b64 s[16:17], -1
	s_mov_b64 s[10:11], 0
	s_mov_b64 s[0:1], s[70:71]
                                        ; implicit-def: $vgpr5
	s_branch .LBB16_866
.LBB16_855:
	s_or_saveexec_b64 s[20:21], s[20:21]
                                        ; implicit-def: $sgpr22
	s_xor_b64 exec, exec, s[20:21]
	s_cbranch_execz .LBB16_734
.LBB16_856:
	s_mov_b32 s22, 0x46000000
	v_add_f32_e64 v3, |v2|, s22
	v_and_b32_e32 v3, 0xff, v3
	v_cmp_ne_u32_e32 vcc, 0, v3
	s_andn2_b64 s[18:19], s[18:19], exec
	s_and_b64 s[24:25], vcc, exec
	s_mov_b32 s22, 0
	s_or_b64 s[18:19], s[18:19], s[24:25]
	s_or_b64 exec, exec, s[20:21]
	v_mov_b32_e32 v5, s22
	s_and_saveexec_b64 s[20:21], s[18:19]
	s_cbranch_execnz .LBB16_735
	s_branch .LBB16_736
.LBB16_857:
	s_mov_b64 s[16:17], -1
	s_mov_b64 s[10:11], 0
	s_mov_b64 s[0:1], s[70:71]
                                        ; implicit-def: $vgpr5
	s_branch .LBB16_861
.LBB16_858:
	s_or_saveexec_b64 s[20:21], s[20:21]
                                        ; implicit-def: $sgpr22
	s_xor_b64 exec, exec, s[20:21]
	s_cbranch_execz .LBB16_747
.LBB16_859:
	s_mov_b32 s22, 0x42800000
	v_add_f32_e64 v3, |v2|, s22
	v_and_b32_e32 v3, 0xff, v3
	v_cmp_ne_u32_e32 vcc, 0, v3
	s_andn2_b64 s[18:19], s[18:19], exec
	s_and_b64 s[24:25], vcc, exec
	s_mov_b32 s22, 0
	s_or_b64 s[18:19], s[18:19], s[24:25]
	s_or_b64 exec, exec, s[20:21]
	v_mov_b32_e32 v5, s22
	s_and_saveexec_b64 s[20:21], s[18:19]
	s_cbranch_execnz .LBB16_748
	s_branch .LBB16_749
.LBB16_860:
	s_mov_b64 s[0:1], -1
                                        ; implicit-def: $vgpr5
	s_mov_b64 s[10:11], 0
.LBB16_861:
	s_and_b64 vcc, exec, s[16:17]
	s_cbranch_vccz .LBB16_865
; %bb.862:
	v_cmp_eq_u16_e32 vcc, 44, v4
	s_cbranch_vccz .LBB16_864
; %bb.863:
	global_load_ubyte v1, v[2:3], off
	s_movk_i32 s10, 0xff
	s_waitcnt vmcnt(1)
	v_mov_b32_e32 v5, 0x7f800001
	v_mov_b32_e32 v6, 0x400000
	s_mov_b64 s[0:1], 0
	s_waitcnt vmcnt(0)
	v_lshlrev_b32_e32 v7, 23, v1
	v_cmp_ne_u32_e32 vcc, s10, v1
	v_cndmask_b32_e32 v5, v5, v7, vcc
	v_cmp_ne_u32_e32 vcc, 0, v1
	v_cndmask_b32_e32 v5, v6, v5, vcc
	s_mov_b64 s[10:11], -1
	s_branch .LBB16_865
.LBB16_864:
	s_mov_b64 s[0:1], -1
                                        ; implicit-def: $vgpr5
.LBB16_865:
	s_mov_b64 s[16:17], 0
.LBB16_866:
	s_and_b64 vcc, exec, s[16:17]
	s_cbranch_vccz .LBB16_870
; %bb.867:
	v_cmp_eq_u16_e32 vcc, 29, v4
	s_cbranch_vccz .LBB16_869
; %bb.868:
	global_load_dwordx2 v[6:7], v[2:3], off
	s_mov_b64 s[0:1], 0
	s_mov_b64 s[10:11], -1
	s_mov_b64 s[16:17], 0
	s_waitcnt vmcnt(0)
	v_ffbh_u32_e32 v1, v7
	v_min_u32_e32 v1, 32, v1
	v_lshlrev_b64 v[6:7], v1, v[6:7]
	v_min_u32_e32 v5, 1, v6
	v_or_b32_e32 v5, v7, v5
	v_cvt_f32_u32_e32 v5, v5
	v_sub_u32_e32 v1, 32, v1
	v_ldexp_f32 v5, v5, v1
	s_branch .LBB16_871
.LBB16_869:
	s_mov_b64 s[0:1], -1
                                        ; implicit-def: $vgpr5
.LBB16_870:
	s_mov_b64 s[16:17], 0
.LBB16_871:
	s_and_b64 vcc, exec, s[16:17]
	s_cbranch_vccz .LBB16_889
; %bb.872:
	v_cmp_gt_i16_e32 vcc, 27, v4
	s_cbranch_vccnz .LBB16_875
; %bb.873:
	v_cmp_lt_i16_e32 vcc, 27, v4
	s_cbranch_vccz .LBB16_876
; %bb.874:
	global_load_dword v1, v[2:3], off
	s_mov_b64 s[10:11], 0
	s_waitcnt vmcnt(0)
	v_cvt_f32_u32_e32 v5, v1
	s_branch .LBB16_877
.LBB16_875:
	s_mov_b64 s[10:11], -1
                                        ; implicit-def: $vgpr5
	s_branch .LBB16_880
.LBB16_876:
	s_mov_b64 s[10:11], -1
                                        ; implicit-def: $vgpr5
.LBB16_877:
	s_andn2_b64 vcc, exec, s[10:11]
	s_cbranch_vccnz .LBB16_879
; %bb.878:
	global_load_ushort v1, v[2:3], off
	s_waitcnt vmcnt(0)
	v_cvt_f32_u32_e32 v5, v1
.LBB16_879:
	s_mov_b64 s[10:11], 0
.LBB16_880:
	s_andn2_b64 vcc, exec, s[10:11]
	s_cbranch_vccnz .LBB16_888
; %bb.881:
	global_load_ubyte v1, v[2:3], off
	s_movk_i32 s10, 0x7f
                                        ; implicit-def: $sgpr20
	s_waitcnt vmcnt(0)
	v_cmp_lt_i16_e32 vcc, s10, v1
	s_mov_b64 s[10:11], 0
	s_and_saveexec_b64 s[16:17], vcc
	s_xor_b64 s[16:17], exec, s[16:17]
	s_cbranch_execz .LBB16_902
; %bb.882:
	s_movk_i32 s10, 0x80
	v_cmp_eq_u16_e32 vcc, s10, v1
	s_mov_b64 s[10:11], -1
                                        ; implicit-def: $sgpr20
	s_and_saveexec_b64 s[18:19], vcc
; %bb.883:
	s_mov_b32 s20, 0x7f800001
	s_xor_b64 s[10:11], exec, -1
; %bb.884:
	s_or_b64 exec, exec, s[18:19]
	s_and_b64 s[10:11], s[10:11], exec
	s_or_saveexec_b64 s[16:17], s[16:17]
	v_mov_b32_e32 v5, s20
	s_xor_b64 exec, exec, s[16:17]
	s_cbranch_execnz .LBB16_903
.LBB16_885:
	s_or_b64 exec, exec, s[16:17]
	s_and_saveexec_b64 s[16:17], s[10:11]
	s_cbranch_execz .LBB16_887
.LBB16_886:
	v_lshlrev_b32_e32 v5, 24, v1
	v_and_b32_e32 v1, 0xffff, v1
	v_and_b32_e32 v6, 7, v1
	v_ffbh_u32_e32 v8, v6
	v_min_u32_e32 v8, 32, v8
	v_subrev_u32_e32 v9, 28, v8
	v_bfe_u32 v7, v1, 3, 4
	v_lshlrev_b32_e32 v1, v9, v1
	v_sub_u32_e32 v8, 29, v8
	v_and_b32_e32 v1, 7, v1
	v_cmp_eq_u32_e32 vcc, 0, v7
	v_cndmask_b32_e32 v7, v7, v8, vcc
	v_cndmask_b32_e32 v1, v6, v1, vcc
	v_mov_b32_e32 v6, 0x3b800000
	v_lshlrev_b32_e32 v1, 20, v1
	v_and_b32_e32 v5, 0x80000000, v5
	v_lshl_add_u32 v6, v7, 23, v6
	v_or3_b32 v5, v5, v6, v1
.LBB16_887:
	s_or_b64 exec, exec, s[16:17]
.LBB16_888:
	s_mov_b64 s[10:11], -1
.LBB16_889:
	s_mov_b64 s[16:17], 0
.LBB16_890:
	s_and_b64 vcc, exec, s[16:17]
	s_cbranch_vccz .LBB16_923
; %bb.891:
	v_cmp_lt_i16_e32 vcc, 22, v4
	s_cbranch_vccz .LBB16_901
; %bb.892:
	v_cmp_gt_i16_e32 vcc, 24, v4
	s_cbranch_vccnz .LBB16_904
; %bb.893:
	v_cmp_lt_i16_e32 vcc, 24, v4
	s_cbranch_vccz .LBB16_905
; %bb.894:
	global_load_ubyte v1, v[2:3], off
	s_movk_i32 s2, 0x7f
                                        ; implicit-def: $sgpr18
	s_waitcnt vmcnt(0)
	v_cmp_lt_i16_e32 vcc, s2, v1
	s_mov_b64 s[2:3], 0
	s_and_saveexec_b64 s[10:11], vcc
	s_xor_b64 s[10:11], exec, s[10:11]
	s_cbranch_execz .LBB16_917
; %bb.895:
	s_movk_i32 s2, 0x80
	v_cmp_eq_u16_e32 vcc, s2, v1
	s_mov_b64 s[2:3], -1
                                        ; implicit-def: $sgpr18
	s_and_saveexec_b64 s[16:17], vcc
; %bb.896:
	s_mov_b32 s18, 0x7f800001
	s_xor_b64 s[2:3], exec, -1
; %bb.897:
	s_or_b64 exec, exec, s[16:17]
	s_and_b64 s[2:3], s[2:3], exec
	s_or_saveexec_b64 s[10:11], s[10:11]
	v_mov_b32_e32 v5, s18
	s_xor_b64 exec, exec, s[10:11]
	s_cbranch_execnz .LBB16_918
.LBB16_898:
	s_or_b64 exec, exec, s[10:11]
	s_and_saveexec_b64 s[10:11], s[2:3]
	s_cbranch_execz .LBB16_900
.LBB16_899:
	v_lshlrev_b32_e32 v5, 24, v1
	v_and_b32_e32 v1, 0xffff, v1
	v_and_b32_e32 v6, 3, v1
	v_ffbh_u32_e32 v8, v6
	v_min_u32_e32 v8, 32, v8
	v_subrev_u32_e32 v9, 29, v8
	v_bfe_u32 v7, v1, 2, 5
	v_lshlrev_b32_e32 v1, v9, v1
	v_sub_u32_e32 v8, 30, v8
	v_and_b32_e32 v1, 3, v1
	v_cmp_eq_u32_e32 vcc, 0, v7
	v_cndmask_b32_e32 v7, v7, v8, vcc
	v_cndmask_b32_e32 v1, v6, v1, vcc
	v_mov_b32_e32 v6, 0x37800000
	v_lshlrev_b32_e32 v1, 21, v1
	v_and_b32_e32 v5, 0x80000000, v5
	v_lshl_add_u32 v6, v7, 23, v6
	v_or3_b32 v5, v5, v6, v1
.LBB16_900:
	s_or_b64 exec, exec, s[10:11]
	s_mov_b64 s[2:3], 0
	s_branch .LBB16_906
.LBB16_901:
	s_mov_b64 s[2:3], -1
                                        ; implicit-def: $vgpr5
	s_branch .LBB16_912
.LBB16_902:
	s_or_saveexec_b64 s[16:17], s[16:17]
	v_mov_b32_e32 v5, s20
	s_xor_b64 exec, exec, s[16:17]
	s_cbranch_execz .LBB16_885
.LBB16_903:
	v_cmp_ne_u16_e32 vcc, 0, v1
	s_andn2_b64 s[10:11], s[10:11], exec
	s_and_b64 s[18:19], vcc, exec
	v_mov_b32_e32 v5, 0
	s_or_b64 s[10:11], s[10:11], s[18:19]
	s_or_b64 exec, exec, s[16:17]
	s_and_saveexec_b64 s[16:17], s[10:11]
	s_cbranch_execnz .LBB16_886
	s_branch .LBB16_887
.LBB16_904:
	s_mov_b64 s[2:3], -1
                                        ; implicit-def: $vgpr5
	s_branch .LBB16_909
.LBB16_905:
	s_mov_b64 s[2:3], -1
                                        ; implicit-def: $vgpr5
.LBB16_906:
	s_and_b64 vcc, exec, s[2:3]
	s_cbranch_vccz .LBB16_908
; %bb.907:
	global_load_ubyte v1, v[2:3], off
	s_mov_b32 s2, 0x7f800000
	s_waitcnt vmcnt(0)
	v_lshlrev_b32_e32 v1, 24, v1
	v_and_b32_e32 v5, 0x7f000000, v1
	v_ffbh_u32_e32 v6, v5
	v_min_u32_e32 v6, 32, v6
	v_sub_u32_e64 v6, v6, 4 clamp
	v_lshlrev_b32_e32 v8, v6, v5
	v_lshlrev_b32_e32 v6, 23, v6
	v_lshrrev_b32_e32 v8, 4, v8
	v_add_u32_e32 v7, 0x1000000, v5
	v_sub_u32_e32 v6, v8, v6
	v_ashrrev_i32_e32 v7, 8, v7
	v_add_u32_e32 v6, 0x3c000000, v6
	v_and_or_b32 v6, v7, s2, v6
	v_cmp_ne_u32_e32 vcc, 0, v5
	v_cndmask_b32_e32 v5, 0, v6, vcc
	s_brev_b32 s2, 1
	v_and_or_b32 v5, v1, s2, v5
.LBB16_908:
	s_mov_b64 s[2:3], 0
.LBB16_909:
	s_andn2_b64 vcc, exec, s[2:3]
	s_cbranch_vccnz .LBB16_911
; %bb.910:
	global_load_ubyte v1, v[2:3], off
	s_movk_i32 s2, 0x7f00
	s_brev_b32 s3, 16
	s_waitcnt vmcnt(0)
	v_lshlrev_b16_e32 v5, 8, v1
	v_lshlrev_b32_e32 v1, 25, v1
	v_lshrrev_b32_e32 v6, 4, v1
	v_and_or_b32 v7, v5, s2, 0.5
	v_or_b32_e32 v6, 0x70000000, v6
	v_add_f32_e32 v7, -0.5, v7
	v_mul_f32_e32 v6, 0x7800000, v6
	v_cmp_gt_u32_e32 vcc, s3, v1
	v_bfe_i32 v5, v5, 0, 16
	v_cndmask_b32_e32 v1, v6, v7, vcc
	s_brev_b32 s2, 1
	v_and_or_b32 v5, v5, s2, v1
.LBB16_911:
	s_mov_b64 s[2:3], 0
	s_mov_b64 s[10:11], -1
.LBB16_912:
	s_andn2_b64 vcc, exec, s[2:3]
	s_mov_b64 s[2:3], 0
	s_cbranch_vccnz .LBB16_923
; %bb.913:
	v_cmp_lt_i16_e32 vcc, 14, v4
	s_cbranch_vccz .LBB16_916
; %bb.914:
	v_cmp_eq_u16_e32 vcc, 15, v4
	s_cbranch_vccz .LBB16_919
; %bb.915:
	global_load_ushort v1, v[2:3], off
	s_mov_b64 s[0:1], 0
	s_mov_b64 s[10:11], -1
	s_waitcnt vmcnt(0)
	v_lshlrev_b32_e32 v5, 16, v1
	s_branch .LBB16_920
.LBB16_916:
	s_mov_b64 s[16:17], -1
                                        ; implicit-def: $vgpr5
	s_branch .LBB16_921
.LBB16_917:
	s_or_saveexec_b64 s[10:11], s[10:11]
	v_mov_b32_e32 v5, s18
	s_xor_b64 exec, exec, s[10:11]
	s_cbranch_execz .LBB16_898
.LBB16_918:
	v_cmp_ne_u16_e32 vcc, 0, v1
	s_andn2_b64 s[2:3], s[2:3], exec
	s_and_b64 s[16:17], vcc, exec
	v_mov_b32_e32 v5, 0
	s_or_b64 s[2:3], s[2:3], s[16:17]
	s_or_b64 exec, exec, s[10:11]
	s_and_saveexec_b64 s[10:11], s[2:3]
	s_cbranch_execnz .LBB16_899
	s_branch .LBB16_900
.LBB16_919:
	s_mov_b64 s[0:1], -1
                                        ; implicit-def: $vgpr5
.LBB16_920:
	s_mov_b64 s[16:17], 0
.LBB16_921:
	s_and_b64 vcc, exec, s[16:17]
	s_cbranch_vccz .LBB16_923
; %bb.922:
	v_cmp_ne_u16_e32 vcc, 11, v4
	s_andn2_b64 s[0:1], s[0:1], exec
	s_and_b64 s[16:17], vcc, exec
	s_mov_b64 s[2:3], -1
	s_or_b64 s[0:1], s[0:1], s[16:17]
                                        ; implicit-def: $vgpr5
.LBB16_923:
	s_mov_b64 s[16:17], 0
.LBB16_924:
	s_and_b64 s[18:19], s[10:11], exec
	s_andn2_b64 s[10:11], s[70:71], exec
	s_and_b64 s[0:1], s[0:1], exec
	s_and_b64 s[16:17], s[16:17], exec
	;; [unrolled: 1-line block ×3, first 2 shown]
	s_or_b64 s[20:21], s[10:11], s[0:1]
.LBB16_925:
	s_or_b64 exec, exec, s[74:75]
	s_and_b64 s[0:1], s[2:3], exec
	s_andn2_b64 s[2:3], s[70:71], exec
	s_and_b64 s[10:11], s[20:21], exec
	s_and_b64 s[18:19], s[18:19], exec
	;; [unrolled: 1-line block ×3, first 2 shown]
	s_or_b64 s[70:71], s[2:3], s[10:11]
.LBB16_926:
	s_or_b64 exec, exec, s[68:69]
	s_andn2_b64 s[2:3], s[64:65], exec
	s_and_b64 s[10:11], s[72:73], exec
	s_or_b64 s[64:65], s[2:3], s[10:11]
	s_and_b64 s[2:3], s[0:1], exec
	s_andn2_b64 s[0:1], s[62:63], exec
	s_and_b64 s[10:11], s[70:71], exec
	s_and_b64 s[18:19], s[18:19], exec
	;; [unrolled: 1-line block ×3, first 2 shown]
	s_or_b64 s[62:63], s[0:1], s[10:11]
.LBB16_927:
	s_or_b64 exec, exec, s[66:67]
	s_andn2_b64 s[0:1], s[56:57], exec
	s_and_b64 s[10:11], s[64:65], exec
	s_or_b64 s[56:57], s[0:1], s[10:11]
	s_and_b64 s[64:65], s[2:3], exec
	s_andn2_b64 s[2:3], s[58:59], exec
	s_and_b64 s[10:11], s[62:63], exec
	s_and_b64 s[0:1], s[18:19], exec
	;; [unrolled: 1-line block ×3, first 2 shown]
	s_or_b64 s[58:59], s[2:3], s[10:11]
	s_or_b64 exec, exec, s[60:61]
	s_mov_b64 s[2:3], 0
	s_and_saveexec_b64 s[10:11], s[58:59]
	s_cbranch_execz .LBB16_278
.LBB16_928:
	s_mov_b64 s[2:3], exec
	s_andn2_b64 s[64:65], s[64:65], exec
	s_trap 2
                                        ; implicit-def: $vgpr5
	s_or_b64 exec, exec, s[10:11]
	s_and_saveexec_b64 s[10:11], s[64:65]
	s_xor_b64 s[10:11], exec, s[10:11]
	s_cbranch_execnz .LBB16_279
.LBB16_929:
	s_or_b64 exec, exec, s[10:11]
	s_and_saveexec_b64 s[10:11], s[16:17]
	s_cbranch_execz .LBB16_975
.LBB16_930:
	v_cmp_gt_i16_e32 vcc, 5, v4
	s_cbranch_vccnz .LBB16_935
; %bb.931:
	v_cmp_gt_i16_e32 vcc, 8, v4
	s_cbranch_vccnz .LBB16_936
; %bb.932:
	;; [unrolled: 3-line block ×3, first 2 shown]
	v_cmp_lt_i16_e32 vcc, 9, v4
	s_cbranch_vccz .LBB16_938
; %bb.934:
	global_load_dwordx2 v[6:7], v[2:3], off
	s_mov_b64 s[16:17], 0
	s_waitcnt vmcnt(0)
	v_cvt_f32_f64_e32 v5, v[6:7]
	s_branch .LBB16_939
.LBB16_935:
                                        ; implicit-def: $vgpr5
	s_branch .LBB16_956
.LBB16_936:
                                        ; implicit-def: $vgpr5
	s_branch .LBB16_945
.LBB16_937:
	s_mov_b64 s[16:17], -1
                                        ; implicit-def: $vgpr5
	s_branch .LBB16_942
.LBB16_938:
	s_mov_b64 s[16:17], -1
                                        ; implicit-def: $vgpr5
.LBB16_939:
	s_andn2_b64 vcc, exec, s[16:17]
	s_cbranch_vccnz .LBB16_941
; %bb.940:
	global_load_dword v5, v[2:3], off
.LBB16_941:
	s_mov_b64 s[16:17], 0
.LBB16_942:
	s_andn2_b64 vcc, exec, s[16:17]
	s_cbranch_vccnz .LBB16_944
; %bb.943:
	global_load_dword v1, v[2:3], off
	s_waitcnt vmcnt(0)
	v_cvt_f32_f16_e32 v5, v1
.LBB16_944:
	s_cbranch_execnz .LBB16_955
.LBB16_945:
	v_cmp_gt_i16_e32 vcc, 6, v4
	s_cbranch_vccnz .LBB16_948
; %bb.946:
	v_cmp_lt_i16_e32 vcc, 6, v4
	s_cbranch_vccz .LBB16_949
; %bb.947:
	global_load_dwordx2 v[6:7], v[2:3], off
	s_mov_b64 s[16:17], 0
	s_waitcnt vmcnt(0)
	v_cvt_f32_f64_e32 v5, v[6:7]
	s_branch .LBB16_950
.LBB16_948:
	s_mov_b64 s[16:17], -1
                                        ; implicit-def: $vgpr5
	s_branch .LBB16_953
.LBB16_949:
	s_mov_b64 s[16:17], -1
                                        ; implicit-def: $vgpr5
.LBB16_950:
	s_andn2_b64 vcc, exec, s[16:17]
	s_cbranch_vccnz .LBB16_952
; %bb.951:
	global_load_dword v5, v[2:3], off
.LBB16_952:
	s_mov_b64 s[16:17], 0
.LBB16_953:
	s_andn2_b64 vcc, exec, s[16:17]
	s_cbranch_vccnz .LBB16_955
; %bb.954:
	global_load_ushort v1, v[2:3], off
	s_waitcnt vmcnt(0)
	v_cvt_f32_f16_e32 v5, v1
.LBB16_955:
	s_cbranch_execnz .LBB16_974
.LBB16_956:
	v_cmp_gt_i16_e32 vcc, 2, v4
	s_cbranch_vccnz .LBB16_960
; %bb.957:
	v_cmp_gt_i16_e32 vcc, 3, v4
	s_cbranch_vccnz .LBB16_961
; %bb.958:
	v_cmp_lt_i16_e32 vcc, 3, v4
	s_cbranch_vccz .LBB16_962
; %bb.959:
	global_load_dwordx2 v[6:7], v[2:3], off
	s_mov_b64 s[16:17], 0
	s_waitcnt vmcnt(0)
	v_xor_b32_e32 v5, v6, v7
	v_ffbh_i32_e32 v1, v7
	v_ashrrev_i32_e32 v5, 31, v5
	v_add_u32_e32 v1, -1, v1
	v_add_u32_e32 v5, 32, v5
	v_min_u32_e32 v1, v1, v5
	v_lshlrev_b64 v[6:7], v1, v[6:7]
	v_min_u32_e32 v5, 1, v6
	v_or_b32_e32 v5, v7, v5
	v_cvt_f32_i32_e32 v5, v5
	v_sub_u32_e32 v1, 32, v1
	v_ldexp_f32 v5, v5, v1
	s_branch .LBB16_963
.LBB16_960:
                                        ; implicit-def: $vgpr5
	s_branch .LBB16_969
.LBB16_961:
	s_mov_b64 s[16:17], -1
                                        ; implicit-def: $vgpr5
	s_branch .LBB16_966
.LBB16_962:
	s_mov_b64 s[16:17], -1
                                        ; implicit-def: $vgpr5
.LBB16_963:
	s_andn2_b64 vcc, exec, s[16:17]
	s_cbranch_vccnz .LBB16_965
; %bb.964:
	global_load_dword v1, v[2:3], off
	s_waitcnt vmcnt(0)
	v_cvt_f32_i32_e32 v5, v1
.LBB16_965:
	s_mov_b64 s[16:17], 0
.LBB16_966:
	s_andn2_b64 vcc, exec, s[16:17]
	s_cbranch_vccnz .LBB16_968
; %bb.967:
	global_load_sshort v1, v[2:3], off
	s_waitcnt vmcnt(0)
	v_cvt_f32_i32_e32 v5, v1
.LBB16_968:
	s_cbranch_execnz .LBB16_974
.LBB16_969:
	v_cmp_lt_i16_e32 vcc, 0, v4
	s_cbranch_vccz .LBB16_971
; %bb.970:
	global_load_sbyte v1, v[2:3], off
	s_mov_b64 s[16:17], 0
	s_waitcnt vmcnt(0)
	v_cvt_f32_i32_e32 v5, v1
	s_branch .LBB16_972
.LBB16_971:
	s_mov_b64 s[16:17], -1
                                        ; implicit-def: $vgpr5
.LBB16_972:
	s_andn2_b64 vcc, exec, s[16:17]
	s_cbranch_vccnz .LBB16_974
; %bb.973:
	global_load_ubyte v1, v[2:3], off
	s_waitcnt vmcnt(0)
	v_cvt_f32_ubyte0_e32 v5, v1
.LBB16_974:
	s_or_b64 s[0:1], s[0:1], exec
.LBB16_975:
	s_or_b64 exec, exec, s[10:11]
	s_mov_b64 s[18:19], 0
	s_mov_b64 s[16:17], 0
                                        ; implicit-def: $vgpr1
                                        ; implicit-def: $vgpr2_vgpr3
                                        ; implicit-def: $vgpr4
	s_and_saveexec_b64 s[10:11], s[0:1]
	s_cbranch_execz .LBB16_995
; %bb.976:
	s_mov_b32 s0, 0x7f800000
	s_waitcnt vmcnt(0)
	v_cmp_nlg_f32_e64 s[16:17], |v5|, s0
	s_and_saveexec_b64 s[0:1], s[16:17]
	s_cbranch_execz .LBB16_978
; %bb.977:
	v_mov_b32_e32 v1, 0
	v_mov_b32_e32 v2, 1.0
	global_store_dword v1, v2, s[12:13]
.LBB16_978:
	s_or_b64 exec, exec, s[0:1]
	v_mov_b32_e32 v1, 0
	global_load_dword v4, v1, s[14:15]
	v_mov_b32_e32 v1, s9
	v_mov_b32_e32 v6, 0xff
	v_add_co_u32_e32 v2, vcc, s8, v0
	v_addc_co_u32_e32 v3, vcc, 0, v1, vcc
	v_and_b32_e32 v1, s79, v6
	v_cmp_gt_i16_e32 vcc, 11, v1
	s_and_b64 vcc, exec, vcc
	s_waitcnt vmcnt(0)
	v_mul_f32_e32 v0, v5, v4
	v_cmp_eq_f32_e64 s[0:1], 1.0, v4
	v_cndmask_b32_e64 v4, v0, v5, s[0:1]
	s_cbranch_vccnz .LBB16_998
; %bb.979:
	v_cmp_lt_i16_e32 vcc, 25, v1
	s_mov_b64 s[12:13], -1
	s_mov_b64 s[0:1], s[56:57]
	s_cbranch_vccz .LBB16_1016
; %bb.980:
	v_cmp_lt_i16_e32 vcc, 28, v1
	s_mov_b64 s[8:9], -1
	s_mov_b64 s[0:1], s[56:57]
	s_cbranch_vccz .LBB16_1000
; %bb.981:
	v_cmp_lt_i16_e32 vcc, 43, v1
	s_mov_b64 s[0:1], s[56:57]
	s_cbranch_vccz .LBB16_992
; %bb.982:
	v_cmp_lt_i16_e32 vcc, 45, v1
	s_mov_b64 s[0:1], s[56:57]
	s_cbranch_vccz .LBB16_986
; %bb.983:
	v_cmp_eq_u16_e32 vcc, 46, v1
	s_mov_b64 s[0:1], -1
	s_cbranch_vccz .LBB16_985
; %bb.984:
	v_bfe_u32 v0, v4, 16, 1
	s_movk_i32 s0, 0x7fff
	v_add3_u32 v0, v4, v0, s0
	v_lshrrev_b32_e32 v0, 16, v0
	v_mov_b32_e32 v5, 0x7fc0
	v_cmp_o_f32_e32 vcc, v4, v4
	v_cndmask_b32_e32 v0, v5, v0, vcc
	global_store_dword v[2:3], v0, off
	s_mov_b64 s[0:1], 0
.LBB16_985:
	s_mov_b64 s[8:9], 0
.LBB16_986:
	s_and_b64 vcc, exec, s[8:9]
	s_cbranch_vccz .LBB16_991
; %bb.987:
	v_cmp_eq_u16_e32 vcc, 44, v1
	s_mov_b64 s[0:1], -1
	s_cbranch_vccz .LBB16_991
; %bb.988:
	v_bfe_u32 v0, v4, 23, 8
	s_movk_i32 s0, 0xff
	v_cmp_ne_u32_e32 vcc, s0, v0
	v_mov_b32_e32 v5, 0xff
	s_and_saveexec_b64 s[8:9], vcc
; %bb.989:
	s_mov_b32 s0, 0x3fffff
	v_and_b32_e32 v6, 0x400000, v4
	v_and_or_b32 v0, v4, s0, v0
	v_cmp_ne_u32_e32 vcc, 0, v6
	v_cmp_ne_u32_e64 s[0:1], 0, v0
	s_and_b64 s[0:1], vcc, s[0:1]
	v_lshrrev_b32_e32 v5, 23, v4
	v_cndmask_b32_e64 v0, 0, 1, s[0:1]
	v_add_u32_e32 v5, v5, v0
; %bb.990:
	s_or_b64 exec, exec, s[8:9]
	s_mov_b64 s[0:1], 0
	global_store_byte v[2:3], v5, off
.LBB16_991:
	s_mov_b64 s[8:9], 0
.LBB16_992:
	s_and_b64 vcc, exec, s[8:9]
	s_cbranch_vccz .LBB16_999
; %bb.993:
	v_cmp_eq_u16_e32 vcc, 29, v1
	s_mov_b64 s[0:1], -1
	s_cbranch_vccz .LBB16_999
; %bb.994:
	v_trunc_f32_e32 v0, v4
	v_mul_f32_e32 v5, 0x2f800000, v0
	v_floor_f32_e32 v5, v5
	v_fmac_f32_e32 v0, 0xcf800000, v5
	v_cvt_u32_f32_e32 v7, v5
	v_cvt_u32_f32_e32 v6, v0
	s_mov_b64 s[0:1], 0
	s_mov_b64 s[8:9], 0
	global_store_dwordx2 v[2:3], v[6:7], off
	s_branch .LBB16_1000
.LBB16_995:
	s_or_b64 exec, exec, s[10:11]
	s_and_saveexec_b64 s[0:1], s[56:57]
	s_cbranch_execnz .LBB16_1058
.LBB16_996:
	s_or_b64 exec, exec, s[0:1]
	s_and_saveexec_b64 s[0:1], s[18:19]
	s_xor_b64 s[0:1], exec, s[0:1]
	s_cbranch_execz .LBB16_1059
.LBB16_997:
	v_cmp_neq_f32_e32 vcc, 0, v4
	v_cndmask_b32_e64 v0, 0, 1, vcc
	global_store_byte v[2:3], v0, off
	s_or_b64 exec, exec, s[0:1]
	s_and_saveexec_b64 s[0:1], s[16:17]
	s_xor_b64 s[0:1], exec, s[0:1]
	s_cbranch_execz .LBB16_1097
	s_branch .LBB16_1060
.LBB16_998:
	s_mov_b64 s[12:13], 0
	s_mov_b64 s[8:9], -1
	s_mov_b64 s[0:1], s[56:57]
	s_branch .LBB16_1057
.LBB16_999:
	s_mov_b64 s[8:9], 0
.LBB16_1000:
	s_and_b64 vcc, exec, s[8:9]
	s_cbranch_vccz .LBB16_1015
; %bb.1001:
	v_cmp_gt_i16_e32 vcc, 27, v1
	s_mov_b64 s[8:9], -1
	s_cbranch_vccnz .LBB16_1007
; %bb.1002:
	v_cmp_lt_i16_e32 vcc, 27, v1
	s_cbranch_vccz .LBB16_1004
; %bb.1003:
	v_cvt_u32_f32_e32 v0, v4
	s_mov_b64 s[8:9], 0
	global_store_dword v[2:3], v0, off
.LBB16_1004:
	s_andn2_b64 vcc, exec, s[8:9]
	s_cbranch_vccnz .LBB16_1006
; %bb.1005:
	v_cvt_u32_f32_e32 v0, v4
	global_store_short v[2:3], v0, off
.LBB16_1006:
	s_mov_b64 s[8:9], 0
.LBB16_1007:
	s_andn2_b64 vcc, exec, s[8:9]
	s_cbranch_vccnz .LBB16_1015
; %bb.1008:
	v_and_b32_e32 v0, 0x7fffffff, v4
	s_mov_b32 s8, 0x43800000
	v_cmp_gt_u32_e32 vcc, s8, v0
	v_mov_b32_e32 v5, 0x80
	s_and_saveexec_b64 s[8:9], vcc
	s_cbranch_execz .LBB16_1014
; %bb.1009:
	s_mov_b32 s12, 0x3bffffff
	v_cmp_lt_u32_e32 vcc, s12, v0
	s_mov_b64 s[12:13], 0
                                        ; implicit-def: $vgpr0
	s_and_saveexec_b64 s[14:15], vcc
	s_xor_b64 s[14:15], exec, s[14:15]
	s_cbranch_execz .LBB16_1168
; %bb.1010:
	v_bfe_u32 v0, v4, 20, 1
	s_mov_b32 s16, 0x487ffff
	v_add3_u32 v0, v4, v0, s16
	s_mov_b64 s[12:13], exec
	v_lshrrev_b32_e32 v0, 20, v0
	s_or_saveexec_b64 s[14:15], s[14:15]
                                        ; implicit-def: $sgpr16
	s_xor_b64 exec, exec, s[14:15]
	s_cbranch_execnz .LBB16_1169
.LBB16_1011:
	s_or_b64 exec, exec, s[14:15]
	v_mov_b32_e32 v5, s16
	s_and_saveexec_b64 s[14:15], s[12:13]
.LBB16_1012:
	v_lshrrev_b32_e32 v5, 24, v4
	s_movk_i32 s12, 0x80
	v_and_or_b32 v5, v5, s12, v0
.LBB16_1013:
	s_or_b64 exec, exec, s[14:15]
.LBB16_1014:
	s_or_b64 exec, exec, s[8:9]
	global_store_byte v[2:3], v5, off
.LBB16_1015:
	s_mov_b64 s[12:13], 0
.LBB16_1016:
	s_mov_b64 s[8:9], 0
	s_and_b64 vcc, exec, s[12:13]
	s_cbranch_vccz .LBB16_1056
; %bb.1017:
	v_cmp_lt_i16_e32 vcc, 22, v1
	s_mov_b64 s[12:13], -1
	s_cbranch_vccz .LBB16_1049
; %bb.1018:
	v_cmp_gt_i16_e32 vcc, 24, v1
	s_cbranch_vccnz .LBB16_1038
; %bb.1019:
	v_cmp_lt_i16_e32 vcc, 24, v1
	s_cbranch_vccz .LBB16_1027
; %bb.1020:
	v_and_b32_e32 v0, 0x7fffffff, v4
	s_mov_b32 s12, 0x47800000
	v_cmp_gt_u32_e32 vcc, s12, v0
	v_mov_b32_e32 v5, 0x80
	s_and_saveexec_b64 s[12:13], vcc
	s_cbranch_execz .LBB16_1026
; %bb.1021:
	s_mov_b32 s14, 0x37ffffff
	v_cmp_lt_u32_e32 vcc, s14, v0
	s_mov_b64 s[14:15], 0
                                        ; implicit-def: $vgpr0
	s_and_saveexec_b64 s[16:17], vcc
	s_xor_b64 s[16:17], exec, s[16:17]
	s_cbranch_execz .LBB16_1295
; %bb.1022:
	v_bfe_u32 v0, v4, 21, 1
	s_mov_b32 s18, 0x88fffff
	v_add3_u32 v0, v4, v0, s18
	s_mov_b64 s[14:15], exec
	v_lshrrev_b32_e32 v0, 21, v0
	s_or_saveexec_b64 s[16:17], s[16:17]
                                        ; implicit-def: $sgpr18
	s_xor_b64 exec, exec, s[16:17]
	s_cbranch_execnz .LBB16_1296
.LBB16_1023:
	s_or_b64 exec, exec, s[16:17]
	v_mov_b32_e32 v5, s18
	s_and_saveexec_b64 s[16:17], s[14:15]
.LBB16_1024:
	v_lshrrev_b32_e32 v5, 24, v4
	s_movk_i32 s14, 0x80
	v_and_or_b32 v5, v5, s14, v0
.LBB16_1025:
	s_or_b64 exec, exec, s[16:17]
.LBB16_1026:
	s_or_b64 exec, exec, s[12:13]
	s_mov_b64 s[12:13], 0
	global_store_byte v[2:3], v5, off
.LBB16_1027:
	s_and_b64 vcc, exec, s[12:13]
	s_cbranch_vccz .LBB16_1037
; %bb.1028:
	v_and_b32_e32 v5, 0x7fffffff, v4
	s_mov_b32 s12, 0x43f00000
	v_cmp_gt_u32_e32 vcc, s12, v5
                                        ; implicit-def: $vgpr0
	s_and_saveexec_b64 s[12:13], vcc
	s_xor_b64 s[12:13], exec, s[12:13]
	s_cbranch_execz .LBB16_1034
; %bb.1029:
	s_mov_b32 s14, 0x3c7fffff
	v_cmp_lt_u32_e32 vcc, s14, v5
                                        ; implicit-def: $vgpr0
	s_and_saveexec_b64 s[14:15], vcc
	s_xor_b64 s[14:15], exec, s[14:15]
; %bb.1030:
	v_bfe_u32 v0, v4, 20, 1
	s_mov_b32 s16, 0x407ffff
	v_add3_u32 v0, v4, v0, s16
	v_lshrrev_b32_e32 v5, 20, v0
	v_and_b32_e32 v0, 0xff00000, v0
	s_mov_b32 s16, 0x7f00000
	v_mov_b32_e32 v6, 0x7e
	v_cmp_ne_u32_e32 vcc, s16, v0
	v_cndmask_b32_e32 v0, v6, v5, vcc
; %bb.1031:
	s_andn2_saveexec_b64 s[14:15], s[14:15]
; %bb.1032:
	s_mov_b32 s16, 0x46800000
	v_add_f32_e64 v0, |v4|, s16
; %bb.1033:
	s_or_b64 exec, exec, s[14:15]
                                        ; implicit-def: $vgpr5
.LBB16_1034:
	s_andn2_saveexec_b64 s[12:13], s[12:13]
; %bb.1035:
	s_mov_b32 s14, 0x7f800000
	v_mov_b32_e32 v0, 0x7e
	v_mov_b32_e32 v6, 0x7f
	v_cmp_lt_u32_e32 vcc, s14, v5
	v_cndmask_b32_e32 v0, v0, v6, vcc
; %bb.1036:
	s_or_b64 exec, exec, s[12:13]
	v_lshrrev_b32_e32 v5, 24, v4
	s_movk_i32 s12, 0x80
	v_and_or_b32 v0, v5, s12, v0
	global_store_byte v[2:3], v0, off
.LBB16_1037:
	s_mov_b64 s[12:13], 0
.LBB16_1038:
	s_andn2_b64 vcc, exec, s[12:13]
	s_cbranch_vccnz .LBB16_1048
; %bb.1039:
	v_and_b32_e32 v5, 0x7fffffff, v4
	s_mov_b32 s12, 0x47800000
	v_cmp_gt_u32_e32 vcc, s12, v5
                                        ; implicit-def: $vgpr0
	s_and_saveexec_b64 s[12:13], vcc
	s_xor_b64 s[12:13], exec, s[12:13]
	s_cbranch_execz .LBB16_1045
; %bb.1040:
	s_mov_b32 s14, 0x387fffff
	v_cmp_lt_u32_e32 vcc, s14, v5
                                        ; implicit-def: $vgpr0
	s_and_saveexec_b64 s[14:15], vcc
	s_xor_b64 s[14:15], exec, s[14:15]
; %bb.1041:
	v_bfe_u32 v0, v4, 21, 1
	s_mov_b32 s16, 0x80fffff
	v_add3_u32 v0, v4, v0, s16
	v_lshrrev_b32_e32 v0, 21, v0
; %bb.1042:
	s_andn2_saveexec_b64 s[14:15], s[14:15]
; %bb.1043:
	s_mov_b32 s16, 0x43000000
	v_add_f32_e64 v0, |v4|, s16
; %bb.1044:
	s_or_b64 exec, exec, s[14:15]
                                        ; implicit-def: $vgpr5
.LBB16_1045:
	s_andn2_saveexec_b64 s[12:13], s[12:13]
; %bb.1046:
	s_mov_b32 s14, 0x7f800000
	v_mov_b32_e32 v0, 0x7c
	v_mov_b32_e32 v6, 0x7f
	v_cmp_lt_u32_e32 vcc, s14, v5
	v_cndmask_b32_e32 v0, v0, v6, vcc
; %bb.1047:
	s_or_b64 exec, exec, s[12:13]
	v_lshrrev_b32_e32 v5, 24, v4
	s_movk_i32 s12, 0x80
	v_and_or_b32 v0, v5, s12, v0
	global_store_byte v[2:3], v0, off
.LBB16_1048:
	s_mov_b64 s[12:13], 0
.LBB16_1049:
	s_andn2_b64 vcc, exec, s[12:13]
	s_mov_b64 s[12:13], 0
	s_cbranch_vccnz .LBB16_1057
; %bb.1050:
	v_cmp_lt_i16_e32 vcc, 14, v1
	s_mov_b64 s[14:15], -1
	s_cbranch_vccz .LBB16_1054
; %bb.1051:
	v_cmp_eq_u16_e32 vcc, 15, v1
	s_mov_b64 s[0:1], -1
	s_cbranch_vccz .LBB16_1053
; %bb.1052:
	v_bfe_u32 v0, v4, 16, 1
	s_movk_i32 s0, 0x7fff
	v_add3_u32 v0, v4, v0, s0
	v_lshrrev_b32_e32 v0, 16, v0
	v_mov_b32_e32 v5, 0x7fc0
	v_cmp_o_f32_e32 vcc, v4, v4
	v_cndmask_b32_e32 v0, v5, v0, vcc
	global_store_short v[2:3], v0, off
	s_mov_b64 s[0:1], 0
.LBB16_1053:
	s_mov_b64 s[14:15], 0
.LBB16_1054:
	s_and_b64 vcc, exec, s[14:15]
	s_cbranch_vccz .LBB16_1057
; %bb.1055:
	v_cmp_ne_u16_e32 vcc, 11, v1
	s_andn2_b64 s[0:1], s[0:1], exec
	s_and_b64 s[14:15], vcc, exec
	s_mov_b64 s[12:13], -1
	s_or_b64 s[0:1], s[0:1], s[14:15]
	s_branch .LBB16_1057
.LBB16_1056:
	s_mov_b64 s[12:13], 0
.LBB16_1057:
	s_and_b64 s[16:17], s[8:9], exec
	s_andn2_b64 s[8:9], s[56:57], exec
	s_and_b64 s[0:1], s[0:1], exec
	s_and_b64 s[18:19], s[12:13], exec
	s_or_b64 s[56:57], s[8:9], s[0:1]
	s_or_b64 exec, exec, s[10:11]
	s_and_saveexec_b64 s[0:1], s[56:57]
	s_cbranch_execz .LBB16_996
.LBB16_1058:
	s_or_b64 s[2:3], s[2:3], exec
	s_andn2_b64 s[18:19], s[18:19], exec
	s_trap 2
	s_or_b64 exec, exec, s[0:1]
	s_and_saveexec_b64 s[0:1], s[18:19]
	s_xor_b64 s[0:1], exec, s[0:1]
	s_cbranch_execnz .LBB16_997
.LBB16_1059:
	s_or_b64 exec, exec, s[0:1]
	s_and_saveexec_b64 s[0:1], s[16:17]
	s_xor_b64 s[0:1], exec, s[0:1]
	s_cbranch_execz .LBB16_1097
.LBB16_1060:
	v_cmp_gt_i16_e32 vcc, 5, v1
	s_mov_b64 s[8:9], -1
	s_cbranch_vccnz .LBB16_1081
; %bb.1061:
	v_cmp_gt_i16_e32 vcc, 8, v1
	s_cbranch_vccnz .LBB16_1071
; %bb.1062:
	v_cmp_gt_i16_e32 vcc, 9, v1
	s_cbranch_vccnz .LBB16_1068
; %bb.1063:
	v_cmp_lt_i16_e32 vcc, 9, v1
	s_cbranch_vccz .LBB16_1065
; %bb.1064:
	v_mov_b32_e32 v8, 0
	v_cvt_f64_f32_e32 v[6:7], v4
	v_mov_b32_e32 v9, v8
	s_mov_b64 s[8:9], 0
	global_store_dwordx4 v[2:3], v[6:9], off
.LBB16_1065:
	s_andn2_b64 vcc, exec, s[8:9]
	s_cbranch_vccnz .LBB16_1067
; %bb.1066:
	s_waitcnt vmcnt(0)
	v_mov_b32_e32 v5, 0
	global_store_dwordx2 v[2:3], v[4:5], off
.LBB16_1067:
	s_mov_b64 s[8:9], 0
.LBB16_1068:
	s_andn2_b64 vcc, exec, s[8:9]
	s_cbranch_vccnz .LBB16_1070
; %bb.1069:
	v_cvt_f16_f32_e32 v0, v4
	global_store_dword v[2:3], v0, off
.LBB16_1070:
	s_mov_b64 s[8:9], 0
.LBB16_1071:
	s_andn2_b64 vcc, exec, s[8:9]
	s_cbranch_vccnz .LBB16_1080
; %bb.1072:
	v_cmp_gt_i16_e32 vcc, 6, v1
	s_mov_b64 s[8:9], -1
	s_cbranch_vccnz .LBB16_1078
; %bb.1073:
	v_cmp_lt_i16_e32 vcc, 6, v1
	s_cbranch_vccz .LBB16_1075
; %bb.1074:
	v_cvt_f64_f32_e32 v[6:7], v4
	s_mov_b64 s[8:9], 0
	global_store_dwordx2 v[2:3], v[6:7], off
.LBB16_1075:
	s_andn2_b64 vcc, exec, s[8:9]
	s_cbranch_vccnz .LBB16_1077
; %bb.1076:
	global_store_dword v[2:3], v4, off
.LBB16_1077:
	s_mov_b64 s[8:9], 0
.LBB16_1078:
	s_andn2_b64 vcc, exec, s[8:9]
	s_cbranch_vccnz .LBB16_1080
; %bb.1079:
	v_cvt_f16_f32_e32 v0, v4
	global_store_short v[2:3], v0, off
.LBB16_1080:
	s_mov_b64 s[8:9], 0
.LBB16_1081:
	s_andn2_b64 vcc, exec, s[8:9]
	s_cbranch_vccnz .LBB16_1097
; %bb.1082:
	v_cmp_gt_i16_e32 vcc, 2, v1
	s_mov_b64 s[8:9], -1
	s_cbranch_vccnz .LBB16_1092
; %bb.1083:
	v_cmp_gt_i16_e32 vcc, 3, v1
	s_cbranch_vccnz .LBB16_1089
; %bb.1084:
	v_cmp_lt_i16_e32 vcc, 3, v1
	s_cbranch_vccz .LBB16_1086
; %bb.1085:
	v_trunc_f32_e32 v0, v4
	s_mov_b32 s8, 0x2f800000
	s_waitcnt vmcnt(0)
	v_mul_f32_e64 v5, |v0|, s8
	v_floor_f32_e32 v5, v5
	s_mov_b32 s8, 0xcf800000
	v_cvt_u32_f32_e32 v6, v5
	v_fma_f32 v5, v5, s8, |v0|
	v_cvt_u32_f32_e32 v5, v5
	v_ashrrev_i32_e32 v0, 31, v0
	v_xor_b32_e32 v7, v6, v0
	s_mov_b64 s[8:9], 0
	v_xor_b32_e32 v5, v5, v0
	v_sub_co_u32_e32 v6, vcc, v5, v0
	v_subb_co_u32_e32 v7, vcc, v7, v0, vcc
	global_store_dwordx2 v[2:3], v[6:7], off
.LBB16_1086:
	s_andn2_b64 vcc, exec, s[8:9]
	s_cbranch_vccnz .LBB16_1088
; %bb.1087:
	v_cvt_i32_f32_e32 v0, v4
	global_store_dword v[2:3], v0, off
.LBB16_1088:
	s_mov_b64 s[8:9], 0
.LBB16_1089:
	s_andn2_b64 vcc, exec, s[8:9]
	s_cbranch_vccnz .LBB16_1091
; %bb.1090:
	v_cvt_i32_f32_e32 v0, v4
	global_store_short v[2:3], v0, off
.LBB16_1091:
	s_mov_b64 s[8:9], 0
.LBB16_1092:
	s_andn2_b64 vcc, exec, s[8:9]
	s_cbranch_vccnz .LBB16_1097
; %bb.1093:
	v_cmp_lt_i16_e32 vcc, 0, v1
	s_mov_b64 s[8:9], -1
	s_cbranch_vccz .LBB16_1095
; %bb.1094:
	v_cvt_i32_f32_e32 v0, v4
	s_mov_b64 s[8:9], 0
	global_store_byte v[2:3], v0, off
.LBB16_1095:
	s_andn2_b64 vcc, exec, s[8:9]
	s_cbranch_vccnz .LBB16_1097
; %bb.1096:
	v_trunc_f32_e32 v0, v4
	s_mov_b32 s8, 0x2f800000
	v_mul_f32_e64 v1, |v0|, s8
	v_floor_f32_e32 v1, v1
	s_mov_b32 s8, 0xcf800000
	v_fma_f32 v1, v1, s8, |v0|
	v_cvt_u32_f32_e32 v1, v1
	v_ashrrev_i32_e32 v0, 31, v0
	v_xor_b32_e32 v1, v1, v0
	v_sub_u32_e32 v0, v1, v0
	global_store_byte v[2:3], v0, off
.LBB16_1097:
	s_or_b64 exec, exec, s[0:1]
	s_and_b64 s[28:29], s[2:3], exec
                                        ; implicit-def: $vgpr9
                                        ; implicit-def: $vgpr8
.LBB16_1098:
	s_or_saveexec_b64 s[30:31], s[46:47]
	s_mov_b64 s[0:1], 0
                                        ; implicit-def: $vgpr0_vgpr1
                                        ; implicit-def: $sgpr16
                                        ; implicit-def: $vgpr2
	s_xor_b64 exec, exec, s[30:31]
	s_cbranch_execz .LBB16_2062
; %bb.1099:
	v_cndmask_b32_e64 v0, 0, 1, s[44:45]
	v_cmp_ne_u32_e64 s[0:1], 1, v0
	s_andn2_b64 vcc, exec, s[44:45]
	s_cbranch_vccnz .LBB16_1106
; %bb.1100:
	s_mov_b32 s2, 0
	s_cmp_lg_u32 s33, 0
	v_mov_b32_e32 v14, 0
	v_mov_b32_e32 v6, 0
	s_cbranch_scc0 .LBB16_1105
; %bb.1101:
	s_min_u32 s38, s78, 15
	s_add_i32 s38, s38, 1
	s_cmp_eq_u32 s78, 2
	s_cbranch_scc1 .LBB16_1107
; %bb.1102:
	s_add_u32 s6, s34, 0xc4
	s_addc_u32 s7, s35, 0
	s_and_b32 s2, s38, 28
	s_mov_b32 s3, 0
	v_mov_b32_e32 v6, 0
	s_mov_b64 s[36:37], s[34:35]
	v_mov_b32_e32 v0, v8
	v_mov_b32_e32 v14, 0
.LBB16_1103:                            ; =>This Inner Loop Header: Depth=1
	s_load_dwordx8 s[16:23], s[36:37], 0x4
	s_load_dwordx4 s[24:27], s[36:37], 0x24
	s_load_dwordx8 s[8:15], s[6:7], 0x0
	s_add_u32 s36, s36, 48
	s_addc_u32 s37, s37, 0
	s_waitcnt lgkmcnt(0)
	v_mul_hi_u32 v1, s17, v0
	v_add_u32_e32 v1, v0, v1
	v_lshrrev_b32_e32 v1, s18, v1
	v_mul_lo_u32 v2, v1, s16
	v_mul_hi_u32 v3, s20, v1
	v_sub_u32_e32 v0, v0, v2
	v_add_u32_e32 v2, v1, v3
	v_lshrrev_b32_e32 v2, s21, v2
	v_mul_lo_u32 v4, v2, s19
	s_waitcnt vmcnt(0)
	v_mul_hi_u32 v5, s23, v2
	v_sub_u32_e32 v1, v1, v4
	v_add_u32_e32 v4, v2, v5
	v_mul_lo_u32 v3, v0, s9
	v_mul_lo_u32 v0, v0, s8
	;; [unrolled: 1-line block ×4, first 2 shown]
	v_lshrrev_b32_e32 v4, s24, v4
	v_add3_u32 v1, v0, v6, v1
	v_add3_u32 v3, v3, v14, v5
	v_mul_lo_u32 v0, v4, s22
	v_mul_hi_u32 v5, s26, v4
	v_sub_u32_e32 v0, v2, v0
	v_add_u32_e32 v2, v4, v5
	v_mul_lo_u32 v5, v0, s12
	v_mul_lo_u32 v6, v0, s13
	v_lshrrev_b32_e32 v0, s27, v2
	s_add_i32 s3, s3, 4
	v_mul_lo_u32 v2, v0, s25
	s_add_u32 s6, s6, 32
	v_sub_u32_e32 v2, v4, v2
	s_addc_u32 s7, s7, 0
	v_mul_lo_u32 v4, v2, s14
	v_mul_lo_u32 v2, v2, s15
	s_cmp_lg_u32 s2, s3
	v_add3_u32 v14, v6, v3, v2
	v_add3_u32 v6, v5, v1, v4
	s_cbranch_scc1 .LBB16_1103
; %bb.1104:
	v_mov_b32_e32 v7, v14
	s_and_b32 s8, s38, 3
	s_cmp_eq_u32 s8, 0
	s_cbranch_scc0 .LBB16_1108
.LBB16_1105:
	s_cbranch_execz .LBB16_1111
	s_branch .LBB16_1113
.LBB16_1106:
                                        ; implicit-def: $vgpr14
                                        ; implicit-def: $vgpr6
	s_branch .LBB16_1111
.LBB16_1107:
	s_mov_b32 s3, s2
	v_pk_mov_b32 v[6:7], s[2:3], s[2:3] op_sel:[0,1]
                                        ; implicit-def: $vgpr14
	v_mov_b32_e32 v0, v8
	s_and_b32 s8, s38, 3
	s_cmp_eq_u32 s8, 0
	s_cbranch_scc1 .LBB16_1105
.LBB16_1108:
	s_lshl_b32 s3, s2, 3
	s_add_u32 s3, s3, s34
	s_addc_u32 s7, 0, s35
	s_add_u32 s6, s3, 0xc4
	s_addc_u32 s7, s7, 0
	s_mul_i32 s2, s2, 12
	s_add_u32 s2, s34, s2
	s_addc_u32 s3, 0, s35
.LBB16_1109:                            ; =>This Inner Loop Header: Depth=1
	s_load_dwordx2 s[10:11], s[2:3], 0x4
	s_load_dword s9, s[2:3], 0xc
	s_load_dwordx2 s[12:13], s[6:7], 0x0
	s_add_u32 s2, s2, 12
	s_addc_u32 s3, s3, 0
	s_waitcnt lgkmcnt(0)
	v_mul_hi_u32 v1, s11, v0
	v_add_u32_e32 v1, v0, v1
	v_lshrrev_b32_e32 v1, s9, v1
	v_mul_lo_u32 v3, v1, s10
	v_mov_b32_e32 v2, v7
	s_add_u32 s6, s6, 8
	v_sub_u32_e32 v4, v0, v3
	s_addc_u32 s7, s7, 0
	s_add_i32 s8, s8, -1
	v_mad_u64_u32 v[2:3], s[10:11], v4, s13, v[2:3]
	v_mad_u64_u32 v[6:7], s[10:11], v4, s12, v[6:7]
	s_cmp_lg_u32 s8, 0
	v_mov_b32_e32 v0, v1
	v_mov_b32_e32 v7, v2
	s_cbranch_scc1 .LBB16_1109
; %bb.1110:
	v_mov_b32_e32 v14, v7
	s_cbranch_execnz .LBB16_1113
.LBB16_1111:
	s_load_dwordx4 s[8:11], s[34:35], 0x4
	s_load_dwordx2 s[2:3], s[34:35], 0xc4
	s_cmp_lt_u32 s33, 2
	s_waitcnt lgkmcnt(0)
	v_mul_hi_u32 v0, s9, v8
	v_add_u32_e32 v0, v8, v0
	v_lshrrev_b32_e32 v0, s10, v0
	v_mul_lo_u32 v1, v0, s8
	v_sub_u32_e32 v1, v8, v1
	v_mul_lo_u32 v14, v1, s3
	v_mul_lo_u32 v6, v1, s2
	s_cbranch_scc1 .LBB16_1113
; %bb.1112:
	s_load_dwordx4 s[8:11], s[34:35], 0x10
	s_load_dwordx2 s[2:3], s[34:35], 0xcc
	s_waitcnt lgkmcnt(0)
	v_mul_hi_u32 v1, s9, v0
	v_add_u32_e32 v1, v0, v1
	v_lshrrev_b32_e32 v1, s10, v1
	v_mul_lo_u32 v1, v1, s8
	v_sub_u32_e32 v0, v0, v1
	v_mad_u64_u32 v[6:7], s[6:7], v0, s2, v[6:7]
	v_mad_u64_u32 v[14:15], s[2:3], v0, s3, v[14:15]
.LBB16_1113:
	s_and_b64 vcc, exec, s[0:1]
	v_add_u32_e32 v0, 0x80, v8
	s_cbranch_vccnz .LBB16_1120
; %bb.1114:
	s_mov_b32 s2, 0
	s_cmp_lg_u32 s33, 0
	v_mov_b32_e32 v12, 0
	v_mov_b32_e32 v4, 0
	s_cbranch_scc0 .LBB16_1119
; %bb.1115:
	s_min_u32 s38, s78, 15
	s_add_i32 s38, s38, 1
	s_cmp_eq_u32 s78, 2
	s_cbranch_scc1 .LBB16_1121
; %bb.1116:
	s_add_u32 s6, s34, 0xc4
	s_addc_u32 s7, s35, 0
	s_and_b32 s2, s38, 28
	s_mov_b32 s3, 0
	v_mov_b32_e32 v4, 0
	s_mov_b64 s[36:37], s[34:35]
	v_mov_b32_e32 v1, v0
	v_mov_b32_e32 v12, 0
.LBB16_1117:                            ; =>This Inner Loop Header: Depth=1
	s_load_dwordx8 s[16:23], s[36:37], 0x4
	s_load_dwordx4 s[24:27], s[36:37], 0x24
	s_load_dwordx8 s[8:15], s[6:7], 0x0
	s_add_u32 s36, s36, 48
	s_addc_u32 s37, s37, 0
	s_waitcnt lgkmcnt(0)
	v_mul_hi_u32 v2, s17, v1
	v_add_u32_e32 v2, v1, v2
	v_lshrrev_b32_e32 v2, s18, v2
	v_mul_lo_u32 v3, v2, s16
	s_waitcnt vmcnt(0)
	v_mul_hi_u32 v5, s20, v2
	v_sub_u32_e32 v1, v1, v3
	v_add_u32_e32 v3, v2, v5
	v_lshrrev_b32_e32 v3, s21, v3
	v_mul_lo_u32 v7, v3, s19
	v_mul_hi_u32 v10, s23, v3
	v_sub_u32_e32 v2, v2, v7
	v_add_u32_e32 v7, v3, v10
	v_mul_lo_u32 v5, v1, s9
	v_mul_lo_u32 v1, v1, s8
	;; [unrolled: 1-line block ×4, first 2 shown]
	v_lshrrev_b32_e32 v7, s24, v7
	v_add3_u32 v2, v1, v4, v2
	v_add3_u32 v4, v5, v12, v10
	v_mul_lo_u32 v1, v7, s22
	v_mul_hi_u32 v5, s26, v7
	v_sub_u32_e32 v1, v3, v1
	v_add_u32_e32 v3, v7, v5
	v_mul_lo_u32 v5, v1, s12
	v_mul_lo_u32 v10, v1, s13
	v_lshrrev_b32_e32 v1, s27, v3
	s_add_i32 s3, s3, 4
	v_mul_lo_u32 v3, v1, s25
	s_add_u32 s6, s6, 32
	v_sub_u32_e32 v3, v7, v3
	s_addc_u32 s7, s7, 0
	v_mul_lo_u32 v7, v3, s14
	v_mul_lo_u32 v3, v3, s15
	s_cmp_lg_u32 s2, s3
	v_add3_u32 v12, v10, v4, v3
	v_add3_u32 v4, v5, v2, v7
	s_cbranch_scc1 .LBB16_1117
; %bb.1118:
	v_mov_b32_e32 v5, v12
	s_and_b32 s8, s38, 3
	s_cmp_eq_u32 s8, 0
	s_cbranch_scc0 .LBB16_1122
.LBB16_1119:
	s_cbranch_execz .LBB16_1125
	s_branch .LBB16_1127
.LBB16_1120:
                                        ; implicit-def: $vgpr12
                                        ; implicit-def: $vgpr4
	s_branch .LBB16_1125
.LBB16_1121:
	s_mov_b32 s3, s2
	s_waitcnt vmcnt(0)
	v_pk_mov_b32 v[4:5], s[2:3], s[2:3] op_sel:[0,1]
                                        ; implicit-def: $vgpr12
	v_mov_b32_e32 v1, v0
	s_and_b32 s8, s38, 3
	s_cmp_eq_u32 s8, 0
	s_cbranch_scc1 .LBB16_1119
.LBB16_1122:
	s_lshl_b32 s3, s2, 3
	s_add_u32 s3, s3, s34
	s_addc_u32 s7, 0, s35
	s_add_u32 s6, s3, 0xc4
	s_addc_u32 s7, s7, 0
	s_mul_i32 s2, s2, 12
	s_add_u32 s2, s34, s2
	s_addc_u32 s3, 0, s35
.LBB16_1123:                            ; =>This Inner Loop Header: Depth=1
	s_load_dwordx2 s[10:11], s[2:3], 0x4
	s_load_dword s9, s[2:3], 0xc
	s_load_dwordx2 s[12:13], s[6:7], 0x0
	s_add_u32 s2, s2, 12
	v_mov_b32_e32 v2, v5
	s_waitcnt lgkmcnt(0)
	v_mul_hi_u32 v3, s11, v1
	v_add_u32_e32 v3, v1, v3
	v_lshrrev_b32_e32 v3, s9, v3
	s_addc_u32 s3, s3, 0
	v_mul_lo_u32 v5, v3, s10
	s_add_u32 s6, s6, 8
	v_sub_u32_e32 v5, v1, v5
	s_addc_u32 s7, s7, 0
	s_add_i32 s8, s8, -1
	v_mov_b32_e32 v1, v3
	v_mad_u64_u32 v[2:3], s[10:11], v5, s13, v[2:3]
	v_mad_u64_u32 v[4:5], s[10:11], v5, s12, v[4:5]
	s_cmp_lg_u32 s8, 0
	v_mov_b32_e32 v5, v2
	s_cbranch_scc1 .LBB16_1123
; %bb.1124:
	v_mov_b32_e32 v12, v5
	s_cbranch_execnz .LBB16_1127
.LBB16_1125:
	s_load_dwordx4 s[8:11], s[34:35], 0x4
	s_load_dwordx2 s[2:3], s[34:35], 0xc4
	s_cmp_lt_u32 s33, 2
	s_waitcnt lgkmcnt(0)
	v_mul_hi_u32 v1, s9, v0
	v_add_u32_e32 v1, v0, v1
	v_lshrrev_b32_e32 v1, s10, v1
	v_mul_lo_u32 v2, v1, s8
	v_sub_u32_e32 v0, v0, v2
	v_mul_lo_u32 v12, v0, s3
	v_mul_lo_u32 v4, v0, s2
	s_cbranch_scc1 .LBB16_1127
; %bb.1126:
	s_load_dwordx4 s[8:11], s[34:35], 0x10
	s_load_dwordx2 s[2:3], s[34:35], 0xcc
	s_waitcnt lgkmcnt(0)
	v_mul_hi_u32 v0, s9, v1
	v_add_u32_e32 v0, v1, v0
	v_lshrrev_b32_e32 v0, s10, v0
	v_mul_lo_u32 v0, v0, s8
	v_sub_u32_e32 v0, v1, v0
	s_waitcnt vmcnt(0)
	v_mad_u64_u32 v[4:5], s[6:7], v0, s2, v[4:5]
	v_mad_u64_u32 v[12:13], s[2:3], v0, s3, v[12:13]
.LBB16_1127:
	s_and_b64 vcc, exec, s[0:1]
	v_add_u32_e32 v0, 0x100, v8
	s_cbranch_vccnz .LBB16_1134
; %bb.1128:
	s_mov_b32 s2, 0
	s_cmp_lg_u32 s33, 0
	v_mov_b32_e32 v10, 0
	v_mov_b32_e32 v2, 0
	s_cbranch_scc0 .LBB16_1133
; %bb.1129:
	s_min_u32 s38, s78, 15
	s_add_i32 s38, s38, 1
	s_cmp_eq_u32 s78, 2
	s_cbranch_scc1 .LBB16_1135
; %bb.1130:
	s_add_u32 s6, s34, 0xc4
	s_addc_u32 s7, s35, 0
	s_and_b32 s2, s38, 28
	s_mov_b32 s3, 0
	v_mov_b32_e32 v2, 0
	s_mov_b64 s[36:37], s[34:35]
	v_mov_b32_e32 v1, v0
	v_mov_b32_e32 v10, 0
.LBB16_1131:                            ; =>This Inner Loop Header: Depth=1
	s_load_dwordx8 s[16:23], s[36:37], 0x4
	s_load_dwordx4 s[24:27], s[36:37], 0x24
	s_load_dwordx8 s[8:15], s[6:7], 0x0
	s_add_u32 s36, s36, 48
	s_addc_u32 s37, s37, 0
	s_waitcnt lgkmcnt(0)
	v_mul_hi_u32 v3, s17, v1
	v_add_u32_e32 v3, v1, v3
	v_lshrrev_b32_e32 v3, s18, v3
	s_waitcnt vmcnt(0)
	v_mul_lo_u32 v5, v3, s16
	v_mul_hi_u32 v7, s20, v3
	v_sub_u32_e32 v1, v1, v5
	v_add_u32_e32 v5, v3, v7
	v_lshrrev_b32_e32 v5, s21, v5
	v_mul_lo_u32 v8, v5, s19
	v_mul_hi_u32 v11, s23, v5
	v_sub_u32_e32 v3, v3, v8
	v_add_u32_e32 v8, v5, v11
	v_mul_lo_u32 v7, v1, s9
	v_mul_lo_u32 v1, v1, s8
	;; [unrolled: 1-line block ×4, first 2 shown]
	v_lshrrev_b32_e32 v8, s24, v8
	v_add3_u32 v2, v1, v2, v3
	v_add3_u32 v3, v7, v10, v11
	v_mul_lo_u32 v1, v8, s22
	v_mul_hi_u32 v7, s26, v8
	v_sub_u32_e32 v1, v5, v1
	v_add_u32_e32 v5, v8, v7
	v_mul_lo_u32 v7, v1, s12
	v_mul_lo_u32 v10, v1, s13
	v_lshrrev_b32_e32 v1, s27, v5
	s_add_i32 s3, s3, 4
	v_mul_lo_u32 v5, v1, s25
	s_add_u32 s6, s6, 32
	v_sub_u32_e32 v5, v8, v5
	s_addc_u32 s7, s7, 0
	v_mul_lo_u32 v8, v5, s14
	v_mul_lo_u32 v5, v5, s15
	s_cmp_lg_u32 s2, s3
	v_add3_u32 v10, v10, v3, v5
	v_add3_u32 v2, v7, v2, v8
	s_cbranch_scc1 .LBB16_1131
; %bb.1132:
	v_mov_b32_e32 v3, v10
	s_and_b32 s8, s38, 3
	s_cmp_eq_u32 s8, 0
	s_cbranch_scc0 .LBB16_1136
.LBB16_1133:
	s_cbranch_execz .LBB16_1139
	s_branch .LBB16_1141
.LBB16_1134:
                                        ; implicit-def: $vgpr10
                                        ; implicit-def: $vgpr2
	s_branch .LBB16_1139
.LBB16_1135:
	s_mov_b32 s3, s2
	v_pk_mov_b32 v[2:3], s[2:3], s[2:3] op_sel:[0,1]
                                        ; implicit-def: $vgpr10
	v_mov_b32_e32 v1, v0
	s_and_b32 s8, s38, 3
	s_cmp_eq_u32 s8, 0
	s_cbranch_scc1 .LBB16_1133
.LBB16_1136:
	s_lshl_b32 s3, s2, 3
	s_add_u32 s3, s3, s34
	s_addc_u32 s7, 0, s35
	s_add_u32 s6, s3, 0xc4
	s_addc_u32 s7, s7, 0
	s_mul_i32 s2, s2, 12
	s_add_u32 s2, s34, s2
	s_addc_u32 s3, 0, s35
.LBB16_1137:                            ; =>This Inner Loop Header: Depth=1
	s_load_dwordx2 s[10:11], s[2:3], 0x4
	s_load_dword s9, s[2:3], 0xc
	s_load_dwordx2 s[12:13], s[6:7], 0x0
	v_mov_b32_e32 v8, v3
	s_add_u32 s2, s2, 12
	s_waitcnt lgkmcnt(0)
	v_mul_hi_u32 v3, s11, v1
	v_add_u32_e32 v3, v1, v3
	v_lshrrev_b32_e32 v3, s9, v3
	s_addc_u32 s3, s3, 0
	s_waitcnt vmcnt(0)
	v_mul_lo_u32 v5, v3, s10
	s_add_u32 s6, s6, 8
	v_sub_u32_e32 v5, v1, v5
	s_addc_u32 s7, s7, 0
	s_add_i32 s8, s8, -1
	v_mov_b32_e32 v1, v3
	v_mad_u64_u32 v[10:11], s[10:11], v5, s13, v[8:9]
	v_mad_u64_u32 v[2:3], s[10:11], v5, s12, v[2:3]
	s_cmp_lg_u32 s8, 0
	v_mov_b32_e32 v3, v10
	s_cbranch_scc1 .LBB16_1137
; %bb.1138:
	v_mov_b32_e32 v10, v3
	s_cbranch_execnz .LBB16_1141
.LBB16_1139:
	s_load_dwordx4 s[8:11], s[34:35], 0x4
	s_load_dwordx2 s[2:3], s[34:35], 0xc4
	s_cmp_lt_u32 s33, 2
	s_waitcnt lgkmcnt(0)
	v_mul_hi_u32 v1, s9, v0
	v_add_u32_e32 v1, v0, v1
	v_lshrrev_b32_e32 v1, s10, v1
	v_mul_lo_u32 v2, v1, s8
	v_sub_u32_e32 v0, v0, v2
	v_mul_lo_u32 v10, v0, s3
	v_mul_lo_u32 v2, v0, s2
	s_cbranch_scc1 .LBB16_1141
; %bb.1140:
	s_load_dwordx4 s[8:11], s[34:35], 0x10
	s_load_dwordx2 s[2:3], s[34:35], 0xcc
	s_waitcnt lgkmcnt(0)
	v_mul_hi_u32 v0, s9, v1
	v_add_u32_e32 v0, v1, v0
	v_lshrrev_b32_e32 v0, s10, v0
	v_mul_lo_u32 v0, v0, s8
	v_sub_u32_e32 v0, v1, v0
	v_mad_u64_u32 v[2:3], s[6:7], v0, s2, v[2:3]
	v_mad_u64_u32 v[10:11], s[2:3], v0, s3, v[10:11]
.LBB16_1141:
	s_and_b64 vcc, exec, s[0:1]
	s_cbranch_vccnz .LBB16_1148
; %bb.1142:
	s_mov_b32 s6, 0
	s_cmp_lg_u32 s33, 0
	v_mov_b32_e32 v8, 0
	v_mov_b32_e32 v0, 0
	s_cbranch_scc0 .LBB16_1147
; %bb.1143:
	s_min_u32 s36, s78, 15
	s_add_i32 s36, s36, 1
	s_cmp_eq_u32 s78, 2
	s_cbranch_scc1 .LBB16_1149
; %bb.1144:
	s_add_u32 s24, s34, 0xc4
	s_addc_u32 s25, s35, 0
	s_and_b32 s6, s36, 28
	s_mov_b32 s7, 0
	v_mov_b32_e32 v0, 0
	s_mov_b64 s[26:27], s[34:35]
	v_mov_b32_e32 v3, v9
	v_mov_b32_e32 v8, 0
.LBB16_1145:                            ; =>This Inner Loop Header: Depth=1
	s_load_dwordx8 s[16:23], s[26:27], 0x4
	s_load_dwordx4 s[0:3], s[26:27], 0x24
	s_load_dwordx8 s[8:15], s[24:25], 0x0
	s_add_u32 s26, s26, 48
	s_addc_u32 s27, s27, 0
	s_waitcnt lgkmcnt(0)
	v_mul_hi_u32 v1, s17, v3
	v_add_u32_e32 v1, v3, v1
	v_lshrrev_b32_e32 v1, s18, v1
	s_waitcnt vmcnt(0)
	v_mul_lo_u32 v5, v1, s16
	v_mul_hi_u32 v7, s20, v1
	v_sub_u32_e32 v3, v3, v5
	v_add_u32_e32 v5, v1, v7
	v_lshrrev_b32_e32 v5, s21, v5
	v_mul_lo_u32 v11, v5, s19
	v_mul_hi_u32 v13, s23, v5
	v_sub_u32_e32 v1, v1, v11
	v_add_u32_e32 v11, v5, v13
	v_mul_lo_u32 v7, v3, s9
	v_mul_lo_u32 v3, v3, s8
	;; [unrolled: 1-line block ×4, first 2 shown]
	v_lshrrev_b32_e32 v11, s0, v11
	v_add3_u32 v0, v3, v0, v1
	v_add3_u32 v1, v7, v8, v13
	v_mul_lo_u32 v3, v11, s22
	v_mul_hi_u32 v7, s2, v11
	v_sub_u32_e32 v3, v5, v3
	v_add_u32_e32 v5, v11, v7
	v_mul_lo_u32 v7, v3, s12
	v_mul_lo_u32 v8, v3, s13
	v_lshrrev_b32_e32 v3, s3, v5
	s_add_i32 s7, s7, 4
	v_mul_lo_u32 v5, v3, s1
	s_add_u32 s24, s24, 32
	v_sub_u32_e32 v5, v11, v5
	s_addc_u32 s25, s25, 0
	v_mul_lo_u32 v11, v5, s14
	v_mul_lo_u32 v5, v5, s15
	s_cmp_lg_u32 s6, s7
	v_add3_u32 v8, v8, v1, v5
	v_add3_u32 v0, v7, v0, v11
	s_cbranch_scc1 .LBB16_1145
; %bb.1146:
	v_mov_b32_e32 v1, v8
	s_and_b32 s7, s36, 3
	s_cmp_eq_u32 s7, 0
	s_cbranch_scc0 .LBB16_1150
.LBB16_1147:
	s_cbranch_execz .LBB16_1153
	s_branch .LBB16_1155
.LBB16_1148:
                                        ; implicit-def: $vgpr8
                                        ; implicit-def: $vgpr0
	s_branch .LBB16_1153
.LBB16_1149:
	s_mov_b32 s7, s6
	v_pk_mov_b32 v[0:1], s[6:7], s[6:7] op_sel:[0,1]
                                        ; implicit-def: $vgpr8
	v_mov_b32_e32 v3, v9
	s_and_b32 s7, s36, 3
	s_cmp_eq_u32 s7, 0
	s_cbranch_scc1 .LBB16_1147
.LBB16_1150:
	s_lshl_b32 s0, s6, 3
	s_add_u32 s0, s0, s34
	s_addc_u32 s1, 0, s35
	s_add_u32 s0, s0, 0xc4
	s_addc_u32 s1, s1, 0
	s_mul_i32 s2, s6, 12
	s_add_u32 s2, s34, s2
	s_addc_u32 s3, 0, s35
.LBB16_1151:                            ; =>This Inner Loop Header: Depth=1
	s_load_dwordx2 s[8:9], s[2:3], 0x4
	s_load_dword s6, s[2:3], 0xc
	s_load_dwordx2 s[10:11], s[0:1], 0x0
	v_mov_b32_e32 v8, v1
	s_add_u32 s2, s2, 12
	s_waitcnt lgkmcnt(0)
	v_mul_hi_u32 v1, s9, v3
	v_add_u32_e32 v1, v3, v1
	v_lshrrev_b32_e32 v1, s6, v1
	s_addc_u32 s3, s3, 0
	s_waitcnt vmcnt(0)
	v_mul_lo_u32 v5, v1, s8
	s_add_u32 s0, s0, 8
	v_sub_u32_e32 v5, v3, v5
	s_addc_u32 s1, s1, 0
	s_add_i32 s7, s7, -1
	v_mov_b32_e32 v3, v1
	v_mad_u64_u32 v[16:17], s[8:9], v5, s11, v[8:9]
	v_mad_u64_u32 v[0:1], s[8:9], v5, s10, v[0:1]
	s_cmp_lg_u32 s7, 0
	v_mov_b32_e32 v1, v16
	s_cbranch_scc1 .LBB16_1151
; %bb.1152:
	v_mov_b32_e32 v8, v1
	s_cbranch_execnz .LBB16_1155
.LBB16_1153:
	s_load_dwordx4 s[0:3], s[34:35], 0x4
	s_load_dwordx2 s[6:7], s[34:35], 0xc4
	s_cmp_lt_u32 s33, 2
	s_waitcnt lgkmcnt(0)
	v_mul_hi_u32 v0, s1, v9
	v_add_u32_e32 v0, v9, v0
	v_lshrrev_b32_e32 v1, s2, v0
	v_mul_lo_u32 v0, v1, s0
	v_sub_u32_e32 v0, v9, v0
	v_mul_lo_u32 v8, v0, s7
	v_mul_lo_u32 v0, v0, s6
	s_cbranch_scc1 .LBB16_1155
; %bb.1154:
	s_load_dwordx4 s[0:3], s[34:35], 0x10
	s_load_dwordx2 s[6:7], s[34:35], 0xcc
	s_waitcnt lgkmcnt(0)
	v_mul_hi_u32 v3, s1, v1
	v_add_u32_e32 v3, v1, v3
	v_lshrrev_b32_e32 v3, s2, v3
	v_mul_lo_u32 v3, v3, s0
	v_sub_u32_e32 v3, v1, v3
	v_mad_u64_u32 v[0:1], s[0:1], v3, s6, v[0:1]
	v_mad_u64_u32 v[8:9], s[0:1], v3, s7, v[8:9]
.LBB16_1155:
	s_load_dword s0, s[4:5], 0x170
	s_load_dwordx8 s[8:15], s[34:35], 0x148
	s_waitcnt lgkmcnt(0)
	s_lshr_b32 s20, s0, 8
	v_mov_b32_e32 v1, s11
	v_add_co_u32_e32 v14, vcc, s10, v14
	v_addc_co_u32_e32 v15, vcc, 0, v1, vcc
	v_mov_b32_e32 v1, 11
	v_cmp_lt_i16_sdwa s[0:1], s20, v1 src0_sel:BYTE_0 src1_sel:DWORD
	s_and_b64 vcc, exec, s[0:1]
	s_cbranch_vccnz .LBB16_1162
; %bb.1156:
	v_mov_b32_e32 v1, 25
	v_cmp_gt_i16_sdwa s[0:1], s20, v1 src0_sel:BYTE_0 src1_sel:DWORD
	s_mov_b64 s[4:5], 0
	s_and_b64 vcc, exec, s[0:1]
	s_cbranch_vccz .LBB16_1164
; %bb.1157:
	v_mov_b32_e32 v1, 28
	v_cmp_gt_i16_sdwa s[0:1], s20, v1 src0_sel:BYTE_0 src1_sel:DWORD
	s_and_b64 vcc, exec, s[0:1]
	s_cbranch_vccz .LBB16_1165
; %bb.1158:
	v_mov_b32_e32 v1, 43
	v_cmp_gt_i16_sdwa s[0:1], s20, v1 src0_sel:BYTE_0 src1_sel:DWORD
	;; [unrolled: 5-line block ×3, first 2 shown]
	s_and_b64 vcc, exec, s[0:1]
	s_cbranch_vccz .LBB16_1167
; %bb.1160:
	v_mov_b32_e32 v1, 46
	v_cmp_eq_u16_sdwa s[0:1], s20, v1 src0_sel:BYTE_0 src1_sel:DWORD
	s_mov_b64 s[2:3], 0
	s_and_b64 vcc, exec, s[0:1]
	s_cbranch_vccz .LBB16_1170
; %bb.1161:
	global_load_dword v1, v[14:15], off
	s_mov_b64 s[0:1], 0
	s_mov_b64 s[6:7], -1
	s_waitcnt vmcnt(0)
	v_lshlrev_b32_e32 v1, 16, v1
	s_branch .LBB16_1171
.LBB16_1162:
	s_mov_b64 s[6:7], 0
                                        ; implicit-def: $vgpr1
	s_mov_b64 s[2:3], s[28:29]
	s_cbranch_execnz .LBB16_1234
.LBB16_1163:
	s_andn2_b64 vcc, exec, s[6:7]
	s_cbranch_vccz .LBB16_1279
	s_branch .LBB16_2060
.LBB16_1164:
	s_mov_b64 s[6:7], 0
	s_mov_b64 s[0:1], 0
                                        ; implicit-def: $vgpr1
	s_cbranch_execnz .LBB16_1199
	s_branch .LBB16_1230
.LBB16_1165:
	s_mov_b64 s[2:3], -1
	s_mov_b64 s[6:7], 0
	s_mov_b64 s[0:1], 0
                                        ; implicit-def: $vgpr1
	s_branch .LBB16_1180
.LBB16_1166:
	s_mov_b64 s[6:7], 0
	s_mov_b64 s[0:1], 0
                                        ; implicit-def: $vgpr1
	s_cbranch_execnz .LBB16_1176
	s_branch .LBB16_1179
.LBB16_1167:
	s_mov_b64 s[2:3], -1
	s_mov_b64 s[6:7], 0
	s_mov_b64 s[0:1], 0
                                        ; implicit-def: $vgpr1
	s_branch .LBB16_1171
.LBB16_1168:
	s_or_saveexec_b64 s[14:15], s[14:15]
                                        ; implicit-def: $sgpr16
	s_xor_b64 exec, exec, s[14:15]
	s_cbranch_execz .LBB16_1011
.LBB16_1169:
	s_mov_b32 s16, 0x46000000
	v_add_f32_e64 v0, |v4|, s16
	v_and_b32_e32 v0, 0xff, v0
	v_cmp_ne_u32_e32 vcc, 0, v0
	s_andn2_b64 s[12:13], s[12:13], exec
	s_and_b64 s[18:19], vcc, exec
	s_mov_b32 s16, 0
	s_or_b64 s[12:13], s[12:13], s[18:19]
	s_or_b64 exec, exec, s[14:15]
	v_mov_b32_e32 v5, s16
	s_and_saveexec_b64 s[14:15], s[12:13]
	s_cbranch_execnz .LBB16_1012
	s_branch .LBB16_1013
.LBB16_1170:
	s_mov_b64 s[0:1], -1
                                        ; implicit-def: $vgpr1
	s_mov_b64 s[6:7], 0
.LBB16_1171:
	s_and_b64 vcc, exec, s[2:3]
	s_cbranch_vccz .LBB16_1174
; %bb.1172:
	v_mov_b32_e32 v1, 44
	v_cmp_eq_u16_sdwa s[0:1], s20, v1 src0_sel:BYTE_0 src1_sel:DWORD
	s_and_b64 vcc, exec, s[0:1]
	s_cbranch_vccz .LBB16_1175
; %bb.1173:
	global_load_ubyte v1, v[14:15], off
	s_movk_i32 s2, 0xff
	v_mov_b32_e32 v3, 0x7f800001
	s_waitcnt vmcnt(1)
	v_mov_b32_e32 v5, 0x400000
	s_mov_b64 s[0:1], 0
	s_mov_b64 s[6:7], -1
	s_waitcnt vmcnt(0)
	v_lshlrev_b32_e32 v7, 23, v1
	v_cmp_ne_u32_e32 vcc, s2, v1
	v_cndmask_b32_e32 v3, v3, v7, vcc
	v_cmp_ne_u32_e32 vcc, 0, v1
	v_cndmask_b32_e32 v1, v5, v3, vcc
.LBB16_1174:
	s_branch .LBB16_1179
.LBB16_1175:
	s_mov_b64 s[0:1], -1
                                        ; implicit-def: $vgpr1
	s_branch .LBB16_1179
.LBB16_1176:
	v_mov_b32_e32 v1, 29
	v_cmp_eq_u16_sdwa s[0:1], s20, v1 src0_sel:BYTE_0 src1_sel:DWORD
	s_and_b64 vcc, exec, s[0:1]
	s_cbranch_vccz .LBB16_1178
; %bb.1177:
	global_load_dwordx2 v[16:17], v[14:15], off
	s_mov_b64 s[0:1], 0
	s_mov_b64 s[6:7], -1
	s_mov_b64 s[2:3], 0
	s_waitcnt vmcnt(0)
	v_ffbh_u32_e32 v1, v17
	v_min_u32_e32 v1, 32, v1
	v_lshlrev_b64 v[16:17], v1, v[16:17]
	v_min_u32_e32 v3, 1, v16
	v_or_b32_e32 v3, v17, v3
	v_cvt_f32_u32_e32 v3, v3
	v_sub_u32_e32 v1, 32, v1
	v_ldexp_f32 v1, v3, v1
	s_branch .LBB16_1180
.LBB16_1178:
	s_mov_b64 s[0:1], -1
                                        ; implicit-def: $vgpr1
.LBB16_1179:
	s_mov_b64 s[2:3], 0
.LBB16_1180:
	s_and_b64 vcc, exec, s[2:3]
	s_cbranch_vccz .LBB16_1198
; %bb.1181:
	v_mov_b32_e32 v1, 27
	v_cmp_lt_i16_sdwa s[2:3], s20, v1 src0_sel:BYTE_0 src1_sel:DWORD
	s_and_b64 vcc, exec, s[2:3]
	s_cbranch_vccnz .LBB16_1184
; %bb.1182:
	v_cmp_gt_i16_sdwa s[2:3], s20, v1 src0_sel:BYTE_0 src1_sel:DWORD
	s_and_b64 vcc, exec, s[2:3]
	s_cbranch_vccz .LBB16_1185
; %bb.1183:
	global_load_dword v1, v[14:15], off
	s_mov_b64 s[2:3], 0
	s_waitcnt vmcnt(0)
	v_cvt_f32_u32_e32 v1, v1
	s_branch .LBB16_1186
.LBB16_1184:
	s_mov_b64 s[2:3], -1
                                        ; implicit-def: $vgpr1
	s_branch .LBB16_1189
.LBB16_1185:
	s_mov_b64 s[2:3], -1
                                        ; implicit-def: $vgpr1
.LBB16_1186:
	s_andn2_b64 vcc, exec, s[2:3]
	s_cbranch_vccnz .LBB16_1188
; %bb.1187:
	global_load_ushort v1, v[14:15], off
	s_waitcnt vmcnt(0)
	v_cvt_f32_u32_e32 v1, v1
.LBB16_1188:
	s_mov_b64 s[2:3], 0
.LBB16_1189:
	s_andn2_b64 vcc, exec, s[2:3]
	s_cbranch_vccnz .LBB16_1197
; %bb.1190:
	global_load_ubyte v3, v[14:15], off
	s_movk_i32 s2, 0x7f
                                        ; implicit-def: $sgpr18
	s_waitcnt vmcnt(0)
	v_cmp_lt_i16_e32 vcc, s2, v3
	s_mov_b64 s[2:3], 0
	s_and_saveexec_b64 s[6:7], vcc
	s_xor_b64 s[6:7], exec, s[6:7]
	s_cbranch_execz .LBB16_1210
; %bb.1191:
	s_movk_i32 s2, 0x80
	v_cmp_eq_u16_e32 vcc, s2, v3
	s_mov_b64 s[2:3], -1
                                        ; implicit-def: $sgpr18
	s_and_saveexec_b64 s[16:17], vcc
; %bb.1192:
	s_mov_b32 s18, 0x7f800001
	s_xor_b64 s[2:3], exec, -1
; %bb.1193:
	s_or_b64 exec, exec, s[16:17]
	s_and_b64 s[2:3], s[2:3], exec
	s_or_saveexec_b64 s[6:7], s[6:7]
	v_mov_b32_e32 v1, s18
	s_xor_b64 exec, exec, s[6:7]
	s_cbranch_execnz .LBB16_1211
.LBB16_1194:
	s_or_b64 exec, exec, s[6:7]
	s_and_saveexec_b64 s[6:7], s[2:3]
	s_cbranch_execz .LBB16_1196
.LBB16_1195:
	v_lshlrev_b32_e32 v1, 24, v3
	v_and_b32_e32 v3, 0xffff, v3
	v_and_b32_e32 v5, 7, v3
	v_ffbh_u32_e32 v9, v5
	v_min_u32_e32 v9, 32, v9
	v_subrev_u32_e32 v11, 28, v9
	v_bfe_u32 v7, v3, 3, 4
	v_lshlrev_b32_e32 v3, v11, v3
	v_sub_u32_e32 v9, 29, v9
	v_and_b32_e32 v3, 7, v3
	v_cmp_eq_u32_e32 vcc, 0, v7
	v_cndmask_b32_e32 v7, v7, v9, vcc
	v_cndmask_b32_e32 v3, v5, v3, vcc
	v_mov_b32_e32 v5, 0x3b800000
	v_lshlrev_b32_e32 v3, 20, v3
	v_and_b32_e32 v1, 0x80000000, v1
	v_lshl_add_u32 v5, v7, 23, v5
	v_or3_b32 v1, v1, v5, v3
.LBB16_1196:
	s_or_b64 exec, exec, s[6:7]
.LBB16_1197:
	s_mov_b64 s[6:7], -1
.LBB16_1198:
	s_branch .LBB16_1230
.LBB16_1199:
	v_mov_b32_e32 v1, 22
	v_cmp_gt_i16_sdwa s[2:3], s20, v1 src0_sel:BYTE_0 src1_sel:DWORD
	s_and_b64 vcc, exec, s[2:3]
	s_cbranch_vccz .LBB16_1209
; %bb.1200:
	v_mov_b32_e32 v1, 24
	v_cmp_lt_i16_sdwa s[2:3], s20, v1 src0_sel:BYTE_0 src1_sel:DWORD
	s_and_b64 vcc, exec, s[2:3]
	s_cbranch_vccnz .LBB16_1212
; %bb.1201:
	v_cmp_gt_i16_sdwa s[2:3], s20, v1 src0_sel:BYTE_0 src1_sel:DWORD
	s_and_b64 vcc, exec, s[2:3]
	s_cbranch_vccz .LBB16_1213
; %bb.1202:
	global_load_ubyte v3, v[14:15], off
	s_movk_i32 s2, 0x7f
                                        ; implicit-def: $sgpr16
	s_waitcnt vmcnt(0)
	v_cmp_lt_i16_e32 vcc, s2, v3
	s_mov_b64 s[2:3], 0
	s_and_saveexec_b64 s[4:5], vcc
	s_xor_b64 s[4:5], exec, s[4:5]
	s_cbranch_execz .LBB16_1224
; %bb.1203:
	s_movk_i32 s2, 0x80
	v_cmp_eq_u16_e32 vcc, s2, v3
	s_mov_b64 s[2:3], -1
                                        ; implicit-def: $sgpr16
	s_and_saveexec_b64 s[6:7], vcc
; %bb.1204:
	s_mov_b32 s16, 0x7f800001
	s_xor_b64 s[2:3], exec, -1
; %bb.1205:
	s_or_b64 exec, exec, s[6:7]
	s_and_b64 s[2:3], s[2:3], exec
	s_or_saveexec_b64 s[4:5], s[4:5]
	v_mov_b32_e32 v1, s16
	s_xor_b64 exec, exec, s[4:5]
	s_cbranch_execnz .LBB16_1225
.LBB16_1206:
	s_or_b64 exec, exec, s[4:5]
	s_and_saveexec_b64 s[4:5], s[2:3]
	s_cbranch_execz .LBB16_1208
.LBB16_1207:
	v_lshlrev_b32_e32 v1, 24, v3
	v_and_b32_e32 v3, 0xffff, v3
	v_and_b32_e32 v5, 3, v3
	v_ffbh_u32_e32 v9, v5
	v_min_u32_e32 v9, 32, v9
	v_subrev_u32_e32 v11, 29, v9
	v_bfe_u32 v7, v3, 2, 5
	v_lshlrev_b32_e32 v3, v11, v3
	v_sub_u32_e32 v9, 30, v9
	v_and_b32_e32 v3, 3, v3
	v_cmp_eq_u32_e32 vcc, 0, v7
	v_cndmask_b32_e32 v7, v7, v9, vcc
	v_cndmask_b32_e32 v3, v5, v3, vcc
	v_mov_b32_e32 v5, 0x37800000
	v_lshlrev_b32_e32 v3, 21, v3
	v_and_b32_e32 v1, 0x80000000, v1
	v_lshl_add_u32 v5, v7, 23, v5
	v_or3_b32 v1, v1, v5, v3
.LBB16_1208:
	s_or_b64 exec, exec, s[4:5]
	s_mov_b64 s[2:3], 0
	s_branch .LBB16_1214
.LBB16_1209:
                                        ; implicit-def: $vgpr1
	s_mov_b64 s[4:5], 0
	s_branch .LBB16_1220
.LBB16_1210:
	s_or_saveexec_b64 s[6:7], s[6:7]
	v_mov_b32_e32 v1, s18
	s_xor_b64 exec, exec, s[6:7]
	s_cbranch_execz .LBB16_1194
.LBB16_1211:
	v_cmp_ne_u16_e32 vcc, 0, v3
	s_andn2_b64 s[2:3], s[2:3], exec
	s_and_b64 s[16:17], vcc, exec
	v_mov_b32_e32 v1, 0
	s_or_b64 s[2:3], s[2:3], s[16:17]
	s_or_b64 exec, exec, s[6:7]
	s_and_saveexec_b64 s[6:7], s[2:3]
	s_cbranch_execnz .LBB16_1195
	s_branch .LBB16_1196
.LBB16_1212:
	s_mov_b64 s[2:3], -1
                                        ; implicit-def: $vgpr1
	s_branch .LBB16_1217
.LBB16_1213:
	s_mov_b64 s[2:3], -1
                                        ; implicit-def: $vgpr1
.LBB16_1214:
	s_and_b64 vcc, exec, s[2:3]
	s_cbranch_vccz .LBB16_1216
; %bb.1215:
	global_load_ubyte v1, v[14:15], off
	s_mov_b32 s2, 0x7f800000
	s_waitcnt vmcnt(0)
	v_lshlrev_b32_e32 v1, 24, v1
	v_and_b32_e32 v3, 0x7f000000, v1
	v_ffbh_u32_e32 v5, v3
	v_min_u32_e32 v5, 32, v5
	v_sub_u32_e64 v5, v5, 4 clamp
	v_lshlrev_b32_e32 v9, v5, v3
	v_lshlrev_b32_e32 v5, 23, v5
	v_lshrrev_b32_e32 v9, 4, v9
	v_add_u32_e32 v7, 0x1000000, v3
	v_sub_u32_e32 v5, v9, v5
	v_ashrrev_i32_e32 v7, 8, v7
	v_add_u32_e32 v5, 0x3c000000, v5
	v_and_or_b32 v5, v7, s2, v5
	v_cmp_ne_u32_e32 vcc, 0, v3
	v_cndmask_b32_e32 v3, 0, v5, vcc
	s_brev_b32 s2, 1
	v_and_or_b32 v1, v1, s2, v3
.LBB16_1216:
	s_mov_b64 s[2:3], 0
.LBB16_1217:
	s_andn2_b64 vcc, exec, s[2:3]
	s_cbranch_vccnz .LBB16_1219
; %bb.1218:
	global_load_ubyte v1, v[14:15], off
	s_movk_i32 s2, 0x7f00
	s_brev_b32 s3, 16
	s_waitcnt vmcnt(0)
	v_lshlrev_b16_e32 v3, 8, v1
	v_lshlrev_b32_e32 v1, 25, v1
	v_lshrrev_b32_e32 v5, 4, v1
	v_and_or_b32 v7, v3, s2, 0.5
	v_or_b32_e32 v5, 0x70000000, v5
	v_add_f32_e32 v7, -0.5, v7
	v_mul_f32_e32 v5, 0x7800000, v5
	v_cmp_gt_u32_e32 vcc, s3, v1
	v_bfe_i32 v3, v3, 0, 16
	v_cndmask_b32_e32 v1, v5, v7, vcc
	s_brev_b32 s2, 1
	v_and_or_b32 v1, v3, s2, v1
.LBB16_1219:
	s_mov_b64 s[6:7], -1
	s_mov_b64 s[4:5], 0
	s_cbranch_execnz .LBB16_1230
.LBB16_1220:
	v_mov_b32_e32 v1, 14
	v_cmp_gt_i16_sdwa s[2:3], s20, v1 src0_sel:BYTE_0 src1_sel:DWORD
	s_and_b64 vcc, exec, s[2:3]
	s_cbranch_vccz .LBB16_1223
; %bb.1221:
	v_mov_b32_e32 v1, 15
	v_cmp_eq_u16_sdwa s[0:1], s20, v1 src0_sel:BYTE_0 src1_sel:DWORD
	s_and_b64 vcc, exec, s[0:1]
	s_cbranch_vccz .LBB16_1226
; %bb.1222:
	global_load_ushort v1, v[14:15], off
	s_mov_b64 s[0:1], 0
	s_mov_b64 s[6:7], -1
	s_waitcnt vmcnt(0)
	v_lshlrev_b32_e32 v1, 16, v1
	s_branch .LBB16_1227
.LBB16_1223:
	s_mov_b64 s[2:3], -1
                                        ; implicit-def: $vgpr1
	s_branch .LBB16_1228
.LBB16_1224:
	s_or_saveexec_b64 s[4:5], s[4:5]
	v_mov_b32_e32 v1, s16
	s_xor_b64 exec, exec, s[4:5]
	s_cbranch_execz .LBB16_1206
.LBB16_1225:
	v_cmp_ne_u16_e32 vcc, 0, v3
	s_andn2_b64 s[2:3], s[2:3], exec
	s_and_b64 s[6:7], vcc, exec
	v_mov_b32_e32 v1, 0
	s_or_b64 s[2:3], s[2:3], s[6:7]
	s_or_b64 exec, exec, s[4:5]
	s_and_saveexec_b64 s[4:5], s[2:3]
	s_cbranch_execnz .LBB16_1207
	s_branch .LBB16_1208
.LBB16_1226:
	s_mov_b64 s[0:1], -1
                                        ; implicit-def: $vgpr1
.LBB16_1227:
	s_mov_b64 s[2:3], 0
.LBB16_1228:
	s_and_b64 vcc, exec, s[2:3]
	s_cbranch_vccz .LBB16_1230
; %bb.1229:
	v_mov_b32_e32 v1, 11
	v_cmp_ne_u16_sdwa s[0:1], s20, v1 src0_sel:BYTE_0 src1_sel:DWORD
	s_mov_b64 s[4:5], -1
                                        ; implicit-def: $vgpr1
.LBB16_1230:
	s_and_b64 vcc, exec, s[0:1]
	s_mov_b64 s[2:3], s[28:29]
	s_cbranch_vccnz .LBB16_1293
; %bb.1231:
	s_andn2_b64 vcc, exec, s[4:5]
	s_cbranch_vccnz .LBB16_1233
.LBB16_1232:
	global_load_ubyte v1, v[14:15], off
	s_mov_b64 s[6:7], -1
	s_waitcnt vmcnt(0)
	v_cmp_ne_u16_e32 vcc, 0, v1
	v_cndmask_b32_e64 v1, 0, 1.0, vcc
.LBB16_1233:
	s_branch .LBB16_1163
.LBB16_1234:
	v_mov_b32_e32 v1, 5
	v_cmp_lt_i16_sdwa s[0:1], s20, v1 src0_sel:BYTE_0 src1_sel:DWORD
	s_and_b64 vcc, exec, s[0:1]
	s_cbranch_vccnz .LBB16_1239
; %bb.1235:
	v_mov_b32_e32 v1, 8
	v_cmp_lt_i16_sdwa s[0:1], s20, v1 src0_sel:BYTE_0 src1_sel:DWORD
	s_and_b64 vcc, exec, s[0:1]
	s_cbranch_vccnz .LBB16_1240
; %bb.1236:
	;; [unrolled: 5-line block ×3, first 2 shown]
	v_cmp_gt_i16_sdwa s[0:1], s20, v1 src0_sel:BYTE_0 src1_sel:DWORD
	s_and_b64 vcc, exec, s[0:1]
	s_cbranch_vccz .LBB16_1242
; %bb.1238:
	global_load_dwordx2 v[16:17], v[14:15], off
	s_mov_b64 s[0:1], 0
	s_waitcnt vmcnt(0)
	v_cvt_f32_f64_e32 v1, v[16:17]
	s_branch .LBB16_1243
.LBB16_1239:
                                        ; implicit-def: $vgpr1
	s_branch .LBB16_1260
.LBB16_1240:
                                        ; implicit-def: $vgpr1
	s_branch .LBB16_1249
.LBB16_1241:
	s_mov_b64 s[0:1], -1
                                        ; implicit-def: $vgpr1
	s_branch .LBB16_1246
.LBB16_1242:
	s_mov_b64 s[0:1], -1
                                        ; implicit-def: $vgpr1
.LBB16_1243:
	s_andn2_b64 vcc, exec, s[0:1]
	s_cbranch_vccnz .LBB16_1245
; %bb.1244:
	global_load_dword v1, v[14:15], off
.LBB16_1245:
	s_mov_b64 s[0:1], 0
.LBB16_1246:
	s_andn2_b64 vcc, exec, s[0:1]
	s_cbranch_vccnz .LBB16_1248
; %bb.1247:
	global_load_dword v1, v[14:15], off
	s_waitcnt vmcnt(0)
	v_cvt_f32_f16_e32 v1, v1
.LBB16_1248:
	s_cbranch_execnz .LBB16_1259
.LBB16_1249:
	s_waitcnt vmcnt(0)
	v_mov_b32_e32 v1, 6
	v_cmp_lt_i16_sdwa s[0:1], s20, v1 src0_sel:BYTE_0 src1_sel:DWORD
	s_and_b64 vcc, exec, s[0:1]
	s_cbranch_vccnz .LBB16_1252
; %bb.1250:
	v_cmp_gt_i16_sdwa s[0:1], s20, v1 src0_sel:BYTE_0 src1_sel:DWORD
	s_and_b64 vcc, exec, s[0:1]
	s_cbranch_vccz .LBB16_1253
; %bb.1251:
	global_load_dwordx2 v[16:17], v[14:15], off
	s_mov_b64 s[0:1], 0
	s_waitcnt vmcnt(0)
	v_cvt_f32_f64_e32 v1, v[16:17]
	s_branch .LBB16_1254
.LBB16_1252:
	s_mov_b64 s[0:1], -1
                                        ; implicit-def: $vgpr1
	s_branch .LBB16_1257
.LBB16_1253:
	s_mov_b64 s[0:1], -1
                                        ; implicit-def: $vgpr1
.LBB16_1254:
	s_andn2_b64 vcc, exec, s[0:1]
	s_cbranch_vccnz .LBB16_1256
; %bb.1255:
	global_load_dword v1, v[14:15], off
.LBB16_1256:
	s_mov_b64 s[0:1], 0
.LBB16_1257:
	s_andn2_b64 vcc, exec, s[0:1]
	s_cbranch_vccnz .LBB16_1259
; %bb.1258:
	global_load_ushort v1, v[14:15], off
	s_waitcnt vmcnt(0)
	v_cvt_f32_f16_e32 v1, v1
.LBB16_1259:
	s_cbranch_execnz .LBB16_1278
.LBB16_1260:
	s_waitcnt vmcnt(0)
	v_mov_b32_e32 v1, 2
	v_cmp_lt_i16_sdwa s[0:1], s20, v1 src0_sel:BYTE_0 src1_sel:DWORD
	s_and_b64 vcc, exec, s[0:1]
	s_cbranch_vccnz .LBB16_1264
; %bb.1261:
	v_mov_b32_e32 v1, 3
	v_cmp_lt_i16_sdwa s[0:1], s20, v1 src0_sel:BYTE_0 src1_sel:DWORD
	s_and_b64 vcc, exec, s[0:1]
	s_cbranch_vccnz .LBB16_1265
; %bb.1262:
	v_cmp_gt_i16_sdwa s[0:1], s20, v1 src0_sel:BYTE_0 src1_sel:DWORD
	s_and_b64 vcc, exec, s[0:1]
	s_cbranch_vccz .LBB16_1266
; %bb.1263:
	global_load_dwordx2 v[16:17], v[14:15], off
	s_mov_b64 s[0:1], 0
	s_waitcnt vmcnt(0)
	v_xor_b32_e32 v3, v16, v17
	v_ffbh_i32_e32 v1, v17
	v_ashrrev_i32_e32 v3, 31, v3
	v_add_u32_e32 v1, -1, v1
	v_add_u32_e32 v3, 32, v3
	v_min_u32_e32 v1, v1, v3
	v_lshlrev_b64 v[16:17], v1, v[16:17]
	v_min_u32_e32 v3, 1, v16
	v_or_b32_e32 v3, v17, v3
	v_cvt_f32_i32_e32 v3, v3
	v_sub_u32_e32 v1, 32, v1
	v_ldexp_f32 v1, v3, v1
	s_branch .LBB16_1267
.LBB16_1264:
                                        ; implicit-def: $vgpr1
	s_branch .LBB16_1273
.LBB16_1265:
	s_mov_b64 s[0:1], -1
                                        ; implicit-def: $vgpr1
	s_branch .LBB16_1270
.LBB16_1266:
	s_mov_b64 s[0:1], -1
                                        ; implicit-def: $vgpr1
.LBB16_1267:
	s_andn2_b64 vcc, exec, s[0:1]
	s_cbranch_vccnz .LBB16_1269
; %bb.1268:
	global_load_dword v1, v[14:15], off
	s_waitcnt vmcnt(0)
	v_cvt_f32_i32_e32 v1, v1
.LBB16_1269:
	s_mov_b64 s[0:1], 0
.LBB16_1270:
	s_andn2_b64 vcc, exec, s[0:1]
	s_cbranch_vccnz .LBB16_1272
; %bb.1271:
	global_load_sshort v1, v[14:15], off
	s_waitcnt vmcnt(0)
	v_cvt_f32_i32_e32 v1, v1
.LBB16_1272:
	s_cbranch_execnz .LBB16_1278
.LBB16_1273:
	v_mov_b32_e32 v1, 0
	v_cmp_gt_i16_sdwa s[0:1], s20, v1 src0_sel:BYTE_0 src1_sel:DWORD
	s_and_b64 vcc, exec, s[0:1]
	s_cbranch_vccz .LBB16_1275
; %bb.1274:
	global_load_sbyte v1, v[14:15], off
	s_mov_b64 s[0:1], 0
	s_waitcnt vmcnt(0)
	v_cvt_f32_i32_e32 v1, v1
	s_branch .LBB16_1276
.LBB16_1275:
	s_mov_b64 s[0:1], -1
                                        ; implicit-def: $vgpr1
.LBB16_1276:
	s_andn2_b64 vcc, exec, s[0:1]
	s_cbranch_vccnz .LBB16_1278
; %bb.1277:
	global_load_ubyte v1, v[14:15], off
	s_waitcnt vmcnt(0)
	v_cvt_f32_ubyte0_e32 v1, v1
.LBB16_1278:
.LBB16_1279:
	s_mov_b32 s0, 0x7f800000
	s_waitcnt vmcnt(0)
	v_cmp_nlg_f32_e64 s[4:5], |v1|, s0
	s_and_saveexec_b64 s[0:1], s[4:5]
	s_cbranch_execz .LBB16_1281
; %bb.1280:
	v_mov_b32_e32 v3, 0
	v_mov_b32_e32 v5, 1.0
	global_store_dword v3, v5, s[12:13]
.LBB16_1281:
	s_or_b64 exec, exec, s[0:1]
	v_mov_b32_e32 v3, 0
	global_load_dword v5, v3, s[14:15]
	v_mov_b32_e32 v3, s11
	v_add_co_u32_e32 v12, vcc, s10, v12
	v_addc_co_u32_e32 v13, vcc, 0, v3, vcc
	v_mov_b32_e32 v3, 11
	v_cmp_lt_i16_sdwa s[0:1], s20, v3 src0_sel:BYTE_0 src1_sel:DWORD
	s_and_b64 vcc, exec, s[0:1]
	s_cbranch_vccnz .LBB16_1288
; %bb.1282:
	v_mov_b32_e32 v3, 25
	v_cmp_gt_i16_sdwa s[0:1], s20, v3 src0_sel:BYTE_0 src1_sel:DWORD
	s_mov_b64 s[4:5], 0
	s_and_b64 vcc, exec, s[0:1]
	s_cbranch_vccz .LBB16_1290
; %bb.1283:
	v_mov_b32_e32 v3, 28
	v_cmp_gt_i16_sdwa s[0:1], s20, v3 src0_sel:BYTE_0 src1_sel:DWORD
	s_and_b64 vcc, exec, s[0:1]
	s_cbranch_vccz .LBB16_1291
; %bb.1284:
	v_mov_b32_e32 v3, 43
	v_cmp_gt_i16_sdwa s[0:1], s20, v3 src0_sel:BYTE_0 src1_sel:DWORD
	;; [unrolled: 5-line block ×3, first 2 shown]
	s_and_b64 vcc, exec, s[0:1]
	s_cbranch_vccz .LBB16_1294
; %bb.1286:
	v_mov_b32_e32 v3, 46
	v_cmp_eq_u16_sdwa s[0:1], s20, v3 src0_sel:BYTE_0 src1_sel:DWORD
	s_mov_b64 s[16:17], 0
	s_and_b64 vcc, exec, s[0:1]
	s_cbranch_vccz .LBB16_1297
; %bb.1287:
	global_load_dword v3, v[12:13], off
	s_mov_b64 s[0:1], 0
	s_mov_b64 s[6:7], -1
	s_waitcnt vmcnt(0)
	v_lshlrev_b32_e32 v3, 16, v3
	s_branch .LBB16_1298
.LBB16_1288:
	s_mov_b64 s[6:7], 0
                                        ; implicit-def: $vgpr3
	s_cbranch_execnz .LBB16_1363
.LBB16_1289:
	s_andn2_b64 vcc, exec, s[6:7]
	s_cbranch_vccnz .LBB16_2060
	s_branch .LBB16_1410
.LBB16_1290:
	s_mov_b64 s[6:7], 0
	s_mov_b64 s[0:1], 0
                                        ; implicit-def: $vgpr3
	s_cbranch_execnz .LBB16_1327
	s_branch .LBB16_1359
.LBB16_1291:
	s_mov_b64 s[16:17], -1
	s_mov_b64 s[6:7], 0
	s_mov_b64 s[0:1], 0
                                        ; implicit-def: $vgpr3
	s_branch .LBB16_1308
.LBB16_1292:
	s_mov_b64 s[16:17], -1
	s_mov_b64 s[6:7], 0
	s_mov_b64 s[0:1], 0
                                        ; implicit-def: $vgpr3
	s_branch .LBB16_1303
.LBB16_1293:
	s_or_b64 s[2:3], s[28:29], exec
	s_trap 2
                                        ; implicit-def: $vgpr1
	s_cbranch_execz .LBB16_1232
	s_branch .LBB16_1233
.LBB16_1294:
	s_mov_b64 s[16:17], -1
	s_mov_b64 s[6:7], 0
	s_mov_b64 s[0:1], 0
                                        ; implicit-def: $vgpr3
	s_branch .LBB16_1298
.LBB16_1295:
	s_or_saveexec_b64 s[16:17], s[16:17]
                                        ; implicit-def: $sgpr18
	s_xor_b64 exec, exec, s[16:17]
	s_cbranch_execz .LBB16_1023
.LBB16_1296:
	s_mov_b32 s18, 0x42800000
	v_add_f32_e64 v0, |v4|, s18
	v_and_b32_e32 v0, 0xff, v0
	v_cmp_ne_u32_e32 vcc, 0, v0
	s_andn2_b64 s[14:15], s[14:15], exec
	s_and_b64 s[20:21], vcc, exec
	s_mov_b32 s18, 0
	s_or_b64 s[14:15], s[14:15], s[20:21]
	s_or_b64 exec, exec, s[16:17]
	v_mov_b32_e32 v5, s18
	s_and_saveexec_b64 s[16:17], s[14:15]
	s_cbranch_execnz .LBB16_1024
	s_branch .LBB16_1025
.LBB16_1297:
	s_mov_b64 s[0:1], -1
                                        ; implicit-def: $vgpr3
	s_mov_b64 s[6:7], 0
.LBB16_1298:
	s_and_b64 vcc, exec, s[16:17]
	s_cbranch_vccz .LBB16_1302
; %bb.1299:
	v_mov_b32_e32 v3, 44
	v_cmp_eq_u16_sdwa s[0:1], s20, v3 src0_sel:BYTE_0 src1_sel:DWORD
	s_and_b64 vcc, exec, s[0:1]
	s_cbranch_vccz .LBB16_1301
; %bb.1300:
	global_load_ubyte v3, v[12:13], off
	s_movk_i32 s6, 0xff
	v_mov_b32_e32 v7, 0x7f800001
	v_mov_b32_e32 v9, 0x400000
	s_mov_b64 s[0:1], 0
	s_waitcnt vmcnt(0)
	v_lshlrev_b32_e32 v11, 23, v3
	v_cmp_ne_u32_e32 vcc, s6, v3
	v_cndmask_b32_e32 v7, v7, v11, vcc
	v_cmp_ne_u32_e32 vcc, 0, v3
	v_cndmask_b32_e32 v3, v9, v7, vcc
	s_mov_b64 s[6:7], -1
	s_branch .LBB16_1302
.LBB16_1301:
	s_mov_b64 s[0:1], -1
                                        ; implicit-def: $vgpr3
.LBB16_1302:
	s_mov_b64 s[16:17], 0
.LBB16_1303:
	s_and_b64 vcc, exec, s[16:17]
	s_cbranch_vccz .LBB16_1307
; %bb.1304:
	v_mov_b32_e32 v3, 29
	v_cmp_eq_u16_sdwa s[0:1], s20, v3 src0_sel:BYTE_0 src1_sel:DWORD
	s_and_b64 vcc, exec, s[0:1]
	s_cbranch_vccz .LBB16_1306
; %bb.1305:
	global_load_dwordx2 v[14:15], v[12:13], off
	s_mov_b64 s[0:1], 0
	s_mov_b64 s[6:7], -1
	s_mov_b64 s[16:17], 0
	s_waitcnt vmcnt(0)
	v_ffbh_u32_e32 v3, v15
	v_min_u32_e32 v3, 32, v3
	v_lshlrev_b64 v[14:15], v3, v[14:15]
	v_min_u32_e32 v7, 1, v14
	v_or_b32_e32 v7, v15, v7
	v_cvt_f32_u32_e32 v7, v7
	v_sub_u32_e32 v3, 32, v3
	v_ldexp_f32 v3, v7, v3
	s_branch .LBB16_1308
.LBB16_1306:
	s_mov_b64 s[0:1], -1
                                        ; implicit-def: $vgpr3
.LBB16_1307:
	s_mov_b64 s[16:17], 0
.LBB16_1308:
	s_and_b64 vcc, exec, s[16:17]
	s_cbranch_vccz .LBB16_1326
; %bb.1309:
	v_mov_b32_e32 v3, 27
	v_cmp_lt_i16_sdwa s[6:7], s20, v3 src0_sel:BYTE_0 src1_sel:DWORD
	s_and_b64 vcc, exec, s[6:7]
	s_cbranch_vccnz .LBB16_1312
; %bb.1310:
	v_cmp_gt_i16_sdwa s[6:7], s20, v3 src0_sel:BYTE_0 src1_sel:DWORD
	s_and_b64 vcc, exec, s[6:7]
	s_cbranch_vccz .LBB16_1313
; %bb.1311:
	global_load_dword v3, v[12:13], off
	s_mov_b64 s[6:7], 0
	s_waitcnt vmcnt(0)
	v_cvt_f32_u32_e32 v3, v3
	s_branch .LBB16_1314
.LBB16_1312:
	s_mov_b64 s[6:7], -1
                                        ; implicit-def: $vgpr3
	s_branch .LBB16_1317
.LBB16_1313:
	s_mov_b64 s[6:7], -1
                                        ; implicit-def: $vgpr3
.LBB16_1314:
	s_andn2_b64 vcc, exec, s[6:7]
	s_cbranch_vccnz .LBB16_1316
; %bb.1315:
	global_load_ushort v3, v[12:13], off
	s_waitcnt vmcnt(0)
	v_cvt_f32_u32_e32 v3, v3
.LBB16_1316:
	s_mov_b64 s[6:7], 0
.LBB16_1317:
	s_andn2_b64 vcc, exec, s[6:7]
	s_cbranch_vccnz .LBB16_1325
; %bb.1318:
	global_load_ubyte v7, v[12:13], off
	s_movk_i32 s6, 0x7f
                                        ; implicit-def: $sgpr21
	s_waitcnt vmcnt(0)
	v_cmp_lt_i16_e32 vcc, s6, v7
	s_mov_b64 s[6:7], 0
	s_and_saveexec_b64 s[16:17], vcc
	s_xor_b64 s[16:17], exec, s[16:17]
	s_cbranch_execz .LBB16_1338
; %bb.1319:
	s_movk_i32 s6, 0x80
	v_cmp_eq_u16_e32 vcc, s6, v7
	s_mov_b64 s[6:7], -1
                                        ; implicit-def: $sgpr21
	s_and_saveexec_b64 s[18:19], vcc
; %bb.1320:
	s_mov_b32 s21, 0x7f800001
	s_xor_b64 s[6:7], exec, -1
; %bb.1321:
	s_or_b64 exec, exec, s[18:19]
	s_and_b64 s[6:7], s[6:7], exec
	s_or_saveexec_b64 s[16:17], s[16:17]
	v_mov_b32_e32 v3, s21
	s_xor_b64 exec, exec, s[16:17]
	s_cbranch_execnz .LBB16_1339
.LBB16_1322:
	s_or_b64 exec, exec, s[16:17]
	s_and_saveexec_b64 s[16:17], s[6:7]
	s_cbranch_execz .LBB16_1324
.LBB16_1323:
	v_lshlrev_b32_e32 v3, 24, v7
	v_and_b32_e32 v7, 0xffff, v7
	v_and_b32_e32 v9, 7, v7
	v_ffbh_u32_e32 v14, v9
	v_min_u32_e32 v14, 32, v14
	v_subrev_u32_e32 v15, 28, v14
	v_bfe_u32 v11, v7, 3, 4
	v_lshlrev_b32_e32 v7, v15, v7
	v_sub_u32_e32 v14, 29, v14
	v_and_b32_e32 v7, 7, v7
	v_cmp_eq_u32_e32 vcc, 0, v11
	v_cndmask_b32_e32 v11, v11, v14, vcc
	v_cndmask_b32_e32 v7, v9, v7, vcc
	v_mov_b32_e32 v9, 0x3b800000
	v_lshlrev_b32_e32 v7, 20, v7
	v_and_b32_e32 v3, 0x80000000, v3
	v_lshl_add_u32 v9, v11, 23, v9
	v_or3_b32 v3, v3, v9, v7
.LBB16_1324:
	s_or_b64 exec, exec, s[16:17]
.LBB16_1325:
	s_mov_b64 s[6:7], -1
.LBB16_1326:
	s_branch .LBB16_1359
.LBB16_1327:
	v_mov_b32_e32 v3, 22
	v_cmp_gt_i16_sdwa s[4:5], s20, v3 src0_sel:BYTE_0 src1_sel:DWORD
	s_and_b64 vcc, exec, s[4:5]
	s_cbranch_vccz .LBB16_1337
; %bb.1328:
	v_mov_b32_e32 v3, 24
	v_cmp_lt_i16_sdwa s[4:5], s20, v3 src0_sel:BYTE_0 src1_sel:DWORD
	s_and_b64 vcc, exec, s[4:5]
	s_cbranch_vccnz .LBB16_1340
; %bb.1329:
	v_cmp_gt_i16_sdwa s[4:5], s20, v3 src0_sel:BYTE_0 src1_sel:DWORD
	s_and_b64 vcc, exec, s[4:5]
	s_cbranch_vccz .LBB16_1341
; %bb.1330:
	global_load_ubyte v7, v[12:13], off
	s_movk_i32 s4, 0x7f
                                        ; implicit-def: $sgpr18
	s_waitcnt vmcnt(0)
	v_cmp_lt_i16_e32 vcc, s4, v7
	s_mov_b64 s[4:5], 0
	s_and_saveexec_b64 s[6:7], vcc
	s_xor_b64 s[6:7], exec, s[6:7]
	s_cbranch_execz .LBB16_1353
; %bb.1331:
	s_movk_i32 s4, 0x80
	v_cmp_eq_u16_e32 vcc, s4, v7
	s_mov_b64 s[4:5], -1
                                        ; implicit-def: $sgpr18
	s_and_saveexec_b64 s[16:17], vcc
; %bb.1332:
	s_mov_b32 s18, 0x7f800001
	s_xor_b64 s[4:5], exec, -1
; %bb.1333:
	s_or_b64 exec, exec, s[16:17]
	s_and_b64 s[4:5], s[4:5], exec
	s_or_saveexec_b64 s[6:7], s[6:7]
	v_mov_b32_e32 v3, s18
	s_xor_b64 exec, exec, s[6:7]
	s_cbranch_execnz .LBB16_1354
.LBB16_1334:
	s_or_b64 exec, exec, s[6:7]
	s_and_saveexec_b64 s[6:7], s[4:5]
	s_cbranch_execz .LBB16_1336
.LBB16_1335:
	v_lshlrev_b32_e32 v3, 24, v7
	v_and_b32_e32 v7, 0xffff, v7
	v_and_b32_e32 v9, 3, v7
	v_ffbh_u32_e32 v14, v9
	v_min_u32_e32 v14, 32, v14
	v_subrev_u32_e32 v15, 29, v14
	v_bfe_u32 v11, v7, 2, 5
	v_lshlrev_b32_e32 v7, v15, v7
	v_sub_u32_e32 v14, 30, v14
	v_and_b32_e32 v7, 3, v7
	v_cmp_eq_u32_e32 vcc, 0, v11
	v_cndmask_b32_e32 v11, v11, v14, vcc
	v_cndmask_b32_e32 v7, v9, v7, vcc
	v_mov_b32_e32 v9, 0x37800000
	v_lshlrev_b32_e32 v7, 21, v7
	v_and_b32_e32 v3, 0x80000000, v3
	v_lshl_add_u32 v9, v11, 23, v9
	v_or3_b32 v3, v3, v9, v7
.LBB16_1336:
	s_or_b64 exec, exec, s[6:7]
	s_mov_b64 s[4:5], 0
	s_branch .LBB16_1342
.LBB16_1337:
	s_mov_b64 s[4:5], -1
                                        ; implicit-def: $vgpr3
	s_branch .LBB16_1348
.LBB16_1338:
	s_or_saveexec_b64 s[16:17], s[16:17]
	v_mov_b32_e32 v3, s21
	s_xor_b64 exec, exec, s[16:17]
	s_cbranch_execz .LBB16_1322
.LBB16_1339:
	v_cmp_ne_u16_e32 vcc, 0, v7
	s_andn2_b64 s[6:7], s[6:7], exec
	s_and_b64 s[18:19], vcc, exec
	v_mov_b32_e32 v3, 0
	s_or_b64 s[6:7], s[6:7], s[18:19]
	s_or_b64 exec, exec, s[16:17]
	s_and_saveexec_b64 s[16:17], s[6:7]
	s_cbranch_execnz .LBB16_1323
	s_branch .LBB16_1324
.LBB16_1340:
	s_mov_b64 s[4:5], -1
                                        ; implicit-def: $vgpr3
	s_branch .LBB16_1345
.LBB16_1341:
	s_mov_b64 s[4:5], -1
                                        ; implicit-def: $vgpr3
.LBB16_1342:
	s_and_b64 vcc, exec, s[4:5]
	s_cbranch_vccz .LBB16_1344
; %bb.1343:
	global_load_ubyte v3, v[12:13], off
	s_mov_b32 s4, 0x7f800000
	s_waitcnt vmcnt(0)
	v_lshlrev_b32_e32 v3, 24, v3
	v_and_b32_e32 v7, 0x7f000000, v3
	v_ffbh_u32_e32 v9, v7
	v_min_u32_e32 v9, 32, v9
	v_sub_u32_e64 v9, v9, 4 clamp
	v_lshlrev_b32_e32 v14, v9, v7
	v_lshlrev_b32_e32 v9, 23, v9
	v_lshrrev_b32_e32 v14, 4, v14
	v_add_u32_e32 v11, 0x1000000, v7
	v_sub_u32_e32 v9, v14, v9
	v_ashrrev_i32_e32 v11, 8, v11
	v_add_u32_e32 v9, 0x3c000000, v9
	v_and_or_b32 v9, v11, s4, v9
	v_cmp_ne_u32_e32 vcc, 0, v7
	v_cndmask_b32_e32 v7, 0, v9, vcc
	s_brev_b32 s4, 1
	v_and_or_b32 v3, v3, s4, v7
.LBB16_1344:
	s_mov_b64 s[4:5], 0
.LBB16_1345:
	s_andn2_b64 vcc, exec, s[4:5]
	s_cbranch_vccnz .LBB16_1347
; %bb.1346:
	global_load_ubyte v3, v[12:13], off
	s_movk_i32 s4, 0x7f00
	s_brev_b32 s5, 16
	s_waitcnt vmcnt(0)
	v_lshlrev_b16_e32 v7, 8, v3
	v_lshlrev_b32_e32 v3, 25, v3
	v_lshrrev_b32_e32 v9, 4, v3
	v_and_or_b32 v11, v7, s4, 0.5
	v_or_b32_e32 v9, 0x70000000, v9
	v_add_f32_e32 v11, -0.5, v11
	v_mul_f32_e32 v9, 0x7800000, v9
	v_cmp_gt_u32_e32 vcc, s5, v3
	v_bfe_i32 v7, v7, 0, 16
	v_cndmask_b32_e32 v3, v9, v11, vcc
	s_brev_b32 s4, 1
	v_and_or_b32 v3, v7, s4, v3
.LBB16_1347:
	s_mov_b64 s[4:5], 0
	s_mov_b64 s[6:7], -1
.LBB16_1348:
	s_andn2_b64 vcc, exec, s[4:5]
	s_mov_b64 s[4:5], 0
	s_cbranch_vccnz .LBB16_1359
; %bb.1349:
	v_mov_b32_e32 v3, 14
	v_cmp_gt_i16_sdwa s[4:5], s20, v3 src0_sel:BYTE_0 src1_sel:DWORD
	s_and_b64 vcc, exec, s[4:5]
	s_cbranch_vccz .LBB16_1352
; %bb.1350:
	v_mov_b32_e32 v3, 15
	v_cmp_eq_u16_sdwa s[0:1], s20, v3 src0_sel:BYTE_0 src1_sel:DWORD
	s_and_b64 vcc, exec, s[0:1]
	s_cbranch_vccz .LBB16_1355
; %bb.1351:
	global_load_ushort v3, v[12:13], off
	s_mov_b64 s[0:1], 0
	s_mov_b64 s[6:7], -1
	s_waitcnt vmcnt(0)
	v_lshlrev_b32_e32 v3, 16, v3
	s_branch .LBB16_1356
.LBB16_1352:
	s_mov_b64 s[16:17], -1
                                        ; implicit-def: $vgpr3
	s_branch .LBB16_1357
.LBB16_1353:
	s_or_saveexec_b64 s[6:7], s[6:7]
	v_mov_b32_e32 v3, s18
	s_xor_b64 exec, exec, s[6:7]
	s_cbranch_execz .LBB16_1334
.LBB16_1354:
	v_cmp_ne_u16_e32 vcc, 0, v7
	s_andn2_b64 s[4:5], s[4:5], exec
	s_and_b64 s[16:17], vcc, exec
	v_mov_b32_e32 v3, 0
	s_or_b64 s[4:5], s[4:5], s[16:17]
	s_or_b64 exec, exec, s[6:7]
	s_and_saveexec_b64 s[6:7], s[4:5]
	s_cbranch_execnz .LBB16_1335
	s_branch .LBB16_1336
.LBB16_1355:
	s_mov_b64 s[0:1], -1
                                        ; implicit-def: $vgpr3
.LBB16_1356:
	s_mov_b64 s[16:17], 0
.LBB16_1357:
	s_mov_b64 s[4:5], 0
	s_and_b64 vcc, exec, s[16:17]
	s_cbranch_vccz .LBB16_1359
; %bb.1358:
	v_mov_b32_e32 v3, 11
	v_cmp_ne_u16_sdwa s[0:1], s20, v3 src0_sel:BYTE_0 src1_sel:DWORD
	s_mov_b64 s[4:5], -1
                                        ; implicit-def: $vgpr3
.LBB16_1359:
	s_and_b64 vcc, exec, s[0:1]
	s_cbranch_vccnz .LBB16_1424
; %bb.1360:
	s_andn2_b64 vcc, exec, s[4:5]
	s_cbranch_vccnz .LBB16_1362
.LBB16_1361:
	global_load_ubyte v3, v[12:13], off
	s_mov_b64 s[6:7], -1
	s_waitcnt vmcnt(0)
	v_cmp_ne_u16_e32 vcc, 0, v3
	v_cndmask_b32_e64 v3, 0, 1.0, vcc
.LBB16_1362:
	s_branch .LBB16_1289
.LBB16_1363:
	v_mov_b32_e32 v3, 5
	v_cmp_lt_i16_sdwa s[0:1], s20, v3 src0_sel:BYTE_0 src1_sel:DWORD
	s_and_b64 vcc, exec, s[0:1]
	s_cbranch_vccnz .LBB16_1368
; %bb.1364:
	v_mov_b32_e32 v3, 8
	v_cmp_lt_i16_sdwa s[0:1], s20, v3 src0_sel:BYTE_0 src1_sel:DWORD
	s_and_b64 vcc, exec, s[0:1]
	s_cbranch_vccnz .LBB16_1369
; %bb.1365:
	;; [unrolled: 5-line block ×3, first 2 shown]
	v_cmp_gt_i16_sdwa s[0:1], s20, v3 src0_sel:BYTE_0 src1_sel:DWORD
	s_and_b64 vcc, exec, s[0:1]
	s_cbranch_vccz .LBB16_1371
; %bb.1367:
	global_load_dwordx2 v[14:15], v[12:13], off
	s_mov_b64 s[0:1], 0
	s_waitcnt vmcnt(0)
	v_cvt_f32_f64_e32 v3, v[14:15]
	s_branch .LBB16_1372
.LBB16_1368:
                                        ; implicit-def: $vgpr3
	s_branch .LBB16_1390
.LBB16_1369:
	s_mov_b64 s[0:1], -1
                                        ; implicit-def: $vgpr3
	s_branch .LBB16_1378
.LBB16_1370:
	s_mov_b64 s[0:1], -1
                                        ; implicit-def: $vgpr3
	s_branch .LBB16_1375
.LBB16_1371:
	s_mov_b64 s[0:1], -1
                                        ; implicit-def: $vgpr3
.LBB16_1372:
	s_andn2_b64 vcc, exec, s[0:1]
	s_cbranch_vccnz .LBB16_1374
; %bb.1373:
	global_load_dword v3, v[12:13], off
.LBB16_1374:
	s_mov_b64 s[0:1], 0
.LBB16_1375:
	s_andn2_b64 vcc, exec, s[0:1]
	s_cbranch_vccnz .LBB16_1377
; %bb.1376:
	global_load_dword v3, v[12:13], off
	s_waitcnt vmcnt(0)
	v_cvt_f32_f16_e32 v3, v3
.LBB16_1377:
	s_mov_b64 s[0:1], 0
.LBB16_1378:
	s_andn2_b64 vcc, exec, s[0:1]
	s_cbranch_vccnz .LBB16_1389
; %bb.1379:
	s_waitcnt vmcnt(0)
	v_mov_b32_e32 v3, 6
	v_cmp_lt_i16_sdwa s[0:1], s20, v3 src0_sel:BYTE_0 src1_sel:DWORD
	s_and_b64 vcc, exec, s[0:1]
	s_cbranch_vccnz .LBB16_1382
; %bb.1380:
	v_cmp_gt_i16_sdwa s[0:1], s20, v3 src0_sel:BYTE_0 src1_sel:DWORD
	s_and_b64 vcc, exec, s[0:1]
	s_cbranch_vccz .LBB16_1383
; %bb.1381:
	global_load_dwordx2 v[14:15], v[12:13], off
	s_mov_b64 s[0:1], 0
	s_waitcnt vmcnt(0)
	v_cvt_f32_f64_e32 v3, v[14:15]
	s_branch .LBB16_1384
.LBB16_1382:
	s_mov_b64 s[0:1], -1
                                        ; implicit-def: $vgpr3
	s_branch .LBB16_1387
.LBB16_1383:
	s_mov_b64 s[0:1], -1
                                        ; implicit-def: $vgpr3
.LBB16_1384:
	s_andn2_b64 vcc, exec, s[0:1]
	s_cbranch_vccnz .LBB16_1386
; %bb.1385:
	global_load_dword v3, v[12:13], off
.LBB16_1386:
	s_mov_b64 s[0:1], 0
.LBB16_1387:
	s_andn2_b64 vcc, exec, s[0:1]
	s_cbranch_vccnz .LBB16_1389
; %bb.1388:
	global_load_ushort v3, v[12:13], off
	s_waitcnt vmcnt(0)
	v_cvt_f32_f16_e32 v3, v3
.LBB16_1389:
	s_cbranch_execnz .LBB16_1409
.LBB16_1390:
	s_waitcnt vmcnt(0)
	v_mov_b32_e32 v3, 2
	v_cmp_lt_i16_sdwa s[0:1], s20, v3 src0_sel:BYTE_0 src1_sel:DWORD
	s_and_b64 vcc, exec, s[0:1]
	s_cbranch_vccnz .LBB16_1394
; %bb.1391:
	v_mov_b32_e32 v3, 3
	v_cmp_lt_i16_sdwa s[0:1], s20, v3 src0_sel:BYTE_0 src1_sel:DWORD
	s_and_b64 vcc, exec, s[0:1]
	s_cbranch_vccnz .LBB16_1395
; %bb.1392:
	v_cmp_gt_i16_sdwa s[0:1], s20, v3 src0_sel:BYTE_0 src1_sel:DWORD
	s_and_b64 vcc, exec, s[0:1]
	s_cbranch_vccz .LBB16_1396
; %bb.1393:
	global_load_dwordx2 v[14:15], v[12:13], off
	s_mov_b64 s[0:1], 0
	s_waitcnt vmcnt(0)
	v_xor_b32_e32 v7, v14, v15
	v_ffbh_i32_e32 v3, v15
	v_ashrrev_i32_e32 v7, 31, v7
	v_add_u32_e32 v3, -1, v3
	v_add_u32_e32 v7, 32, v7
	v_min_u32_e32 v3, v3, v7
	v_lshlrev_b64 v[14:15], v3, v[14:15]
	v_min_u32_e32 v7, 1, v14
	v_or_b32_e32 v7, v15, v7
	v_cvt_f32_i32_e32 v7, v7
	v_sub_u32_e32 v3, 32, v3
	v_ldexp_f32 v3, v7, v3
	s_branch .LBB16_1397
.LBB16_1394:
	s_mov_b64 s[0:1], -1
                                        ; implicit-def: $vgpr3
	s_branch .LBB16_1403
.LBB16_1395:
	s_mov_b64 s[0:1], -1
                                        ; implicit-def: $vgpr3
	s_branch .LBB16_1400
.LBB16_1396:
	s_mov_b64 s[0:1], -1
                                        ; implicit-def: $vgpr3
.LBB16_1397:
	s_andn2_b64 vcc, exec, s[0:1]
	s_cbranch_vccnz .LBB16_1399
; %bb.1398:
	global_load_dword v3, v[12:13], off
	s_waitcnt vmcnt(0)
	v_cvt_f32_i32_e32 v3, v3
.LBB16_1399:
	s_mov_b64 s[0:1], 0
.LBB16_1400:
	s_andn2_b64 vcc, exec, s[0:1]
	s_cbranch_vccnz .LBB16_1402
; %bb.1401:
	global_load_sshort v3, v[12:13], off
	s_waitcnt vmcnt(0)
	v_cvt_f32_i32_e32 v3, v3
.LBB16_1402:
	s_mov_b64 s[0:1], 0
.LBB16_1403:
	s_andn2_b64 vcc, exec, s[0:1]
	s_cbranch_vccnz .LBB16_1409
; %bb.1404:
	v_mov_b32_e32 v3, 0
	v_cmp_gt_i16_sdwa s[0:1], s20, v3 src0_sel:BYTE_0 src1_sel:DWORD
	s_and_b64 vcc, exec, s[0:1]
	s_cbranch_vccz .LBB16_1406
; %bb.1405:
	global_load_sbyte v3, v[12:13], off
	s_mov_b64 s[0:1], 0
	s_waitcnt vmcnt(0)
	v_cvt_f32_i32_e32 v3, v3
	s_branch .LBB16_1407
.LBB16_1406:
	s_mov_b64 s[0:1], -1
                                        ; implicit-def: $vgpr3
.LBB16_1407:
	s_andn2_b64 vcc, exec, s[0:1]
	s_cbranch_vccnz .LBB16_1409
; %bb.1408:
	global_load_ubyte v3, v[12:13], off
	s_waitcnt vmcnt(0)
	v_cvt_f32_ubyte0_e32 v3, v3
.LBB16_1409:
.LBB16_1410:
	s_mov_b32 s0, 0x7f800000
	s_waitcnt vmcnt(0)
	v_cmp_nlg_f32_e64 s[4:5], |v3|, s0
	v_mov_b32_e32 v13, v5
	s_and_saveexec_b64 s[0:1], s[4:5]
	s_cbranch_execz .LBB16_1412
; %bb.1411:
	v_mov_b32_e32 v7, 0
	v_mov_b32_e32 v9, 1.0
	global_store_dword v7, v9, s[12:13]
	global_load_dword v13, v7, s[14:15]
.LBB16_1412:
	s_or_b64 exec, exec, s[0:1]
	v_mov_b32_e32 v7, s11
	v_add_co_u32_e32 v10, vcc, s10, v10
	v_addc_co_u32_e32 v11, vcc, 0, v7, vcc
	v_mov_b32_e32 v7, 11
	v_cmp_lt_i16_sdwa s[0:1], s20, v7 src0_sel:BYTE_0 src1_sel:DWORD
	s_and_b64 vcc, exec, s[0:1]
	s_cbranch_vccnz .LBB16_1419
; %bb.1413:
	v_mov_b32_e32 v7, 25
	v_cmp_gt_i16_sdwa s[0:1], s20, v7 src0_sel:BYTE_0 src1_sel:DWORD
	s_mov_b64 s[4:5], 0
	s_and_b64 vcc, exec, s[0:1]
	s_cbranch_vccz .LBB16_1421
; %bb.1414:
	v_mov_b32_e32 v7, 28
	v_cmp_gt_i16_sdwa s[0:1], s20, v7 src0_sel:BYTE_0 src1_sel:DWORD
	s_and_b64 vcc, exec, s[0:1]
	s_cbranch_vccz .LBB16_1422
; %bb.1415:
	v_mov_b32_e32 v7, 43
	v_cmp_gt_i16_sdwa s[0:1], s20, v7 src0_sel:BYTE_0 src1_sel:DWORD
	;; [unrolled: 5-line block ×3, first 2 shown]
	s_and_b64 vcc, exec, s[0:1]
	s_cbranch_vccz .LBB16_1425
; %bb.1417:
	v_mov_b32_e32 v7, 46
	v_cmp_eq_u16_sdwa s[0:1], s20, v7 src0_sel:BYTE_0 src1_sel:DWORD
	s_mov_b64 s[16:17], 0
	s_and_b64 vcc, exec, s[0:1]
	s_cbranch_vccz .LBB16_1426
; %bb.1418:
	global_load_dword v7, v[10:11], off
	s_mov_b64 s[0:1], 0
	s_mov_b64 s[6:7], -1
	s_waitcnt vmcnt(0)
	v_lshlrev_b32_e32 v12, 16, v7
	s_branch .LBB16_1427
.LBB16_1419:
	s_mov_b64 s[6:7], 0
                                        ; implicit-def: $vgpr12
	s_cbranch_execnz .LBB16_1493
.LBB16_1420:
	s_andn2_b64 vcc, exec, s[6:7]
	s_cbranch_vccnz .LBB16_2060
	s_branch .LBB16_1541
.LBB16_1421:
	s_mov_b64 s[16:17], -1
	s_mov_b64 s[6:7], 0
	s_mov_b64 s[0:1], 0
                                        ; implicit-def: $vgpr12
	s_branch .LBB16_1456
.LBB16_1422:
	s_mov_b64 s[16:17], -1
	s_mov_b64 s[6:7], 0
	s_mov_b64 s[0:1], 0
                                        ; implicit-def: $vgpr12
	s_branch .LBB16_1437
.LBB16_1423:
	s_mov_b64 s[16:17], -1
	s_mov_b64 s[6:7], 0
	s_mov_b64 s[0:1], 0
                                        ; implicit-def: $vgpr12
	s_branch .LBB16_1432
.LBB16_1424:
	s_trap 2
	s_or_b64 s[2:3], s[2:3], exec
                                        ; implicit-def: $vgpr3
	s_cbranch_execz .LBB16_1361
	s_branch .LBB16_1362
.LBB16_1425:
	s_mov_b64 s[16:17], -1
	s_mov_b64 s[6:7], 0
	s_mov_b64 s[0:1], 0
                                        ; implicit-def: $vgpr12
	s_branch .LBB16_1427
.LBB16_1426:
	s_mov_b64 s[0:1], -1
                                        ; implicit-def: $vgpr12
	s_mov_b64 s[6:7], 0
.LBB16_1427:
	s_and_b64 vcc, exec, s[16:17]
	s_cbranch_vccz .LBB16_1431
; %bb.1428:
	v_mov_b32_e32 v7, 44
	v_cmp_eq_u16_sdwa s[0:1], s20, v7 src0_sel:BYTE_0 src1_sel:DWORD
	s_and_b64 vcc, exec, s[0:1]
	s_cbranch_vccz .LBB16_1430
; %bb.1429:
	global_load_ubyte v7, v[10:11], off
	s_movk_i32 s6, 0xff
	v_mov_b32_e32 v9, 0x7f800001
	v_mov_b32_e32 v12, 0x400000
	s_mov_b64 s[0:1], 0
	s_waitcnt vmcnt(0)
	v_lshlrev_b32_e32 v14, 23, v7
	v_cmp_ne_u32_e32 vcc, s6, v7
	v_cndmask_b32_e32 v9, v9, v14, vcc
	v_cmp_ne_u32_e32 vcc, 0, v7
	v_cndmask_b32_e32 v12, v12, v9, vcc
	s_mov_b64 s[6:7], -1
	s_branch .LBB16_1431
.LBB16_1430:
	s_mov_b64 s[0:1], -1
                                        ; implicit-def: $vgpr12
.LBB16_1431:
	s_mov_b64 s[16:17], 0
.LBB16_1432:
	s_and_b64 vcc, exec, s[16:17]
	s_cbranch_vccz .LBB16_1436
; %bb.1433:
	v_mov_b32_e32 v7, 29
	v_cmp_eq_u16_sdwa s[0:1], s20, v7 src0_sel:BYTE_0 src1_sel:DWORD
	s_and_b64 vcc, exec, s[0:1]
	s_cbranch_vccz .LBB16_1435
; %bb.1434:
	global_load_dwordx2 v[14:15], v[10:11], off
	s_mov_b64 s[0:1], 0
	s_mov_b64 s[6:7], -1
	s_mov_b64 s[16:17], 0
	s_waitcnt vmcnt(0)
	v_ffbh_u32_e32 v7, v15
	v_min_u32_e32 v7, 32, v7
	v_lshlrev_b64 v[14:15], v7, v[14:15]
	v_min_u32_e32 v9, 1, v14
	v_or_b32_e32 v9, v15, v9
	v_cvt_f32_u32_e32 v9, v9
	v_sub_u32_e32 v7, 32, v7
	v_ldexp_f32 v12, v9, v7
	s_branch .LBB16_1437
.LBB16_1435:
	s_mov_b64 s[0:1], -1
                                        ; implicit-def: $vgpr12
.LBB16_1436:
	s_mov_b64 s[16:17], 0
.LBB16_1437:
	s_and_b64 vcc, exec, s[16:17]
	s_cbranch_vccz .LBB16_1455
; %bb.1438:
	v_mov_b32_e32 v7, 27
	v_cmp_lt_i16_sdwa s[6:7], s20, v7 src0_sel:BYTE_0 src1_sel:DWORD
	s_and_b64 vcc, exec, s[6:7]
	s_cbranch_vccnz .LBB16_1441
; %bb.1439:
	v_cmp_gt_i16_sdwa s[6:7], s20, v7 src0_sel:BYTE_0 src1_sel:DWORD
	s_and_b64 vcc, exec, s[6:7]
	s_cbranch_vccz .LBB16_1442
; %bb.1440:
	global_load_dword v7, v[10:11], off
	s_mov_b64 s[6:7], 0
	s_waitcnt vmcnt(0)
	v_cvt_f32_u32_e32 v12, v7
	s_branch .LBB16_1443
.LBB16_1441:
	s_mov_b64 s[6:7], -1
                                        ; implicit-def: $vgpr12
	s_branch .LBB16_1446
.LBB16_1442:
	s_mov_b64 s[6:7], -1
                                        ; implicit-def: $vgpr12
.LBB16_1443:
	s_andn2_b64 vcc, exec, s[6:7]
	s_cbranch_vccnz .LBB16_1445
; %bb.1444:
	global_load_ushort v7, v[10:11], off
	s_waitcnt vmcnt(0)
	v_cvt_f32_u32_e32 v12, v7
.LBB16_1445:
	s_mov_b64 s[6:7], 0
.LBB16_1446:
	s_andn2_b64 vcc, exec, s[6:7]
	s_cbranch_vccnz .LBB16_1454
; %bb.1447:
	global_load_ubyte v7, v[10:11], off
	s_movk_i32 s6, 0x7f
                                        ; implicit-def: $sgpr21
	s_waitcnt vmcnt(0)
	v_cmp_lt_i16_e32 vcc, s6, v7
	s_mov_b64 s[6:7], 0
	s_and_saveexec_b64 s[16:17], vcc
	s_xor_b64 s[16:17], exec, s[16:17]
	s_cbranch_execz .LBB16_1468
; %bb.1448:
	s_movk_i32 s6, 0x80
	v_cmp_eq_u16_e32 vcc, s6, v7
	s_mov_b64 s[6:7], -1
                                        ; implicit-def: $sgpr21
	s_and_saveexec_b64 s[18:19], vcc
; %bb.1449:
	s_mov_b32 s21, 0x7f800001
	s_xor_b64 s[6:7], exec, -1
; %bb.1450:
	s_or_b64 exec, exec, s[18:19]
	s_and_b64 s[6:7], s[6:7], exec
	s_or_saveexec_b64 s[16:17], s[16:17]
	v_mov_b32_e32 v12, s21
	s_xor_b64 exec, exec, s[16:17]
	s_cbranch_execnz .LBB16_1469
.LBB16_1451:
	s_or_b64 exec, exec, s[16:17]
	s_and_saveexec_b64 s[16:17], s[6:7]
	s_cbranch_execz .LBB16_1453
.LBB16_1452:
	v_lshlrev_b32_e32 v9, 24, v7
	v_and_b32_e32 v7, 0xffff, v7
	v_and_b32_e32 v12, 7, v7
	v_ffbh_u32_e32 v15, v12
	v_min_u32_e32 v15, 32, v15
	v_subrev_u32_e32 v16, 28, v15
	v_bfe_u32 v14, v7, 3, 4
	v_lshlrev_b32_e32 v7, v16, v7
	v_sub_u32_e32 v15, 29, v15
	v_and_b32_e32 v7, 7, v7
	v_cmp_eq_u32_e32 vcc, 0, v14
	v_cndmask_b32_e32 v14, v14, v15, vcc
	v_cndmask_b32_e32 v7, v12, v7, vcc
	v_mov_b32_e32 v12, 0x3b800000
	v_lshlrev_b32_e32 v7, 20, v7
	v_and_b32_e32 v9, 0x80000000, v9
	v_lshl_add_u32 v12, v14, 23, v12
	v_or3_b32 v12, v9, v12, v7
.LBB16_1453:
	s_or_b64 exec, exec, s[16:17]
.LBB16_1454:
	s_mov_b64 s[6:7], -1
.LBB16_1455:
	s_mov_b64 s[16:17], 0
.LBB16_1456:
	s_and_b64 vcc, exec, s[16:17]
	s_cbranch_vccz .LBB16_1489
; %bb.1457:
	v_mov_b32_e32 v7, 22
	v_cmp_gt_i16_sdwa s[4:5], s20, v7 src0_sel:BYTE_0 src1_sel:DWORD
	s_and_b64 vcc, exec, s[4:5]
	s_cbranch_vccz .LBB16_1467
; %bb.1458:
	v_mov_b32_e32 v7, 24
	v_cmp_lt_i16_sdwa s[4:5], s20, v7 src0_sel:BYTE_0 src1_sel:DWORD
	s_and_b64 vcc, exec, s[4:5]
	s_cbranch_vccnz .LBB16_1470
; %bb.1459:
	v_cmp_gt_i16_sdwa s[4:5], s20, v7 src0_sel:BYTE_0 src1_sel:DWORD
	s_and_b64 vcc, exec, s[4:5]
	s_cbranch_vccz .LBB16_1471
; %bb.1460:
	global_load_ubyte v7, v[10:11], off
	s_movk_i32 s4, 0x7f
                                        ; implicit-def: $sgpr18
	s_waitcnt vmcnt(0)
	v_cmp_lt_i16_e32 vcc, s4, v7
	s_mov_b64 s[4:5], 0
	s_and_saveexec_b64 s[6:7], vcc
	s_xor_b64 s[6:7], exec, s[6:7]
	s_cbranch_execz .LBB16_1483
; %bb.1461:
	s_movk_i32 s4, 0x80
	v_cmp_eq_u16_e32 vcc, s4, v7
	s_mov_b64 s[4:5], -1
                                        ; implicit-def: $sgpr18
	s_and_saveexec_b64 s[16:17], vcc
; %bb.1462:
	s_mov_b32 s18, 0x7f800001
	s_xor_b64 s[4:5], exec, -1
; %bb.1463:
	s_or_b64 exec, exec, s[16:17]
	s_and_b64 s[4:5], s[4:5], exec
	s_or_saveexec_b64 s[6:7], s[6:7]
	v_mov_b32_e32 v12, s18
	s_xor_b64 exec, exec, s[6:7]
	s_cbranch_execnz .LBB16_1484
.LBB16_1464:
	s_or_b64 exec, exec, s[6:7]
	s_and_saveexec_b64 s[6:7], s[4:5]
	s_cbranch_execz .LBB16_1466
.LBB16_1465:
	v_lshlrev_b32_e32 v9, 24, v7
	v_and_b32_e32 v7, 0xffff, v7
	v_and_b32_e32 v12, 3, v7
	v_ffbh_u32_e32 v15, v12
	v_min_u32_e32 v15, 32, v15
	v_subrev_u32_e32 v16, 29, v15
	v_bfe_u32 v14, v7, 2, 5
	v_lshlrev_b32_e32 v7, v16, v7
	v_sub_u32_e32 v15, 30, v15
	v_and_b32_e32 v7, 3, v7
	v_cmp_eq_u32_e32 vcc, 0, v14
	v_cndmask_b32_e32 v14, v14, v15, vcc
	v_cndmask_b32_e32 v7, v12, v7, vcc
	v_mov_b32_e32 v12, 0x37800000
	v_lshlrev_b32_e32 v7, 21, v7
	v_and_b32_e32 v9, 0x80000000, v9
	v_lshl_add_u32 v12, v14, 23, v12
	v_or3_b32 v12, v9, v12, v7
.LBB16_1466:
	s_or_b64 exec, exec, s[6:7]
	s_mov_b64 s[4:5], 0
	s_branch .LBB16_1472
.LBB16_1467:
	s_mov_b64 s[4:5], -1
                                        ; implicit-def: $vgpr12
	s_branch .LBB16_1478
.LBB16_1468:
	s_or_saveexec_b64 s[16:17], s[16:17]
	v_mov_b32_e32 v12, s21
	s_xor_b64 exec, exec, s[16:17]
	s_cbranch_execz .LBB16_1451
.LBB16_1469:
	v_cmp_ne_u16_e32 vcc, 0, v7
	s_andn2_b64 s[6:7], s[6:7], exec
	s_and_b64 s[18:19], vcc, exec
	v_mov_b32_e32 v12, 0
	s_or_b64 s[6:7], s[6:7], s[18:19]
	s_or_b64 exec, exec, s[16:17]
	s_and_saveexec_b64 s[16:17], s[6:7]
	s_cbranch_execnz .LBB16_1452
	s_branch .LBB16_1453
.LBB16_1470:
	s_mov_b64 s[4:5], -1
                                        ; implicit-def: $vgpr12
	s_branch .LBB16_1475
.LBB16_1471:
	s_mov_b64 s[4:5], -1
                                        ; implicit-def: $vgpr12
.LBB16_1472:
	s_and_b64 vcc, exec, s[4:5]
	s_cbranch_vccz .LBB16_1474
; %bb.1473:
	global_load_ubyte v7, v[10:11], off
	s_mov_b32 s4, 0x7f800000
	s_waitcnt vmcnt(0)
	v_lshlrev_b32_e32 v7, 24, v7
	v_and_b32_e32 v9, 0x7f000000, v7
	v_ffbh_u32_e32 v12, v9
	v_min_u32_e32 v12, 32, v12
	v_sub_u32_e64 v12, v12, 4 clamp
	v_lshlrev_b32_e32 v15, v12, v9
	v_lshlrev_b32_e32 v12, 23, v12
	v_lshrrev_b32_e32 v15, 4, v15
	v_add_u32_e32 v14, 0x1000000, v9
	v_sub_u32_e32 v12, v15, v12
	v_ashrrev_i32_e32 v14, 8, v14
	v_add_u32_e32 v12, 0x3c000000, v12
	v_and_or_b32 v12, v14, s4, v12
	v_cmp_ne_u32_e32 vcc, 0, v9
	v_cndmask_b32_e32 v9, 0, v12, vcc
	s_brev_b32 s4, 1
	v_and_or_b32 v12, v7, s4, v9
.LBB16_1474:
	s_mov_b64 s[4:5], 0
.LBB16_1475:
	s_andn2_b64 vcc, exec, s[4:5]
	s_cbranch_vccnz .LBB16_1477
; %bb.1476:
	global_load_ubyte v7, v[10:11], off
	s_movk_i32 s4, 0x7f00
	s_brev_b32 s5, 16
	s_waitcnt vmcnt(0)
	v_lshlrev_b16_e32 v9, 8, v7
	v_lshlrev_b32_e32 v7, 25, v7
	v_lshrrev_b32_e32 v12, 4, v7
	v_and_or_b32 v14, v9, s4, 0.5
	v_or_b32_e32 v12, 0x70000000, v12
	v_add_f32_e32 v14, -0.5, v14
	v_mul_f32_e32 v12, 0x7800000, v12
	v_cmp_gt_u32_e32 vcc, s5, v7
	v_bfe_i32 v9, v9, 0, 16
	v_cndmask_b32_e32 v7, v12, v14, vcc
	s_brev_b32 s4, 1
	v_and_or_b32 v12, v9, s4, v7
.LBB16_1477:
	s_mov_b64 s[4:5], 0
	s_mov_b64 s[6:7], -1
.LBB16_1478:
	s_andn2_b64 vcc, exec, s[4:5]
	s_mov_b64 s[4:5], 0
	s_cbranch_vccnz .LBB16_1489
; %bb.1479:
	v_mov_b32_e32 v7, 14
	v_cmp_gt_i16_sdwa s[4:5], s20, v7 src0_sel:BYTE_0 src1_sel:DWORD
	s_and_b64 vcc, exec, s[4:5]
	s_cbranch_vccz .LBB16_1482
; %bb.1480:
	v_mov_b32_e32 v7, 15
	v_cmp_eq_u16_sdwa s[0:1], s20, v7 src0_sel:BYTE_0 src1_sel:DWORD
	s_and_b64 vcc, exec, s[0:1]
	s_cbranch_vccz .LBB16_1485
; %bb.1481:
	global_load_ushort v7, v[10:11], off
	s_mov_b64 s[0:1], 0
	s_mov_b64 s[6:7], -1
	s_waitcnt vmcnt(0)
	v_lshlrev_b32_e32 v12, 16, v7
	s_branch .LBB16_1486
.LBB16_1482:
	s_mov_b64 s[16:17], -1
                                        ; implicit-def: $vgpr12
	s_branch .LBB16_1487
.LBB16_1483:
	s_or_saveexec_b64 s[6:7], s[6:7]
	v_mov_b32_e32 v12, s18
	s_xor_b64 exec, exec, s[6:7]
	s_cbranch_execz .LBB16_1464
.LBB16_1484:
	v_cmp_ne_u16_e32 vcc, 0, v7
	s_andn2_b64 s[4:5], s[4:5], exec
	s_and_b64 s[16:17], vcc, exec
	v_mov_b32_e32 v12, 0
	s_or_b64 s[4:5], s[4:5], s[16:17]
	s_or_b64 exec, exec, s[6:7]
	s_and_saveexec_b64 s[6:7], s[4:5]
	s_cbranch_execnz .LBB16_1465
	s_branch .LBB16_1466
.LBB16_1485:
	s_mov_b64 s[0:1], -1
                                        ; implicit-def: $vgpr12
.LBB16_1486:
	s_mov_b64 s[16:17], 0
.LBB16_1487:
	s_mov_b64 s[4:5], 0
	s_and_b64 vcc, exec, s[16:17]
	s_cbranch_vccz .LBB16_1489
; %bb.1488:
	v_mov_b32_e32 v7, 11
	v_cmp_ne_u16_sdwa s[0:1], s20, v7 src0_sel:BYTE_0 src1_sel:DWORD
	s_mov_b64 s[4:5], -1
                                        ; implicit-def: $vgpr12
.LBB16_1489:
	s_and_b64 vcc, exec, s[0:1]
	s_cbranch_vccnz .LBB16_1554
; %bb.1490:
	s_andn2_b64 vcc, exec, s[4:5]
	s_cbranch_vccnz .LBB16_1492
.LBB16_1491:
	global_load_ubyte v7, v[10:11], off
	s_mov_b64 s[6:7], -1
	s_waitcnt vmcnt(0)
	v_cmp_ne_u16_e32 vcc, 0, v7
	v_cndmask_b32_e64 v12, 0, 1.0, vcc
.LBB16_1492:
	s_branch .LBB16_1420
.LBB16_1493:
	v_mov_b32_e32 v7, 5
	v_cmp_lt_i16_sdwa s[0:1], s20, v7 src0_sel:BYTE_0 src1_sel:DWORD
	s_and_b64 vcc, exec, s[0:1]
	s_cbranch_vccnz .LBB16_1498
; %bb.1494:
	v_mov_b32_e32 v7, 8
	v_cmp_lt_i16_sdwa s[0:1], s20, v7 src0_sel:BYTE_0 src1_sel:DWORD
	s_and_b64 vcc, exec, s[0:1]
	s_cbranch_vccnz .LBB16_1499
; %bb.1495:
	;; [unrolled: 5-line block ×3, first 2 shown]
	v_cmp_gt_i16_sdwa s[0:1], s20, v7 src0_sel:BYTE_0 src1_sel:DWORD
	s_and_b64 vcc, exec, s[0:1]
	s_cbranch_vccz .LBB16_1501
; %bb.1497:
	global_load_dwordx2 v[14:15], v[10:11], off
	s_mov_b64 s[0:1], 0
	s_waitcnt vmcnt(0)
	v_cvt_f32_f64_e32 v12, v[14:15]
	s_branch .LBB16_1502
.LBB16_1498:
	s_mov_b64 s[0:1], -1
                                        ; implicit-def: $vgpr12
	s_branch .LBB16_1520
.LBB16_1499:
	s_mov_b64 s[0:1], -1
                                        ; implicit-def: $vgpr12
	s_branch .LBB16_1508
.LBB16_1500:
	s_mov_b64 s[0:1], -1
                                        ; implicit-def: $vgpr12
	s_branch .LBB16_1505
.LBB16_1501:
	s_mov_b64 s[0:1], -1
                                        ; implicit-def: $vgpr12
.LBB16_1502:
	s_andn2_b64 vcc, exec, s[0:1]
	s_cbranch_vccnz .LBB16_1504
; %bb.1503:
	global_load_dword v12, v[10:11], off
.LBB16_1504:
	s_mov_b64 s[0:1], 0
.LBB16_1505:
	s_andn2_b64 vcc, exec, s[0:1]
	s_cbranch_vccnz .LBB16_1507
; %bb.1506:
	global_load_dword v7, v[10:11], off
	s_waitcnt vmcnt(0)
	v_cvt_f32_f16_e32 v12, v7
.LBB16_1507:
	s_mov_b64 s[0:1], 0
.LBB16_1508:
	s_andn2_b64 vcc, exec, s[0:1]
	s_cbranch_vccnz .LBB16_1519
; %bb.1509:
	v_mov_b32_e32 v7, 6
	v_cmp_lt_i16_sdwa s[0:1], s20, v7 src0_sel:BYTE_0 src1_sel:DWORD
	s_and_b64 vcc, exec, s[0:1]
	s_cbranch_vccnz .LBB16_1512
; %bb.1510:
	v_cmp_gt_i16_sdwa s[0:1], s20, v7 src0_sel:BYTE_0 src1_sel:DWORD
	s_and_b64 vcc, exec, s[0:1]
	s_cbranch_vccz .LBB16_1513
; %bb.1511:
	global_load_dwordx2 v[14:15], v[10:11], off
	s_mov_b64 s[0:1], 0
	s_waitcnt vmcnt(0)
	v_cvt_f32_f64_e32 v12, v[14:15]
	s_branch .LBB16_1514
.LBB16_1512:
	s_mov_b64 s[0:1], -1
                                        ; implicit-def: $vgpr12
	s_branch .LBB16_1517
.LBB16_1513:
	s_mov_b64 s[0:1], -1
                                        ; implicit-def: $vgpr12
.LBB16_1514:
	s_andn2_b64 vcc, exec, s[0:1]
	s_cbranch_vccnz .LBB16_1516
; %bb.1515:
	global_load_dword v12, v[10:11], off
.LBB16_1516:
	s_mov_b64 s[0:1], 0
.LBB16_1517:
	s_andn2_b64 vcc, exec, s[0:1]
	s_cbranch_vccnz .LBB16_1519
; %bb.1518:
	global_load_ushort v7, v[10:11], off
	s_waitcnt vmcnt(0)
	v_cvt_f32_f16_e32 v12, v7
.LBB16_1519:
	s_mov_b64 s[0:1], 0
.LBB16_1520:
	s_andn2_b64 vcc, exec, s[0:1]
	s_cbranch_vccnz .LBB16_1540
; %bb.1521:
	v_mov_b32_e32 v7, 2
	v_cmp_lt_i16_sdwa s[0:1], s20, v7 src0_sel:BYTE_0 src1_sel:DWORD
	s_and_b64 vcc, exec, s[0:1]
	s_cbranch_vccnz .LBB16_1525
; %bb.1522:
	v_mov_b32_e32 v7, 3
	v_cmp_lt_i16_sdwa s[0:1], s20, v7 src0_sel:BYTE_0 src1_sel:DWORD
	s_and_b64 vcc, exec, s[0:1]
	s_cbranch_vccnz .LBB16_1526
; %bb.1523:
	v_cmp_gt_i16_sdwa s[0:1], s20, v7 src0_sel:BYTE_0 src1_sel:DWORD
	s_and_b64 vcc, exec, s[0:1]
	s_cbranch_vccz .LBB16_1527
; %bb.1524:
	global_load_dwordx2 v[14:15], v[10:11], off
	s_mov_b64 s[0:1], 0
	s_waitcnt vmcnt(0)
	v_xor_b32_e32 v9, v14, v15
	v_ffbh_i32_e32 v7, v15
	v_ashrrev_i32_e32 v9, 31, v9
	v_add_u32_e32 v7, -1, v7
	v_add_u32_e32 v9, 32, v9
	v_min_u32_e32 v7, v7, v9
	v_lshlrev_b64 v[14:15], v7, v[14:15]
	v_min_u32_e32 v9, 1, v14
	v_or_b32_e32 v9, v15, v9
	v_cvt_f32_i32_e32 v9, v9
	v_sub_u32_e32 v7, 32, v7
	v_ldexp_f32 v12, v9, v7
	s_branch .LBB16_1528
.LBB16_1525:
	s_mov_b64 s[0:1], -1
                                        ; implicit-def: $vgpr12
	s_branch .LBB16_1534
.LBB16_1526:
	s_mov_b64 s[0:1], -1
                                        ; implicit-def: $vgpr12
	s_branch .LBB16_1531
.LBB16_1527:
	s_mov_b64 s[0:1], -1
                                        ; implicit-def: $vgpr12
.LBB16_1528:
	s_andn2_b64 vcc, exec, s[0:1]
	s_cbranch_vccnz .LBB16_1530
; %bb.1529:
	global_load_dword v7, v[10:11], off
	s_waitcnt vmcnt(0)
	v_cvt_f32_i32_e32 v12, v7
.LBB16_1530:
	s_mov_b64 s[0:1], 0
.LBB16_1531:
	s_andn2_b64 vcc, exec, s[0:1]
	s_cbranch_vccnz .LBB16_1533
; %bb.1532:
	global_load_sshort v7, v[10:11], off
	s_waitcnt vmcnt(0)
	v_cvt_f32_i32_e32 v12, v7
.LBB16_1533:
	s_mov_b64 s[0:1], 0
.LBB16_1534:
	s_andn2_b64 vcc, exec, s[0:1]
	s_cbranch_vccnz .LBB16_1540
; %bb.1535:
	v_mov_b32_e32 v7, 0
	v_cmp_gt_i16_sdwa s[0:1], s20, v7 src0_sel:BYTE_0 src1_sel:DWORD
	s_and_b64 vcc, exec, s[0:1]
	s_cbranch_vccz .LBB16_1537
; %bb.1536:
	global_load_sbyte v7, v[10:11], off
	s_mov_b64 s[0:1], 0
	s_waitcnt vmcnt(0)
	v_cvt_f32_i32_e32 v12, v7
	s_branch .LBB16_1538
.LBB16_1537:
	s_mov_b64 s[0:1], -1
                                        ; implicit-def: $vgpr12
.LBB16_1538:
	s_andn2_b64 vcc, exec, s[0:1]
	s_cbranch_vccnz .LBB16_1540
; %bb.1539:
	global_load_ubyte v7, v[10:11], off
	s_waitcnt vmcnt(0)
	v_cvt_f32_ubyte0_e32 v12, v7
.LBB16_1540:
.LBB16_1541:
	s_mov_b32 s0, 0x7f800000
	s_waitcnt vmcnt(0)
	v_cmp_nlg_f32_e64 s[4:5], |v12|, s0
	v_mov_b32_e32 v11, v13
	s_and_saveexec_b64 s[0:1], s[4:5]
	s_cbranch_execz .LBB16_1543
; %bb.1542:
	v_mov_b32_e32 v7, 0
	v_mov_b32_e32 v9, 1.0
	global_store_dword v7, v9, s[12:13]
	global_load_dword v11, v7, s[14:15]
.LBB16_1543:
	s_or_b64 exec, exec, s[0:1]
	v_mov_b32_e32 v7, s11
	v_add_co_u32_e32 v8, vcc, s10, v8
	v_addc_co_u32_e32 v9, vcc, 0, v7, vcc
	v_mov_b32_e32 v7, 11
	v_cmp_lt_i16_sdwa s[0:1], s20, v7 src0_sel:BYTE_0 src1_sel:DWORD
	s_and_b64 vcc, exec, s[0:1]
	s_cbranch_vccnz .LBB16_1550
; %bb.1544:
	v_mov_b32_e32 v7, 25
	v_cmp_gt_i16_sdwa s[0:1], s20, v7 src0_sel:BYTE_0 src1_sel:DWORD
	s_mov_b64 s[4:5], 0
	s_and_b64 vcc, exec, s[0:1]
	s_cbranch_vccz .LBB16_1551
; %bb.1545:
	v_mov_b32_e32 v7, 28
	v_cmp_gt_i16_sdwa s[0:1], s20, v7 src0_sel:BYTE_0 src1_sel:DWORD
	s_and_b64 vcc, exec, s[0:1]
	s_cbranch_vccz .LBB16_1552
; %bb.1546:
	v_mov_b32_e32 v7, 43
	v_cmp_gt_i16_sdwa s[0:1], s20, v7 src0_sel:BYTE_0 src1_sel:DWORD
	;; [unrolled: 5-line block ×3, first 2 shown]
	s_and_b64 vcc, exec, s[0:1]
	s_cbranch_vccz .LBB16_1555
; %bb.1548:
	v_mov_b32_e32 v7, 46
	v_cmp_eq_u16_sdwa s[0:1], s20, v7 src0_sel:BYTE_0 src1_sel:DWORD
	s_mov_b64 s[10:11], 0
	s_and_b64 vcc, exec, s[0:1]
	s_cbranch_vccz .LBB16_1556
; %bb.1549:
	global_load_dword v7, v[8:9], off
	s_mov_b64 s[0:1], 0
	s_mov_b64 s[6:7], -1
	s_waitcnt vmcnt(0)
	v_lshlrev_b32_e32 v10, 16, v7
	s_branch .LBB16_1557
.LBB16_1550:
	s_mov_b64 s[0:1], -1
	s_mov_b64 s[6:7], 0
                                        ; implicit-def: $vgpr10
	s_branch .LBB16_1623
.LBB16_1551:
	s_mov_b64 s[10:11], -1
	s_mov_b64 s[6:7], 0
	s_mov_b64 s[0:1], 0
                                        ; implicit-def: $vgpr10
	s_branch .LBB16_1586
.LBB16_1552:
	s_mov_b64 s[10:11], -1
	s_mov_b64 s[6:7], 0
	s_mov_b64 s[0:1], 0
                                        ; implicit-def: $vgpr10
	s_branch .LBB16_1567
.LBB16_1553:
	s_mov_b64 s[10:11], -1
	s_mov_b64 s[6:7], 0
	s_mov_b64 s[0:1], 0
                                        ; implicit-def: $vgpr10
	s_branch .LBB16_1562
.LBB16_1554:
	s_trap 2
	s_or_b64 s[2:3], s[2:3], exec
                                        ; implicit-def: $vgpr12
	s_cbranch_execz .LBB16_1491
	s_branch .LBB16_1492
.LBB16_1555:
	s_mov_b64 s[10:11], -1
	s_mov_b64 s[6:7], 0
	s_mov_b64 s[0:1], 0
                                        ; implicit-def: $vgpr10
	s_branch .LBB16_1557
.LBB16_1556:
	s_mov_b64 s[0:1], -1
                                        ; implicit-def: $vgpr10
	s_mov_b64 s[6:7], 0
.LBB16_1557:
	s_and_b64 vcc, exec, s[10:11]
	s_cbranch_vccz .LBB16_1561
; %bb.1558:
	v_mov_b32_e32 v7, 44
	v_cmp_eq_u16_sdwa s[0:1], s20, v7 src0_sel:BYTE_0 src1_sel:DWORD
	s_and_b64 vcc, exec, s[0:1]
	s_cbranch_vccz .LBB16_1560
; %bb.1559:
	global_load_ubyte v7, v[8:9], off
	s_movk_i32 s6, 0xff
	v_mov_b32_e32 v10, 0x7f800001
	v_mov_b32_e32 v14, 0x400000
	s_mov_b64 s[0:1], 0
	s_waitcnt vmcnt(0)
	v_lshlrev_b32_e32 v15, 23, v7
	v_cmp_ne_u32_e32 vcc, s6, v7
	v_cndmask_b32_e32 v10, v10, v15, vcc
	v_cmp_ne_u32_e32 vcc, 0, v7
	v_cndmask_b32_e32 v10, v14, v10, vcc
	s_mov_b64 s[6:7], -1
	s_branch .LBB16_1561
.LBB16_1560:
	s_mov_b64 s[0:1], -1
                                        ; implicit-def: $vgpr10
.LBB16_1561:
	s_mov_b64 s[10:11], 0
.LBB16_1562:
	s_and_b64 vcc, exec, s[10:11]
	s_cbranch_vccz .LBB16_1566
; %bb.1563:
	v_mov_b32_e32 v7, 29
	v_cmp_eq_u16_sdwa s[0:1], s20, v7 src0_sel:BYTE_0 src1_sel:DWORD
	s_and_b64 vcc, exec, s[0:1]
	s_cbranch_vccz .LBB16_1565
; %bb.1564:
	global_load_dwordx2 v[14:15], v[8:9], off
	s_mov_b64 s[0:1], 0
	s_mov_b64 s[6:7], -1
	s_mov_b64 s[10:11], 0
	s_waitcnt vmcnt(0)
	v_ffbh_u32_e32 v7, v15
	v_min_u32_e32 v7, 32, v7
	v_lshlrev_b64 v[14:15], v7, v[14:15]
	v_min_u32_e32 v10, 1, v14
	v_or_b32_e32 v10, v15, v10
	v_cvt_f32_u32_e32 v10, v10
	v_sub_u32_e32 v7, 32, v7
	v_ldexp_f32 v10, v10, v7
	s_branch .LBB16_1567
.LBB16_1565:
	s_mov_b64 s[0:1], -1
                                        ; implicit-def: $vgpr10
.LBB16_1566:
	s_mov_b64 s[10:11], 0
.LBB16_1567:
	s_and_b64 vcc, exec, s[10:11]
	s_cbranch_vccz .LBB16_1585
; %bb.1568:
	v_mov_b32_e32 v7, 27
	v_cmp_lt_i16_sdwa s[6:7], s20, v7 src0_sel:BYTE_0 src1_sel:DWORD
	s_and_b64 vcc, exec, s[6:7]
	s_cbranch_vccnz .LBB16_1571
; %bb.1569:
	v_cmp_gt_i16_sdwa s[6:7], s20, v7 src0_sel:BYTE_0 src1_sel:DWORD
	s_and_b64 vcc, exec, s[6:7]
	s_cbranch_vccz .LBB16_1572
; %bb.1570:
	global_load_dword v7, v[8:9], off
	s_mov_b64 s[6:7], 0
	s_waitcnt vmcnt(0)
	v_cvt_f32_u32_e32 v10, v7
	s_branch .LBB16_1573
.LBB16_1571:
	s_mov_b64 s[6:7], -1
                                        ; implicit-def: $vgpr10
	s_branch .LBB16_1576
.LBB16_1572:
	s_mov_b64 s[6:7], -1
                                        ; implicit-def: $vgpr10
.LBB16_1573:
	s_andn2_b64 vcc, exec, s[6:7]
	s_cbranch_vccnz .LBB16_1575
; %bb.1574:
	global_load_ushort v7, v[8:9], off
	s_waitcnt vmcnt(0)
	v_cvt_f32_u32_e32 v10, v7
.LBB16_1575:
	s_mov_b64 s[6:7], 0
.LBB16_1576:
	s_andn2_b64 vcc, exec, s[6:7]
	s_cbranch_vccnz .LBB16_1584
; %bb.1577:
	global_load_ubyte v7, v[8:9], off
	s_movk_i32 s6, 0x7f
                                        ; implicit-def: $sgpr18
	s_waitcnt vmcnt(0)
	v_cmp_lt_i16_e32 vcc, s6, v7
	s_mov_b64 s[6:7], 0
	s_and_saveexec_b64 s[10:11], vcc
	s_xor_b64 s[10:11], exec, s[10:11]
	s_cbranch_execz .LBB16_1598
; %bb.1578:
	s_movk_i32 s6, 0x80
	v_cmp_eq_u16_e32 vcc, s6, v7
	s_mov_b64 s[6:7], -1
                                        ; implicit-def: $sgpr18
	s_and_saveexec_b64 s[16:17], vcc
; %bb.1579:
	s_mov_b32 s18, 0x7f800001
	s_xor_b64 s[6:7], exec, -1
; %bb.1580:
	s_or_b64 exec, exec, s[16:17]
	s_and_b64 s[6:7], s[6:7], exec
	s_or_saveexec_b64 s[10:11], s[10:11]
	v_mov_b32_e32 v10, s18
	s_xor_b64 exec, exec, s[10:11]
	s_cbranch_execnz .LBB16_1599
.LBB16_1581:
	s_or_b64 exec, exec, s[10:11]
	s_and_saveexec_b64 s[10:11], s[6:7]
	s_cbranch_execz .LBB16_1583
.LBB16_1582:
	v_lshlrev_b32_e32 v10, 24, v7
	v_and_b32_e32 v7, 0xffff, v7
	v_and_b32_e32 v14, 7, v7
	v_ffbh_u32_e32 v16, v14
	v_min_u32_e32 v16, 32, v16
	v_subrev_u32_e32 v17, 28, v16
	v_bfe_u32 v15, v7, 3, 4
	v_lshlrev_b32_e32 v7, v17, v7
	v_sub_u32_e32 v16, 29, v16
	v_and_b32_e32 v7, 7, v7
	v_cmp_eq_u32_e32 vcc, 0, v15
	v_cndmask_b32_e32 v15, v15, v16, vcc
	v_cndmask_b32_e32 v7, v14, v7, vcc
	v_mov_b32_e32 v14, 0x3b800000
	v_lshlrev_b32_e32 v7, 20, v7
	v_and_b32_e32 v10, 0x80000000, v10
	v_lshl_add_u32 v14, v15, 23, v14
	v_or3_b32 v10, v10, v14, v7
.LBB16_1583:
	s_or_b64 exec, exec, s[10:11]
.LBB16_1584:
	s_mov_b64 s[6:7], -1
.LBB16_1585:
	s_mov_b64 s[10:11], 0
.LBB16_1586:
	s_and_b64 vcc, exec, s[10:11]
	s_cbranch_vccz .LBB16_1619
; %bb.1587:
	v_mov_b32_e32 v7, 22
	v_cmp_gt_i16_sdwa s[4:5], s20, v7 src0_sel:BYTE_0 src1_sel:DWORD
	s_and_b64 vcc, exec, s[4:5]
	s_cbranch_vccz .LBB16_1597
; %bb.1588:
	v_mov_b32_e32 v7, 24
	v_cmp_lt_i16_sdwa s[4:5], s20, v7 src0_sel:BYTE_0 src1_sel:DWORD
	s_and_b64 vcc, exec, s[4:5]
	s_cbranch_vccnz .LBB16_1600
; %bb.1589:
	v_cmp_gt_i16_sdwa s[4:5], s20, v7 src0_sel:BYTE_0 src1_sel:DWORD
	s_and_b64 vcc, exec, s[4:5]
	s_cbranch_vccz .LBB16_1601
; %bb.1590:
	global_load_ubyte v7, v[8:9], off
	s_movk_i32 s4, 0x7f
                                        ; implicit-def: $sgpr16
	s_waitcnt vmcnt(0)
	v_cmp_lt_i16_e32 vcc, s4, v7
	s_mov_b64 s[4:5], 0
	s_and_saveexec_b64 s[6:7], vcc
	s_xor_b64 s[6:7], exec, s[6:7]
	s_cbranch_execz .LBB16_1613
; %bb.1591:
	s_movk_i32 s4, 0x80
	v_cmp_eq_u16_e32 vcc, s4, v7
	s_mov_b64 s[4:5], -1
                                        ; implicit-def: $sgpr16
	s_and_saveexec_b64 s[10:11], vcc
; %bb.1592:
	s_mov_b32 s16, 0x7f800001
	s_xor_b64 s[4:5], exec, -1
; %bb.1593:
	s_or_b64 exec, exec, s[10:11]
	s_and_b64 s[4:5], s[4:5], exec
	s_or_saveexec_b64 s[6:7], s[6:7]
	v_mov_b32_e32 v10, s16
	s_xor_b64 exec, exec, s[6:7]
	s_cbranch_execnz .LBB16_1614
.LBB16_1594:
	s_or_b64 exec, exec, s[6:7]
	s_and_saveexec_b64 s[6:7], s[4:5]
	s_cbranch_execz .LBB16_1596
.LBB16_1595:
	v_lshlrev_b32_e32 v10, 24, v7
	v_and_b32_e32 v7, 0xffff, v7
	v_and_b32_e32 v14, 3, v7
	v_ffbh_u32_e32 v16, v14
	v_min_u32_e32 v16, 32, v16
	v_subrev_u32_e32 v17, 29, v16
	v_bfe_u32 v15, v7, 2, 5
	v_lshlrev_b32_e32 v7, v17, v7
	v_sub_u32_e32 v16, 30, v16
	v_and_b32_e32 v7, 3, v7
	v_cmp_eq_u32_e32 vcc, 0, v15
	v_cndmask_b32_e32 v15, v15, v16, vcc
	v_cndmask_b32_e32 v7, v14, v7, vcc
	v_mov_b32_e32 v14, 0x37800000
	v_lshlrev_b32_e32 v7, 21, v7
	v_and_b32_e32 v10, 0x80000000, v10
	v_lshl_add_u32 v14, v15, 23, v14
	v_or3_b32 v10, v10, v14, v7
.LBB16_1596:
	s_or_b64 exec, exec, s[6:7]
	s_mov_b64 s[4:5], 0
	s_branch .LBB16_1602
.LBB16_1597:
	s_mov_b64 s[4:5], -1
                                        ; implicit-def: $vgpr10
	s_branch .LBB16_1608
.LBB16_1598:
	s_or_saveexec_b64 s[10:11], s[10:11]
	v_mov_b32_e32 v10, s18
	s_xor_b64 exec, exec, s[10:11]
	s_cbranch_execz .LBB16_1581
.LBB16_1599:
	v_cmp_ne_u16_e32 vcc, 0, v7
	s_andn2_b64 s[6:7], s[6:7], exec
	s_and_b64 s[16:17], vcc, exec
	v_mov_b32_e32 v10, 0
	s_or_b64 s[6:7], s[6:7], s[16:17]
	s_or_b64 exec, exec, s[10:11]
	s_and_saveexec_b64 s[10:11], s[6:7]
	s_cbranch_execnz .LBB16_1582
	s_branch .LBB16_1583
.LBB16_1600:
	s_mov_b64 s[4:5], -1
                                        ; implicit-def: $vgpr10
	s_branch .LBB16_1605
.LBB16_1601:
	s_mov_b64 s[4:5], -1
                                        ; implicit-def: $vgpr10
.LBB16_1602:
	s_and_b64 vcc, exec, s[4:5]
	s_cbranch_vccz .LBB16_1604
; %bb.1603:
	global_load_ubyte v7, v[8:9], off
	s_mov_b32 s4, 0x7f800000
	s_waitcnt vmcnt(0)
	v_lshlrev_b32_e32 v7, 24, v7
	v_and_b32_e32 v10, 0x7f000000, v7
	v_ffbh_u32_e32 v14, v10
	v_min_u32_e32 v14, 32, v14
	v_sub_u32_e64 v14, v14, 4 clamp
	v_lshlrev_b32_e32 v16, v14, v10
	v_lshlrev_b32_e32 v14, 23, v14
	v_lshrrev_b32_e32 v16, 4, v16
	v_add_u32_e32 v15, 0x1000000, v10
	v_sub_u32_e32 v14, v16, v14
	v_ashrrev_i32_e32 v15, 8, v15
	v_add_u32_e32 v14, 0x3c000000, v14
	v_and_or_b32 v14, v15, s4, v14
	v_cmp_ne_u32_e32 vcc, 0, v10
	v_cndmask_b32_e32 v10, 0, v14, vcc
	s_brev_b32 s4, 1
	v_and_or_b32 v10, v7, s4, v10
.LBB16_1604:
	s_mov_b64 s[4:5], 0
.LBB16_1605:
	s_andn2_b64 vcc, exec, s[4:5]
	s_cbranch_vccnz .LBB16_1607
; %bb.1606:
	global_load_ubyte v7, v[8:9], off
	s_movk_i32 s4, 0x7f00
	s_brev_b32 s5, 16
	s_waitcnt vmcnt(0)
	v_lshlrev_b16_e32 v10, 8, v7
	v_lshlrev_b32_e32 v7, 25, v7
	v_lshrrev_b32_e32 v14, 4, v7
	v_and_or_b32 v15, v10, s4, 0.5
	v_or_b32_e32 v14, 0x70000000, v14
	v_add_f32_e32 v15, -0.5, v15
	v_mul_f32_e32 v14, 0x7800000, v14
	v_cmp_gt_u32_e32 vcc, s5, v7
	v_bfe_i32 v10, v10, 0, 16
	v_cndmask_b32_e32 v7, v14, v15, vcc
	s_brev_b32 s4, 1
	v_and_or_b32 v10, v10, s4, v7
.LBB16_1607:
	s_mov_b64 s[4:5], 0
	s_mov_b64 s[6:7], -1
.LBB16_1608:
	s_andn2_b64 vcc, exec, s[4:5]
	s_mov_b64 s[4:5], 0
	s_cbranch_vccnz .LBB16_1619
; %bb.1609:
	v_mov_b32_e32 v7, 14
	v_cmp_gt_i16_sdwa s[4:5], s20, v7 src0_sel:BYTE_0 src1_sel:DWORD
	s_and_b64 vcc, exec, s[4:5]
	s_cbranch_vccz .LBB16_1612
; %bb.1610:
	v_mov_b32_e32 v7, 15
	v_cmp_eq_u16_sdwa s[0:1], s20, v7 src0_sel:BYTE_0 src1_sel:DWORD
	s_and_b64 vcc, exec, s[0:1]
	s_cbranch_vccz .LBB16_1615
; %bb.1611:
	global_load_ushort v7, v[8:9], off
	s_mov_b64 s[0:1], 0
	s_mov_b64 s[6:7], -1
	s_waitcnt vmcnt(0)
	v_lshlrev_b32_e32 v10, 16, v7
	s_branch .LBB16_1616
.LBB16_1612:
	s_mov_b64 s[10:11], -1
                                        ; implicit-def: $vgpr10
	s_branch .LBB16_1617
.LBB16_1613:
	s_or_saveexec_b64 s[6:7], s[6:7]
	v_mov_b32_e32 v10, s16
	s_xor_b64 exec, exec, s[6:7]
	s_cbranch_execz .LBB16_1594
.LBB16_1614:
	v_cmp_ne_u16_e32 vcc, 0, v7
	s_andn2_b64 s[4:5], s[4:5], exec
	s_and_b64 s[10:11], vcc, exec
	v_mov_b32_e32 v10, 0
	s_or_b64 s[4:5], s[4:5], s[10:11]
	s_or_b64 exec, exec, s[6:7]
	s_and_saveexec_b64 s[6:7], s[4:5]
	s_cbranch_execnz .LBB16_1595
	s_branch .LBB16_1596
.LBB16_1615:
	s_mov_b64 s[0:1], -1
                                        ; implicit-def: $vgpr10
.LBB16_1616:
	s_mov_b64 s[10:11], 0
.LBB16_1617:
	s_mov_b64 s[4:5], 0
	s_and_b64 vcc, exec, s[10:11]
	s_cbranch_vccz .LBB16_1619
; %bb.1618:
	v_mov_b32_e32 v7, 11
	v_cmp_ne_u16_sdwa s[0:1], s20, v7 src0_sel:BYTE_0 src1_sel:DWORD
	s_mov_b64 s[4:5], -1
                                        ; implicit-def: $vgpr10
.LBB16_1619:
	s_and_b64 vcc, exec, s[0:1]
	s_cbranch_vccnz .LBB16_1685
; %bb.1620:
	s_andn2_b64 vcc, exec, s[4:5]
	s_cbranch_vccnz .LBB16_1622
.LBB16_1621:
	global_load_ubyte v7, v[8:9], off
	s_mov_b64 s[6:7], -1
	s_waitcnt vmcnt(0)
	v_cmp_ne_u16_e32 vcc, 0, v7
	v_cndmask_b32_e64 v10, 0, 1.0, vcc
.LBB16_1622:
	s_mov_b64 s[0:1], 0
.LBB16_1623:
	s_and_b64 vcc, exec, s[0:1]
	s_cbranch_vccz .LBB16_1672
; %bb.1624:
	v_mov_b32_e32 v7, 5
	v_cmp_lt_i16_sdwa s[0:1], s20, v7 src0_sel:BYTE_0 src1_sel:DWORD
	s_and_b64 vcc, exec, s[0:1]
	s_cbranch_vccnz .LBB16_1629
; %bb.1625:
	v_mov_b32_e32 v7, 8
	v_cmp_lt_i16_sdwa s[0:1], s20, v7 src0_sel:BYTE_0 src1_sel:DWORD
	s_and_b64 vcc, exec, s[0:1]
	s_cbranch_vccnz .LBB16_1630
	;; [unrolled: 5-line block ×3, first 2 shown]
; %bb.1627:
	v_cmp_gt_i16_sdwa s[0:1], s20, v7 src0_sel:BYTE_0 src1_sel:DWORD
	s_and_b64 vcc, exec, s[0:1]
	s_cbranch_vccz .LBB16_1632
; %bb.1628:
	global_load_dwordx2 v[14:15], v[8:9], off
	s_mov_b64 s[0:1], 0
	s_waitcnt vmcnt(0)
	v_cvt_f32_f64_e32 v10, v[14:15]
	s_branch .LBB16_1633
.LBB16_1629:
	s_mov_b64 s[0:1], -1
                                        ; implicit-def: $vgpr10
	s_branch .LBB16_1651
.LBB16_1630:
	s_mov_b64 s[0:1], -1
                                        ; implicit-def: $vgpr10
	s_branch .LBB16_1639
.LBB16_1631:
	s_mov_b64 s[0:1], -1
                                        ; implicit-def: $vgpr10
	s_branch .LBB16_1636
.LBB16_1632:
	s_mov_b64 s[0:1], -1
                                        ; implicit-def: $vgpr10
.LBB16_1633:
	s_andn2_b64 vcc, exec, s[0:1]
	s_cbranch_vccnz .LBB16_1635
; %bb.1634:
	global_load_dword v10, v[8:9], off
.LBB16_1635:
	s_mov_b64 s[0:1], 0
.LBB16_1636:
	s_andn2_b64 vcc, exec, s[0:1]
	s_cbranch_vccnz .LBB16_1638
; %bb.1637:
	global_load_dword v7, v[8:9], off
	s_waitcnt vmcnt(0)
	v_cvt_f32_f16_e32 v10, v7
.LBB16_1638:
	s_mov_b64 s[0:1], 0
.LBB16_1639:
	s_andn2_b64 vcc, exec, s[0:1]
	s_cbranch_vccnz .LBB16_1650
; %bb.1640:
	v_mov_b32_e32 v7, 6
	v_cmp_lt_i16_sdwa s[0:1], s20, v7 src0_sel:BYTE_0 src1_sel:DWORD
	s_and_b64 vcc, exec, s[0:1]
	s_cbranch_vccnz .LBB16_1643
; %bb.1641:
	v_cmp_gt_i16_sdwa s[0:1], s20, v7 src0_sel:BYTE_0 src1_sel:DWORD
	s_and_b64 vcc, exec, s[0:1]
	s_cbranch_vccz .LBB16_1644
; %bb.1642:
	global_load_dwordx2 v[14:15], v[8:9], off
	s_mov_b64 s[0:1], 0
	s_waitcnt vmcnt(0)
	v_cvt_f32_f64_e32 v10, v[14:15]
	s_branch .LBB16_1645
.LBB16_1643:
	s_mov_b64 s[0:1], -1
                                        ; implicit-def: $vgpr10
	s_branch .LBB16_1648
.LBB16_1644:
	s_mov_b64 s[0:1], -1
                                        ; implicit-def: $vgpr10
.LBB16_1645:
	s_andn2_b64 vcc, exec, s[0:1]
	s_cbranch_vccnz .LBB16_1647
; %bb.1646:
	global_load_dword v10, v[8:9], off
.LBB16_1647:
	s_mov_b64 s[0:1], 0
.LBB16_1648:
	s_andn2_b64 vcc, exec, s[0:1]
	s_cbranch_vccnz .LBB16_1650
; %bb.1649:
	global_load_ushort v7, v[8:9], off
	s_waitcnt vmcnt(0)
	v_cvt_f32_f16_e32 v10, v7
.LBB16_1650:
	s_mov_b64 s[0:1], 0
.LBB16_1651:
	s_andn2_b64 vcc, exec, s[0:1]
	s_cbranch_vccnz .LBB16_1671
; %bb.1652:
	v_mov_b32_e32 v7, 2
	v_cmp_lt_i16_sdwa s[0:1], s20, v7 src0_sel:BYTE_0 src1_sel:DWORD
	s_and_b64 vcc, exec, s[0:1]
	s_cbranch_vccnz .LBB16_1656
; %bb.1653:
	v_mov_b32_e32 v7, 3
	v_cmp_lt_i16_sdwa s[0:1], s20, v7 src0_sel:BYTE_0 src1_sel:DWORD
	s_and_b64 vcc, exec, s[0:1]
	s_cbranch_vccnz .LBB16_1657
; %bb.1654:
	v_cmp_gt_i16_sdwa s[0:1], s20, v7 src0_sel:BYTE_0 src1_sel:DWORD
	s_and_b64 vcc, exec, s[0:1]
	s_cbranch_vccz .LBB16_1658
; %bb.1655:
	global_load_dwordx2 v[14:15], v[8:9], off
	s_mov_b64 s[0:1], 0
	s_waitcnt vmcnt(0)
	v_xor_b32_e32 v10, v14, v15
	v_ffbh_i32_e32 v7, v15
	v_ashrrev_i32_e32 v10, 31, v10
	v_add_u32_e32 v7, -1, v7
	v_add_u32_e32 v10, 32, v10
	v_min_u32_e32 v7, v7, v10
	v_lshlrev_b64 v[14:15], v7, v[14:15]
	v_min_u32_e32 v10, 1, v14
	v_or_b32_e32 v10, v15, v10
	v_cvt_f32_i32_e32 v10, v10
	v_sub_u32_e32 v7, 32, v7
	v_ldexp_f32 v10, v10, v7
	s_branch .LBB16_1659
.LBB16_1656:
	s_mov_b64 s[0:1], -1
                                        ; implicit-def: $vgpr10
	s_branch .LBB16_1665
.LBB16_1657:
	s_mov_b64 s[0:1], -1
                                        ; implicit-def: $vgpr10
	s_branch .LBB16_1662
.LBB16_1658:
	s_mov_b64 s[0:1], -1
                                        ; implicit-def: $vgpr10
.LBB16_1659:
	s_andn2_b64 vcc, exec, s[0:1]
	s_cbranch_vccnz .LBB16_1661
; %bb.1660:
	global_load_dword v7, v[8:9], off
	s_waitcnt vmcnt(0)
	v_cvt_f32_i32_e32 v10, v7
.LBB16_1661:
	s_mov_b64 s[0:1], 0
.LBB16_1662:
	s_andn2_b64 vcc, exec, s[0:1]
	s_cbranch_vccnz .LBB16_1664
; %bb.1663:
	global_load_sshort v7, v[8:9], off
	s_waitcnt vmcnt(0)
	v_cvt_f32_i32_e32 v10, v7
.LBB16_1664:
	s_mov_b64 s[0:1], 0
.LBB16_1665:
	s_andn2_b64 vcc, exec, s[0:1]
	s_cbranch_vccnz .LBB16_1671
; %bb.1666:
	v_mov_b32_e32 v7, 0
	v_cmp_gt_i16_sdwa s[0:1], s20, v7 src0_sel:BYTE_0 src1_sel:DWORD
	s_and_b64 vcc, exec, s[0:1]
	s_cbranch_vccz .LBB16_1668
; %bb.1667:
	global_load_sbyte v7, v[8:9], off
	s_mov_b64 s[0:1], 0
	s_waitcnt vmcnt(0)
	v_cvt_f32_i32_e32 v10, v7
	s_branch .LBB16_1669
.LBB16_1668:
	s_mov_b64 s[0:1], -1
                                        ; implicit-def: $vgpr10
.LBB16_1669:
	s_andn2_b64 vcc, exec, s[0:1]
	s_cbranch_vccnz .LBB16_1671
; %bb.1670:
	global_load_ubyte v7, v[8:9], off
	s_waitcnt vmcnt(0)
	v_cvt_f32_ubyte0_e32 v10, v7
.LBB16_1671:
	s_mov_b64 s[6:7], -1
.LBB16_1672:
	s_andn2_b64 vcc, exec, s[6:7]
	s_cbranch_vccnz .LBB16_2060
; %bb.1673:
	s_mov_b32 s0, 0x7f800000
	s_waitcnt vmcnt(0)
	v_cmp_nlg_f32_e64 s[4:5], |v10|, s0
	v_mov_b32_e32 v14, v11
	s_and_saveexec_b64 s[0:1], s[4:5]
	s_cbranch_execz .LBB16_1675
; %bb.1674:
	v_mov_b32_e32 v7, 0
	v_mov_b32_e32 v8, 1.0
	global_store_dword v7, v8, s[12:13]
	global_load_dword v14, v7, s[14:15]
.LBB16_1675:
	s_or_b64 exec, exec, s[0:1]
	s_load_dword s0, s[34:35], 0x168
	v_mul_f32_e32 v7, v1, v5
	v_cmp_eq_f32_e32 vcc, 1.0, v5
	v_mov_b32_e32 v9, s9
	v_cndmask_b32_e32 v8, v7, v1, vcc
	s_waitcnt lgkmcnt(0)
	s_and_b32 s16, s0, 0xff
	v_add_co_u32_e32 v6, vcc, s8, v6
	v_addc_co_u32_e32 v7, vcc, 0, v9, vcc
	v_cmp_lt_i16_e64 s[4:5], s16, 11
	s_and_b64 vcc, exec, s[4:5]
	s_cbranch_vccnz .LBB16_1682
; %bb.1676:
	v_cmp_gt_i16_e64 s[0:1], s16, 25
	s_mov_b64 s[12:13], -1
	s_mov_b64 s[6:7], 0
	s_and_b64 vcc, exec, s[0:1]
	s_mov_b64 s[10:11], 0
	s_mov_b64 s[0:1], 0
	s_cbranch_vccz .LBB16_1714
; %bb.1677:
	v_cmp_gt_i16_e64 s[0:1], s16, 28
	s_and_b64 vcc, exec, s[0:1]
	s_cbranch_vccz .LBB16_1683
; %bb.1678:
	v_cmp_gt_i16_e64 s[0:1], s16, 43
	s_and_b64 vcc, exec, s[0:1]
	;; [unrolled: 4-line block ×3, first 2 shown]
	s_cbranch_vccz .LBB16_1686
; %bb.1680:
	v_cmp_eq_u16_e64 s[10:11], s16, 46
	s_mov_b64 s[0:1], -1
	s_mov_b64 s[12:13], 0
	s_and_b64 vcc, exec, s[10:11]
	s_mov_b64 s[10:11], 0
	s_cbranch_vccz .LBB16_1687
; %bb.1681:
	v_bfe_u32 v1, v8, 16, 1
	s_movk_i32 s0, 0x7fff
	v_add3_u32 v1, v8, v1, s0
	v_lshrrev_b32_e32 v1, 16, v1
	v_mov_b32_e32 v5, 0x7fc0
	v_cmp_o_f32_e32 vcc, v8, v8
	v_cndmask_b32_e32 v1, v5, v1, vcc
	global_store_dword v[6:7], v1, off
	s_mov_b64 s[0:1], 0
	s_mov_b64 s[10:11], -1
	s_branch .LBB16_1687
.LBB16_1682:
	s_mov_b64 s[0:1], -1
	s_mov_b64 s[10:11], 0
	s_branch .LBB16_1758
.LBB16_1683:
	s_mov_b64 s[0:1], 0
	s_branch .LBB16_1697
.LBB16_1684:
	s_mov_b64 s[0:1], 0
	s_branch .LBB16_1693
.LBB16_1685:
	s_trap 2
	s_or_b64 s[2:3], s[2:3], exec
                                        ; implicit-def: $vgpr10
	s_cbranch_execz .LBB16_1621
	s_branch .LBB16_1622
.LBB16_1686:
	s_mov_b64 s[0:1], 0
.LBB16_1687:
	s_and_b64 vcc, exec, s[12:13]
	s_cbranch_vccz .LBB16_1692
; %bb.1688:
	v_cmp_eq_u16_e64 s[12:13], s16, 44
	s_mov_b64 s[0:1], -1
	s_and_b64 vcc, exec, s[12:13]
	s_cbranch_vccz .LBB16_1692
; %bb.1689:
	v_bfe_u32 v1, v8, 23, 8
	s_movk_i32 s0, 0xff
	v_cmp_ne_u32_e32 vcc, s0, v1
	v_mov_b32_e32 v5, 0xff
	s_and_saveexec_b64 s[10:11], vcc
; %bb.1690:
	s_mov_b32 s0, 0x3fffff
	v_and_b32_e32 v9, 0x400000, v8
	v_and_or_b32 v1, v8, s0, v1
	v_cmp_ne_u32_e32 vcc, 0, v9
	v_cmp_ne_u32_e64 s[0:1], 0, v1
	s_and_b64 s[0:1], vcc, s[0:1]
	v_lshrrev_b32_e32 v5, 23, v8
	v_cndmask_b32_e64 v1, 0, 1, s[0:1]
	v_add_u32_e32 v5, v5, v1
; %bb.1691:
	s_or_b64 exec, exec, s[10:11]
	s_mov_b64 s[0:1], 0
	s_mov_b64 s[10:11], -1
	global_store_byte v[6:7], v5, off
.LBB16_1692:
	s_mov_b64 s[12:13], 0
.LBB16_1693:
	s_and_b64 vcc, exec, s[12:13]
	s_cbranch_vccz .LBB16_1696
; %bb.1694:
	v_cmp_eq_u16_e64 s[12:13], s16, 29
	s_mov_b64 s[0:1], -1
	s_and_b64 vcc, exec, s[12:13]
	s_cbranch_vccz .LBB16_1696
; %bb.1695:
	v_trunc_f32_e32 v1, v8
	v_mul_f32_e32 v5, 0x2f800000, v1
	v_floor_f32_e32 v5, v5
	v_fmac_f32_e32 v1, 0xcf800000, v5
	v_cvt_u32_f32_e32 v17, v5
	v_cvt_u32_f32_e32 v16, v1
	s_mov_b64 s[0:1], 0
	s_mov_b64 s[10:11], -1
	s_mov_b64 s[12:13], 0
	global_store_dwordx2 v[6:7], v[16:17], off
	s_branch .LBB16_1697
.LBB16_1696:
	s_mov_b64 s[12:13], 0
.LBB16_1697:
	s_and_b64 vcc, exec, s[12:13]
	s_cbranch_vccz .LBB16_1713
; %bb.1698:
	v_cmp_lt_i16_e64 s[12:13], s16, 27
	s_mov_b64 s[10:11], -1
	s_and_b64 vcc, exec, s[12:13]
	s_cbranch_vccnz .LBB16_1704
; %bb.1699:
	v_cvt_u32_f32_e32 v1, v8
	v_cmp_gt_i16_e64 s[12:13], s16, 27
	s_and_b64 vcc, exec, s[12:13]
	s_cbranch_vccz .LBB16_1701
; %bb.1700:
	s_mov_b64 s[10:11], 0
	global_store_dword v[6:7], v1, off
.LBB16_1701:
	s_andn2_b64 vcc, exec, s[10:11]
	s_cbranch_vccnz .LBB16_1703
; %bb.1702:
	global_store_short v[6:7], v1, off
.LBB16_1703:
	s_mov_b64 s[10:11], 0
.LBB16_1704:
	s_andn2_b64 vcc, exec, s[10:11]
	s_cbranch_vccnz .LBB16_1712
; %bb.1705:
	v_and_b32_e32 v1, 0x7fffffff, v8
	s_mov_b32 s10, 0x43800000
	v_cmp_gt_u32_e32 vcc, s10, v1
	v_mov_b32_e32 v5, 0x80
	s_and_saveexec_b64 s[10:11], vcc
	s_cbranch_execz .LBB16_1711
; %bb.1706:
	s_mov_b32 s12, 0x3bffffff
	v_cmp_lt_u32_e32 vcc, s12, v1
	s_mov_b64 s[12:13], 0
                                        ; implicit-def: $vgpr1
	s_and_saveexec_b64 s[14:15], vcc
	s_xor_b64 s[14:15], exec, s[14:15]
	s_cbranch_execz .LBB16_1807
; %bb.1707:
	v_bfe_u32 v1, v8, 20, 1
	s_mov_b32 s17, 0x487ffff
	v_add3_u32 v1, v8, v1, s17
	s_mov_b64 s[12:13], exec
	v_lshrrev_b32_e32 v1, 20, v1
	s_or_saveexec_b64 s[14:15], s[14:15]
                                        ; implicit-def: $sgpr17
	s_xor_b64 exec, exec, s[14:15]
	s_cbranch_execnz .LBB16_1808
.LBB16_1708:
	s_or_b64 exec, exec, s[14:15]
	v_mov_b32_e32 v5, s17
	s_and_saveexec_b64 s[14:15], s[12:13]
.LBB16_1709:
	v_lshrrev_b32_e32 v5, 24, v8
	s_movk_i32 s12, 0x80
	v_and_or_b32 v5, v5, s12, v1
.LBB16_1710:
	s_or_b64 exec, exec, s[14:15]
.LBB16_1711:
	s_or_b64 exec, exec, s[10:11]
	global_store_byte v[6:7], v5, off
.LBB16_1712:
	s_mov_b64 s[10:11], -1
.LBB16_1713:
	s_mov_b64 s[12:13], 0
.LBB16_1714:
	s_and_b64 vcc, exec, s[12:13]
	s_cbranch_vccz .LBB16_1754
; %bb.1715:
	v_cmp_gt_i16_e64 s[12:13], s16, 22
	s_mov_b64 s[6:7], -1
	s_and_b64 vcc, exec, s[12:13]
	s_cbranch_vccz .LBB16_1747
; %bb.1716:
	v_cmp_lt_i16_e64 s[10:11], s16, 24
	s_and_b64 vcc, exec, s[10:11]
	s_cbranch_vccnz .LBB16_1736
; %bb.1717:
	v_cmp_gt_i16_e64 s[10:11], s16, 24
	s_and_b64 vcc, exec, s[10:11]
	s_cbranch_vccz .LBB16_1725
; %bb.1718:
	v_and_b32_e32 v1, 0x7fffffff, v8
	s_mov_b32 s6, 0x47800000
	v_cmp_gt_u32_e32 vcc, s6, v1
	v_mov_b32_e32 v5, 0x80
	s_and_saveexec_b64 s[6:7], vcc
	s_cbranch_execz .LBB16_1724
; %bb.1719:
	s_mov_b32 s10, 0x37ffffff
	v_cmp_lt_u32_e32 vcc, s10, v1
	s_mov_b64 s[10:11], 0
                                        ; implicit-def: $vgpr1
	s_and_saveexec_b64 s[12:13], vcc
	s_xor_b64 s[12:13], exec, s[12:13]
	s_cbranch_execz .LBB16_1811
; %bb.1720:
	v_bfe_u32 v1, v8, 21, 1
	s_mov_b32 s14, 0x88fffff
	v_add3_u32 v1, v8, v1, s14
	s_mov_b64 s[10:11], exec
	v_lshrrev_b32_e32 v1, 21, v1
	s_or_saveexec_b64 s[12:13], s[12:13]
                                        ; implicit-def: $sgpr14
	s_xor_b64 exec, exec, s[12:13]
	s_cbranch_execnz .LBB16_1812
.LBB16_1721:
	s_or_b64 exec, exec, s[12:13]
	v_mov_b32_e32 v5, s14
	s_and_saveexec_b64 s[12:13], s[10:11]
.LBB16_1722:
	v_lshrrev_b32_e32 v5, 24, v8
	s_movk_i32 s10, 0x80
	v_and_or_b32 v5, v5, s10, v1
.LBB16_1723:
	s_or_b64 exec, exec, s[12:13]
.LBB16_1724:
	s_or_b64 exec, exec, s[6:7]
	s_mov_b64 s[6:7], 0
	global_store_byte v[6:7], v5, off
.LBB16_1725:
	s_and_b64 vcc, exec, s[6:7]
	s_cbranch_vccz .LBB16_1735
; %bb.1726:
	v_and_b32_e32 v5, 0x7fffffff, v8
	s_mov_b32 s6, 0x43f00000
	v_cmp_gt_u32_e32 vcc, s6, v5
                                        ; implicit-def: $vgpr1
	s_and_saveexec_b64 s[6:7], vcc
	s_xor_b64 s[6:7], exec, s[6:7]
	s_cbranch_execz .LBB16_1732
; %bb.1727:
	s_mov_b32 s10, 0x3c7fffff
	v_cmp_lt_u32_e32 vcc, s10, v5
                                        ; implicit-def: $vgpr1
	s_and_saveexec_b64 s[10:11], vcc
	s_xor_b64 s[10:11], exec, s[10:11]
; %bb.1728:
	v_bfe_u32 v1, v8, 20, 1
	s_mov_b32 s12, 0x407ffff
	v_add3_u32 v1, v8, v1, s12
	v_lshrrev_b32_e32 v5, 20, v1
	v_and_b32_e32 v1, 0xff00000, v1
	s_mov_b32 s12, 0x7f00000
	v_mov_b32_e32 v9, 0x7e
	v_cmp_ne_u32_e32 vcc, s12, v1
	v_cndmask_b32_e32 v1, v9, v5, vcc
; %bb.1729:
	s_andn2_saveexec_b64 s[10:11], s[10:11]
; %bb.1730:
	s_mov_b32 s12, 0x46800000
	v_add_f32_e64 v1, |v8|, s12
; %bb.1731:
	s_or_b64 exec, exec, s[10:11]
                                        ; implicit-def: $vgpr5
.LBB16_1732:
	s_andn2_saveexec_b64 s[6:7], s[6:7]
; %bb.1733:
	s_mov_b32 s10, 0x7f800000
	v_mov_b32_e32 v1, 0x7e
	v_mov_b32_e32 v9, 0x7f
	v_cmp_lt_u32_e32 vcc, s10, v5
	v_cndmask_b32_e32 v1, v1, v9, vcc
; %bb.1734:
	s_or_b64 exec, exec, s[6:7]
	v_lshrrev_b32_e32 v5, 24, v8
	s_movk_i32 s6, 0x80
	v_and_or_b32 v1, v5, s6, v1
	global_store_byte v[6:7], v1, off
.LBB16_1735:
	s_mov_b64 s[6:7], 0
.LBB16_1736:
	s_andn2_b64 vcc, exec, s[6:7]
	s_cbranch_vccnz .LBB16_1746
; %bb.1737:
	v_and_b32_e32 v5, 0x7fffffff, v8
	s_mov_b32 s6, 0x47800000
	v_cmp_gt_u32_e32 vcc, s6, v5
                                        ; implicit-def: $vgpr1
	s_and_saveexec_b64 s[6:7], vcc
	s_xor_b64 s[6:7], exec, s[6:7]
	s_cbranch_execz .LBB16_1743
; %bb.1738:
	s_mov_b32 s10, 0x387fffff
	v_cmp_lt_u32_e32 vcc, s10, v5
                                        ; implicit-def: $vgpr1
	s_and_saveexec_b64 s[10:11], vcc
	s_xor_b64 s[10:11], exec, s[10:11]
; %bb.1739:
	v_bfe_u32 v1, v8, 21, 1
	s_mov_b32 s12, 0x80fffff
	v_add3_u32 v1, v8, v1, s12
	v_lshrrev_b32_e32 v1, 21, v1
; %bb.1740:
	s_andn2_saveexec_b64 s[10:11], s[10:11]
; %bb.1741:
	s_mov_b32 s12, 0x43000000
	v_add_f32_e64 v1, |v8|, s12
; %bb.1742:
	s_or_b64 exec, exec, s[10:11]
                                        ; implicit-def: $vgpr5
.LBB16_1743:
	s_andn2_saveexec_b64 s[6:7], s[6:7]
; %bb.1744:
	s_mov_b32 s10, 0x7f800000
	v_mov_b32_e32 v1, 0x7c
	v_mov_b32_e32 v9, 0x7f
	v_cmp_lt_u32_e32 vcc, s10, v5
	v_cndmask_b32_e32 v1, v1, v9, vcc
; %bb.1745:
	s_or_b64 exec, exec, s[6:7]
	v_lshrrev_b32_e32 v5, 24, v8
	s_movk_i32 s6, 0x80
	v_and_or_b32 v1, v5, s6, v1
	global_store_byte v[6:7], v1, off
.LBB16_1746:
	s_mov_b64 s[6:7], 0
	s_mov_b64 s[10:11], -1
.LBB16_1747:
	s_andn2_b64 vcc, exec, s[6:7]
	s_mov_b64 s[6:7], 0
	s_cbranch_vccnz .LBB16_1754
; %bb.1748:
	v_cmp_gt_i16_e64 s[6:7], s16, 14
	s_mov_b64 s[12:13], -1
	s_and_b64 vcc, exec, s[6:7]
	s_cbranch_vccz .LBB16_1752
; %bb.1749:
	v_cmp_eq_u16_e64 s[6:7], s16, 15
	s_mov_b64 s[0:1], -1
	s_and_b64 vcc, exec, s[6:7]
	s_cbranch_vccz .LBB16_1751
; %bb.1750:
	v_bfe_u32 v1, v8, 16, 1
	s_movk_i32 s0, 0x7fff
	v_add3_u32 v1, v8, v1, s0
	v_lshrrev_b32_e32 v1, 16, v1
	v_mov_b32_e32 v5, 0x7fc0
	v_cmp_o_f32_e32 vcc, v8, v8
	v_cndmask_b32_e32 v1, v5, v1, vcc
	global_store_short v[6:7], v1, off
	s_mov_b64 s[0:1], 0
	s_mov_b64 s[10:11], -1
.LBB16_1751:
	s_mov_b64 s[12:13], 0
.LBB16_1752:
	s_mov_b64 s[6:7], 0
	s_and_b64 vcc, exec, s[12:13]
	s_cbranch_vccz .LBB16_1754
; %bb.1753:
	v_cmp_ne_u16_e64 s[0:1], s16, 11
	s_mov_b64 s[6:7], -1
.LBB16_1754:
	s_and_b64 vcc, exec, s[0:1]
	s_cbranch_vccnz .LBB16_1810
; %bb.1755:
	s_andn2_b64 vcc, exec, s[6:7]
	s_cbranch_vccnz .LBB16_1757
.LBB16_1756:
	v_cmp_neq_f32_e32 vcc, 0, v8
	v_cndmask_b32_e64 v1, 0, 1, vcc
	s_mov_b64 s[10:11], -1
	global_store_byte v[6:7], v1, off
.LBB16_1757:
	s_mov_b64 s[0:1], 0
.LBB16_1758:
	s_and_b64 vcc, exec, s[0:1]
	s_cbranch_vccz .LBB16_1797
; %bb.1759:
	v_cmp_lt_i16_e64 s[6:7], s16, 5
	s_mov_b64 s[0:1], -1
	s_and_b64 vcc, exec, s[6:7]
	s_cbranch_vccnz .LBB16_1780
; %bb.1760:
	v_cmp_lt_i16_e64 s[6:7], s16, 8
	s_and_b64 vcc, exec, s[6:7]
	s_cbranch_vccnz .LBB16_1770
; %bb.1761:
	v_cmp_lt_i16_e64 s[6:7], s16, 9
	s_and_b64 vcc, exec, s[6:7]
	s_cbranch_vccnz .LBB16_1767
; %bb.1762:
	v_cmp_gt_i16_e64 s[6:7], s16, 9
	s_and_b64 vcc, exec, s[6:7]
	s_cbranch_vccz .LBB16_1764
; %bb.1763:
	v_mov_b32_e32 v18, 0
	v_cvt_f64_f32_e32 v[16:17], v8
	v_mov_b32_e32 v19, v18
	global_store_dwordx4 v[6:7], v[16:19], off
	s_mov_b64 s[0:1], 0
.LBB16_1764:
	s_andn2_b64 vcc, exec, s[0:1]
	s_cbranch_vccnz .LBB16_1766
; %bb.1765:
	v_mov_b32_e32 v9, 0
	global_store_dwordx2 v[6:7], v[8:9], off
.LBB16_1766:
	s_mov_b64 s[0:1], 0
.LBB16_1767:
	s_andn2_b64 vcc, exec, s[0:1]
	s_cbranch_vccnz .LBB16_1769
; %bb.1768:
	v_cvt_f16_f32_e32 v1, v8
	global_store_dword v[6:7], v1, off
.LBB16_1769:
	s_mov_b64 s[0:1], 0
.LBB16_1770:
	s_andn2_b64 vcc, exec, s[0:1]
	s_cbranch_vccnz .LBB16_1779
; %bb.1771:
	v_cmp_lt_i16_e64 s[6:7], s16, 6
	s_mov_b64 s[0:1], -1
	s_and_b64 vcc, exec, s[6:7]
	s_cbranch_vccnz .LBB16_1777
; %bb.1772:
	v_cmp_gt_i16_e64 s[6:7], s16, 6
	s_and_b64 vcc, exec, s[6:7]
	s_cbranch_vccz .LBB16_1774
; %bb.1773:
	v_cvt_f64_f32_e32 v[16:17], v8
	global_store_dwordx2 v[6:7], v[16:17], off
	s_mov_b64 s[0:1], 0
.LBB16_1774:
	s_andn2_b64 vcc, exec, s[0:1]
	s_cbranch_vccnz .LBB16_1776
; %bb.1775:
	global_store_dword v[6:7], v8, off
.LBB16_1776:
	s_mov_b64 s[0:1], 0
.LBB16_1777:
	s_andn2_b64 vcc, exec, s[0:1]
	s_cbranch_vccnz .LBB16_1779
; %bb.1778:
	v_cvt_f16_f32_e32 v1, v8
	global_store_short v[6:7], v1, off
.LBB16_1779:
	s_mov_b64 s[0:1], 0
.LBB16_1780:
	s_andn2_b64 vcc, exec, s[0:1]
	s_cbranch_vccnz .LBB16_1796
; %bb.1781:
	v_cmp_lt_i16_e64 s[6:7], s16, 2
	s_mov_b64 s[0:1], -1
	s_and_b64 vcc, exec, s[6:7]
	s_cbranch_vccnz .LBB16_1791
; %bb.1782:
	v_cmp_lt_i16_e64 s[6:7], s16, 3
	s_and_b64 vcc, exec, s[6:7]
	s_cbranch_vccnz .LBB16_1788
; %bb.1783:
	v_cmp_gt_i16_e64 s[6:7], s16, 3
	s_and_b64 vcc, exec, s[6:7]
	s_cbranch_vccz .LBB16_1785
; %bb.1784:
	v_trunc_f32_e32 v1, v8
	s_mov_b32 s0, 0x2f800000
	v_mul_f32_e64 v5, |v1|, s0
	v_floor_f32_e32 v5, v5
	s_mov_b32 s0, 0xcf800000
	v_cvt_u32_f32_e32 v9, v5
	v_fma_f32 v5, v5, s0, |v1|
	v_cvt_u32_f32_e32 v5, v5
	v_ashrrev_i32_e32 v1, 31, v1
	v_xor_b32_e32 v9, v9, v1
	s_mov_b64 s[0:1], 0
	v_xor_b32_e32 v5, v5, v1
	v_sub_co_u32_e32 v16, vcc, v5, v1
	v_subb_co_u32_e32 v17, vcc, v9, v1, vcc
	global_store_dwordx2 v[6:7], v[16:17], off
.LBB16_1785:
	s_andn2_b64 vcc, exec, s[0:1]
	s_cbranch_vccnz .LBB16_1787
; %bb.1786:
	v_cvt_i32_f32_e32 v1, v8
	global_store_dword v[6:7], v1, off
.LBB16_1787:
	s_mov_b64 s[0:1], 0
.LBB16_1788:
	s_andn2_b64 vcc, exec, s[0:1]
	s_cbranch_vccnz .LBB16_1790
; %bb.1789:
	v_cvt_i32_f32_e32 v1, v8
	global_store_short v[6:7], v1, off
.LBB16_1790:
	s_mov_b64 s[0:1], 0
.LBB16_1791:
	s_andn2_b64 vcc, exec, s[0:1]
	s_cbranch_vccnz .LBB16_1796
; %bb.1792:
	v_cmp_gt_i16_e64 s[6:7], s16, 0
	s_mov_b64 s[0:1], -1
	s_and_b64 vcc, exec, s[6:7]
	s_cbranch_vccz .LBB16_1794
; %bb.1793:
	v_cvt_i32_f32_e32 v1, v8
	s_mov_b64 s[0:1], 0
	global_store_byte v[6:7], v1, off
.LBB16_1794:
	s_andn2_b64 vcc, exec, s[0:1]
	s_cbranch_vccnz .LBB16_1796
; %bb.1795:
	v_trunc_f32_e32 v1, v8
	s_mov_b32 s0, 0x2f800000
	v_mul_f32_e64 v5, |v1|, s0
	v_floor_f32_e32 v5, v5
	s_mov_b32 s0, 0xcf800000
	v_fma_f32 v5, v5, s0, |v1|
	v_cvt_u32_f32_e32 v5, v5
	v_ashrrev_i32_e32 v1, 31, v1
	v_xor_b32_e32 v5, v5, v1
	v_sub_u32_e32 v1, v5, v1
	global_store_byte v[6:7], v1, off
.LBB16_1796:
	s_mov_b64 s[10:11], -1
.LBB16_1797:
	s_andn2_b64 vcc, exec, s[10:11]
	s_cbranch_vccnz .LBB16_2060
; %bb.1798:
	v_mul_f32_e32 v1, v3, v13
	v_cmp_eq_f32_e32 vcc, 1.0, v13
	v_cndmask_b32_e32 v6, v1, v3, vcc
	v_mov_b32_e32 v1, s9
	v_add_co_u32_e32 v4, vcc, s8, v4
	v_addc_co_u32_e32 v5, vcc, 0, v1, vcc
	s_and_b64 vcc, exec, s[4:5]
	s_cbranch_vccnz .LBB16_1805
; %bb.1799:
	v_cmp_gt_i16_e64 s[0:1], s16, 25
	s_mov_b64 s[12:13], -1
	s_mov_b64 s[6:7], 0
	s_and_b64 vcc, exec, s[0:1]
	s_mov_b64 s[10:11], 0
	s_mov_b64 s[0:1], 0
	s_cbranch_vccz .LBB16_1841
; %bb.1800:
	v_cmp_gt_i16_e64 s[0:1], s16, 28
	s_and_b64 vcc, exec, s[0:1]
	s_cbranch_vccz .LBB16_1806
; %bb.1801:
	v_cmp_gt_i16_e64 s[0:1], s16, 43
	s_and_b64 vcc, exec, s[0:1]
	;; [unrolled: 4-line block ×3, first 2 shown]
	s_cbranch_vccz .LBB16_1813
; %bb.1803:
	v_cmp_eq_u16_e64 s[10:11], s16, 46
	s_mov_b64 s[0:1], -1
	s_mov_b64 s[12:13], 0
	s_and_b64 vcc, exec, s[10:11]
	s_mov_b64 s[10:11], 0
	s_cbranch_vccz .LBB16_1814
; %bb.1804:
	v_bfe_u32 v1, v6, 16, 1
	s_movk_i32 s0, 0x7fff
	v_add3_u32 v1, v6, v1, s0
	v_lshrrev_b32_e32 v1, 16, v1
	v_mov_b32_e32 v3, 0x7fc0
	v_cmp_o_f32_e32 vcc, v6, v6
	v_cndmask_b32_e32 v1, v3, v1, vcc
	global_store_dword v[4:5], v1, off
	s_mov_b64 s[0:1], 0
	s_mov_b64 s[10:11], -1
	s_branch .LBB16_1814
.LBB16_1805:
	s_mov_b64 s[0:1], -1
	s_mov_b64 s[10:11], 0
	s_branch .LBB16_1885
.LBB16_1806:
	s_mov_b64 s[0:1], 0
	s_branch .LBB16_1824
.LBB16_1807:
	s_or_saveexec_b64 s[14:15], s[14:15]
                                        ; implicit-def: $sgpr17
	s_xor_b64 exec, exec, s[14:15]
	s_cbranch_execz .LBB16_1708
.LBB16_1808:
	s_mov_b32 s17, 0x46000000
	v_add_f32_e64 v1, |v8|, s17
	v_and_b32_e32 v1, 0xff, v1
	v_cmp_ne_u32_e32 vcc, 0, v1
	s_andn2_b64 s[12:13], s[12:13], exec
	s_and_b64 s[18:19], vcc, exec
	s_mov_b32 s17, 0
	s_or_b64 s[12:13], s[12:13], s[18:19]
	s_or_b64 exec, exec, s[14:15]
	v_mov_b32_e32 v5, s17
	s_and_saveexec_b64 s[14:15], s[12:13]
	s_cbranch_execnz .LBB16_1709
	s_branch .LBB16_1710
.LBB16_1809:
	s_mov_b64 s[0:1], 0
	s_branch .LBB16_1820
.LBB16_1810:
	s_trap 2
	s_or_b64 s[2:3], s[2:3], exec
	s_cbranch_execz .LBB16_1756
	s_branch .LBB16_1757
.LBB16_1811:
	s_or_saveexec_b64 s[12:13], s[12:13]
                                        ; implicit-def: $sgpr14
	s_xor_b64 exec, exec, s[12:13]
	s_cbranch_execz .LBB16_1721
.LBB16_1812:
	s_mov_b32 s14, 0x42800000
	v_add_f32_e64 v1, |v8|, s14
	v_and_b32_e32 v1, 0xff, v1
	v_cmp_ne_u32_e32 vcc, 0, v1
	s_andn2_b64 s[10:11], s[10:11], exec
	s_and_b64 s[18:19], vcc, exec
	s_mov_b32 s14, 0
	s_or_b64 s[10:11], s[10:11], s[18:19]
	s_or_b64 exec, exec, s[12:13]
	v_mov_b32_e32 v5, s14
	s_and_saveexec_b64 s[12:13], s[10:11]
	s_cbranch_execnz .LBB16_1722
	s_branch .LBB16_1723
.LBB16_1813:
	s_mov_b64 s[0:1], 0
.LBB16_1814:
	s_and_b64 vcc, exec, s[12:13]
	s_cbranch_vccz .LBB16_1819
; %bb.1815:
	v_cmp_eq_u16_e64 s[12:13], s16, 44
	s_mov_b64 s[0:1], -1
	s_and_b64 vcc, exec, s[12:13]
	s_cbranch_vccz .LBB16_1819
; %bb.1816:
	v_bfe_u32 v1, v6, 23, 8
	s_movk_i32 s0, 0xff
	v_cmp_ne_u32_e32 vcc, s0, v1
	v_mov_b32_e32 v3, 0xff
	s_and_saveexec_b64 s[10:11], vcc
; %bb.1817:
	s_mov_b32 s0, 0x3fffff
	v_and_b32_e32 v7, 0x400000, v6
	v_and_or_b32 v1, v6, s0, v1
	v_cmp_ne_u32_e32 vcc, 0, v7
	v_cmp_ne_u32_e64 s[0:1], 0, v1
	s_and_b64 s[0:1], vcc, s[0:1]
	v_lshrrev_b32_e32 v3, 23, v6
	v_cndmask_b32_e64 v1, 0, 1, s[0:1]
	v_add_u32_e32 v3, v3, v1
; %bb.1818:
	s_or_b64 exec, exec, s[10:11]
	s_mov_b64 s[0:1], 0
	s_mov_b64 s[10:11], -1
	global_store_byte v[4:5], v3, off
.LBB16_1819:
	s_mov_b64 s[12:13], 0
.LBB16_1820:
	s_and_b64 vcc, exec, s[12:13]
	s_cbranch_vccz .LBB16_1823
; %bb.1821:
	v_cmp_eq_u16_e64 s[12:13], s16, 29
	s_mov_b64 s[0:1], -1
	s_and_b64 vcc, exec, s[12:13]
	s_cbranch_vccz .LBB16_1823
; %bb.1822:
	v_trunc_f32_e32 v1, v6
	v_mul_f32_e32 v3, 0x2f800000, v1
	v_floor_f32_e32 v3, v3
	v_fmac_f32_e32 v1, 0xcf800000, v3
	v_cvt_u32_f32_e32 v9, v3
	v_cvt_u32_f32_e32 v8, v1
	s_mov_b64 s[0:1], 0
	s_mov_b64 s[10:11], -1
	s_mov_b64 s[12:13], 0
	global_store_dwordx2 v[4:5], v[8:9], off
	s_branch .LBB16_1824
.LBB16_1823:
	s_mov_b64 s[12:13], 0
.LBB16_1824:
	s_and_b64 vcc, exec, s[12:13]
	s_cbranch_vccz .LBB16_1840
; %bb.1825:
	v_cmp_lt_i16_e64 s[12:13], s16, 27
	s_mov_b64 s[10:11], -1
	s_and_b64 vcc, exec, s[12:13]
	s_cbranch_vccnz .LBB16_1831
; %bb.1826:
	v_cmp_gt_i16_e64 s[12:13], s16, 27
	s_and_b64 vcc, exec, s[12:13]
	s_cbranch_vccz .LBB16_1828
; %bb.1827:
	v_cvt_u32_f32_e32 v1, v6
	s_mov_b64 s[10:11], 0
	global_store_dword v[4:5], v1, off
.LBB16_1828:
	s_andn2_b64 vcc, exec, s[10:11]
	s_cbranch_vccnz .LBB16_1830
; %bb.1829:
	v_cvt_u32_f32_e32 v1, v6
	global_store_short v[4:5], v1, off
.LBB16_1830:
	s_mov_b64 s[10:11], 0
.LBB16_1831:
	s_andn2_b64 vcc, exec, s[10:11]
	s_cbranch_vccnz .LBB16_1839
; %bb.1832:
	v_and_b32_e32 v1, 0x7fffffff, v6
	s_mov_b32 s10, 0x43800000
	v_cmp_gt_u32_e32 vcc, s10, v1
	v_mov_b32_e32 v3, 0x80
	s_and_saveexec_b64 s[10:11], vcc
	s_cbranch_execz .LBB16_1838
; %bb.1833:
	s_mov_b32 s12, 0x3bffffff
	v_cmp_lt_u32_e32 vcc, s12, v1
	s_mov_b64 s[12:13], 0
                                        ; implicit-def: $vgpr1
	s_and_saveexec_b64 s[14:15], vcc
	s_xor_b64 s[14:15], exec, s[14:15]
	s_cbranch_execz .LBB16_1934
; %bb.1834:
	v_bfe_u32 v1, v6, 20, 1
	s_mov_b32 s17, 0x487ffff
	v_add3_u32 v1, v6, v1, s17
	s_mov_b64 s[12:13], exec
	v_lshrrev_b32_e32 v1, 20, v1
	s_or_saveexec_b64 s[14:15], s[14:15]
                                        ; implicit-def: $sgpr17
	s_xor_b64 exec, exec, s[14:15]
	s_cbranch_execnz .LBB16_1935
.LBB16_1835:
	s_or_b64 exec, exec, s[14:15]
	v_mov_b32_e32 v3, s17
	s_and_saveexec_b64 s[14:15], s[12:13]
.LBB16_1836:
	v_lshrrev_b32_e32 v3, 24, v6
	s_movk_i32 s12, 0x80
	v_and_or_b32 v3, v3, s12, v1
.LBB16_1837:
	s_or_b64 exec, exec, s[14:15]
.LBB16_1838:
	s_or_b64 exec, exec, s[10:11]
	global_store_byte v[4:5], v3, off
.LBB16_1839:
	s_mov_b64 s[10:11], -1
.LBB16_1840:
	s_mov_b64 s[12:13], 0
.LBB16_1841:
	s_and_b64 vcc, exec, s[12:13]
	s_cbranch_vccz .LBB16_1881
; %bb.1842:
	v_cmp_gt_i16_e64 s[12:13], s16, 22
	s_mov_b64 s[6:7], -1
	s_and_b64 vcc, exec, s[12:13]
	s_cbranch_vccz .LBB16_1874
; %bb.1843:
	v_cmp_lt_i16_e64 s[10:11], s16, 24
	s_and_b64 vcc, exec, s[10:11]
	s_cbranch_vccnz .LBB16_1863
; %bb.1844:
	v_cmp_gt_i16_e64 s[10:11], s16, 24
	s_and_b64 vcc, exec, s[10:11]
	s_cbranch_vccz .LBB16_1852
; %bb.1845:
	v_and_b32_e32 v1, 0x7fffffff, v6
	s_mov_b32 s6, 0x47800000
	v_cmp_gt_u32_e32 vcc, s6, v1
	v_mov_b32_e32 v3, 0x80
	s_and_saveexec_b64 s[6:7], vcc
	s_cbranch_execz .LBB16_1851
; %bb.1846:
	s_mov_b32 s10, 0x37ffffff
	v_cmp_lt_u32_e32 vcc, s10, v1
	s_mov_b64 s[10:11], 0
                                        ; implicit-def: $vgpr1
	s_and_saveexec_b64 s[12:13], vcc
	s_xor_b64 s[12:13], exec, s[12:13]
	s_cbranch_execz .LBB16_1938
; %bb.1847:
	v_bfe_u32 v1, v6, 21, 1
	s_mov_b32 s14, 0x88fffff
	v_add3_u32 v1, v6, v1, s14
	s_mov_b64 s[10:11], exec
	v_lshrrev_b32_e32 v1, 21, v1
	s_or_saveexec_b64 s[12:13], s[12:13]
                                        ; implicit-def: $sgpr14
	s_xor_b64 exec, exec, s[12:13]
	s_cbranch_execnz .LBB16_1939
.LBB16_1848:
	s_or_b64 exec, exec, s[12:13]
	v_mov_b32_e32 v3, s14
	s_and_saveexec_b64 s[12:13], s[10:11]
.LBB16_1849:
	v_lshrrev_b32_e32 v3, 24, v6
	s_movk_i32 s10, 0x80
	v_and_or_b32 v3, v3, s10, v1
.LBB16_1850:
	s_or_b64 exec, exec, s[12:13]
.LBB16_1851:
	s_or_b64 exec, exec, s[6:7]
	s_mov_b64 s[6:7], 0
	global_store_byte v[4:5], v3, off
.LBB16_1852:
	s_and_b64 vcc, exec, s[6:7]
	s_cbranch_vccz .LBB16_1862
; %bb.1853:
	v_and_b32_e32 v3, 0x7fffffff, v6
	s_mov_b32 s6, 0x43f00000
	v_cmp_gt_u32_e32 vcc, s6, v3
                                        ; implicit-def: $vgpr1
	s_and_saveexec_b64 s[6:7], vcc
	s_xor_b64 s[6:7], exec, s[6:7]
	s_cbranch_execz .LBB16_1859
; %bb.1854:
	s_mov_b32 s10, 0x3c7fffff
	v_cmp_lt_u32_e32 vcc, s10, v3
                                        ; implicit-def: $vgpr1
	s_and_saveexec_b64 s[10:11], vcc
	s_xor_b64 s[10:11], exec, s[10:11]
; %bb.1855:
	v_bfe_u32 v1, v6, 20, 1
	s_mov_b32 s12, 0x407ffff
	v_add3_u32 v1, v6, v1, s12
	v_lshrrev_b32_e32 v3, 20, v1
	v_and_b32_e32 v1, 0xff00000, v1
	s_mov_b32 s12, 0x7f00000
	v_mov_b32_e32 v7, 0x7e
	v_cmp_ne_u32_e32 vcc, s12, v1
	v_cndmask_b32_e32 v1, v7, v3, vcc
; %bb.1856:
	s_andn2_saveexec_b64 s[10:11], s[10:11]
; %bb.1857:
	s_mov_b32 s12, 0x46800000
	v_add_f32_e64 v1, |v6|, s12
; %bb.1858:
	s_or_b64 exec, exec, s[10:11]
                                        ; implicit-def: $vgpr3
.LBB16_1859:
	s_andn2_saveexec_b64 s[6:7], s[6:7]
; %bb.1860:
	s_mov_b32 s10, 0x7f800000
	v_mov_b32_e32 v1, 0x7e
	v_mov_b32_e32 v7, 0x7f
	v_cmp_lt_u32_e32 vcc, s10, v3
	v_cndmask_b32_e32 v1, v1, v7, vcc
; %bb.1861:
	s_or_b64 exec, exec, s[6:7]
	v_lshrrev_b32_e32 v3, 24, v6
	s_movk_i32 s6, 0x80
	v_and_or_b32 v1, v3, s6, v1
	global_store_byte v[4:5], v1, off
.LBB16_1862:
	s_mov_b64 s[6:7], 0
.LBB16_1863:
	s_andn2_b64 vcc, exec, s[6:7]
	s_cbranch_vccnz .LBB16_1873
; %bb.1864:
	v_and_b32_e32 v3, 0x7fffffff, v6
	s_mov_b32 s6, 0x47800000
	v_cmp_gt_u32_e32 vcc, s6, v3
                                        ; implicit-def: $vgpr1
	s_and_saveexec_b64 s[6:7], vcc
	s_xor_b64 s[6:7], exec, s[6:7]
	s_cbranch_execz .LBB16_1870
; %bb.1865:
	s_mov_b32 s10, 0x387fffff
	v_cmp_lt_u32_e32 vcc, s10, v3
                                        ; implicit-def: $vgpr1
	s_and_saveexec_b64 s[10:11], vcc
	s_xor_b64 s[10:11], exec, s[10:11]
; %bb.1866:
	v_bfe_u32 v1, v6, 21, 1
	s_mov_b32 s12, 0x80fffff
	v_add3_u32 v1, v6, v1, s12
	v_lshrrev_b32_e32 v1, 21, v1
; %bb.1867:
	s_andn2_saveexec_b64 s[10:11], s[10:11]
; %bb.1868:
	s_mov_b32 s12, 0x43000000
	v_add_f32_e64 v1, |v6|, s12
; %bb.1869:
	s_or_b64 exec, exec, s[10:11]
                                        ; implicit-def: $vgpr3
.LBB16_1870:
	s_andn2_saveexec_b64 s[6:7], s[6:7]
; %bb.1871:
	s_mov_b32 s10, 0x7f800000
	v_mov_b32_e32 v1, 0x7c
	v_mov_b32_e32 v7, 0x7f
	v_cmp_lt_u32_e32 vcc, s10, v3
	v_cndmask_b32_e32 v1, v1, v7, vcc
; %bb.1872:
	s_or_b64 exec, exec, s[6:7]
	v_lshrrev_b32_e32 v3, 24, v6
	s_movk_i32 s6, 0x80
	v_and_or_b32 v1, v3, s6, v1
	global_store_byte v[4:5], v1, off
.LBB16_1873:
	s_mov_b64 s[6:7], 0
	s_mov_b64 s[10:11], -1
.LBB16_1874:
	s_andn2_b64 vcc, exec, s[6:7]
	s_mov_b64 s[6:7], 0
	s_cbranch_vccnz .LBB16_1881
; %bb.1875:
	v_cmp_gt_i16_e64 s[6:7], s16, 14
	s_mov_b64 s[12:13], -1
	s_and_b64 vcc, exec, s[6:7]
	s_cbranch_vccz .LBB16_1879
; %bb.1876:
	v_cmp_eq_u16_e64 s[6:7], s16, 15
	s_mov_b64 s[0:1], -1
	s_and_b64 vcc, exec, s[6:7]
	s_cbranch_vccz .LBB16_1878
; %bb.1877:
	v_bfe_u32 v1, v6, 16, 1
	s_movk_i32 s0, 0x7fff
	v_add3_u32 v1, v6, v1, s0
	v_lshrrev_b32_e32 v1, 16, v1
	v_mov_b32_e32 v3, 0x7fc0
	v_cmp_o_f32_e32 vcc, v6, v6
	v_cndmask_b32_e32 v1, v3, v1, vcc
	global_store_short v[4:5], v1, off
	s_mov_b64 s[0:1], 0
	s_mov_b64 s[10:11], -1
.LBB16_1878:
	s_mov_b64 s[12:13], 0
.LBB16_1879:
	s_mov_b64 s[6:7], 0
	s_and_b64 vcc, exec, s[12:13]
	s_cbranch_vccz .LBB16_1881
; %bb.1880:
	v_cmp_ne_u16_e64 s[0:1], s16, 11
	s_mov_b64 s[6:7], -1
.LBB16_1881:
	s_and_b64 vcc, exec, s[0:1]
	s_cbranch_vccnz .LBB16_1937
; %bb.1882:
	s_andn2_b64 vcc, exec, s[6:7]
	s_cbranch_vccnz .LBB16_1884
.LBB16_1883:
	v_cmp_neq_f32_e32 vcc, 0, v6
	v_cndmask_b32_e64 v1, 0, 1, vcc
	s_mov_b64 s[10:11], -1
	global_store_byte v[4:5], v1, off
.LBB16_1884:
	s_mov_b64 s[0:1], 0
.LBB16_1885:
	s_and_b64 vcc, exec, s[0:1]
	s_cbranch_vccz .LBB16_1924
; %bb.1886:
	v_cmp_lt_i16_e64 s[6:7], s16, 5
	s_mov_b64 s[0:1], -1
	s_and_b64 vcc, exec, s[6:7]
	s_cbranch_vccnz .LBB16_1907
; %bb.1887:
	v_cmp_lt_i16_e64 s[6:7], s16, 8
	s_and_b64 vcc, exec, s[6:7]
	s_cbranch_vccnz .LBB16_1897
; %bb.1888:
	v_cmp_lt_i16_e64 s[6:7], s16, 9
	s_and_b64 vcc, exec, s[6:7]
	s_cbranch_vccnz .LBB16_1894
; %bb.1889:
	v_cmp_gt_i16_e64 s[6:7], s16, 9
	s_and_b64 vcc, exec, s[6:7]
	s_cbranch_vccz .LBB16_1891
; %bb.1890:
	v_mov_b32_e32 v18, 0
	v_cvt_f64_f32_e32 v[16:17], v6
	v_mov_b32_e32 v19, v18
	global_store_dwordx4 v[4:5], v[16:19], off
	s_mov_b64 s[0:1], 0
.LBB16_1891:
	s_andn2_b64 vcc, exec, s[0:1]
	s_cbranch_vccnz .LBB16_1893
; %bb.1892:
	v_mov_b32_e32 v7, 0
	global_store_dwordx2 v[4:5], v[6:7], off
.LBB16_1893:
	s_mov_b64 s[0:1], 0
.LBB16_1894:
	s_andn2_b64 vcc, exec, s[0:1]
	s_cbranch_vccnz .LBB16_1896
; %bb.1895:
	v_cvt_f16_f32_e32 v1, v6
	global_store_dword v[4:5], v1, off
.LBB16_1896:
	s_mov_b64 s[0:1], 0
.LBB16_1897:
	s_andn2_b64 vcc, exec, s[0:1]
	s_cbranch_vccnz .LBB16_1906
; %bb.1898:
	v_cmp_lt_i16_e64 s[6:7], s16, 6
	s_mov_b64 s[0:1], -1
	s_and_b64 vcc, exec, s[6:7]
	s_cbranch_vccnz .LBB16_1904
; %bb.1899:
	v_cmp_gt_i16_e64 s[6:7], s16, 6
	s_and_b64 vcc, exec, s[6:7]
	s_cbranch_vccz .LBB16_1901
; %bb.1900:
	v_cvt_f64_f32_e32 v[8:9], v6
	global_store_dwordx2 v[4:5], v[8:9], off
	s_mov_b64 s[0:1], 0
.LBB16_1901:
	s_andn2_b64 vcc, exec, s[0:1]
	s_cbranch_vccnz .LBB16_1903
; %bb.1902:
	global_store_dword v[4:5], v6, off
.LBB16_1903:
	s_mov_b64 s[0:1], 0
.LBB16_1904:
	s_andn2_b64 vcc, exec, s[0:1]
	s_cbranch_vccnz .LBB16_1906
; %bb.1905:
	v_cvt_f16_f32_e32 v1, v6
	global_store_short v[4:5], v1, off
.LBB16_1906:
	s_mov_b64 s[0:1], 0
.LBB16_1907:
	s_andn2_b64 vcc, exec, s[0:1]
	s_cbranch_vccnz .LBB16_1923
; %bb.1908:
	v_cmp_lt_i16_e64 s[6:7], s16, 2
	s_mov_b64 s[0:1], -1
	s_and_b64 vcc, exec, s[6:7]
	s_cbranch_vccnz .LBB16_1918
; %bb.1909:
	v_cmp_lt_i16_e64 s[6:7], s16, 3
	s_and_b64 vcc, exec, s[6:7]
	s_cbranch_vccnz .LBB16_1915
; %bb.1910:
	v_cmp_gt_i16_e64 s[6:7], s16, 3
	s_and_b64 vcc, exec, s[6:7]
	s_cbranch_vccz .LBB16_1912
; %bb.1911:
	v_trunc_f32_e32 v1, v6
	s_mov_b32 s0, 0x2f800000
	v_mul_f32_e64 v3, |v1|, s0
	v_floor_f32_e32 v3, v3
	s_mov_b32 s0, 0xcf800000
	v_cvt_u32_f32_e32 v7, v3
	v_fma_f32 v3, v3, s0, |v1|
	v_cvt_u32_f32_e32 v3, v3
	v_ashrrev_i32_e32 v1, 31, v1
	v_xor_b32_e32 v7, v7, v1
	s_mov_b64 s[0:1], 0
	v_xor_b32_e32 v3, v3, v1
	v_sub_co_u32_e32 v8, vcc, v3, v1
	v_subb_co_u32_e32 v9, vcc, v7, v1, vcc
	global_store_dwordx2 v[4:5], v[8:9], off
.LBB16_1912:
	s_andn2_b64 vcc, exec, s[0:1]
	s_cbranch_vccnz .LBB16_1914
; %bb.1913:
	v_cvt_i32_f32_e32 v1, v6
	global_store_dword v[4:5], v1, off
.LBB16_1914:
	s_mov_b64 s[0:1], 0
.LBB16_1915:
	s_andn2_b64 vcc, exec, s[0:1]
	s_cbranch_vccnz .LBB16_1917
; %bb.1916:
	v_cvt_i32_f32_e32 v1, v6
	global_store_short v[4:5], v1, off
.LBB16_1917:
	s_mov_b64 s[0:1], 0
.LBB16_1918:
	s_andn2_b64 vcc, exec, s[0:1]
	s_cbranch_vccnz .LBB16_1923
; %bb.1919:
	v_cmp_gt_i16_e64 s[6:7], s16, 0
	s_mov_b64 s[0:1], -1
	s_and_b64 vcc, exec, s[6:7]
	s_cbranch_vccz .LBB16_1921
; %bb.1920:
	v_cvt_i32_f32_e32 v1, v6
	s_mov_b64 s[0:1], 0
	global_store_byte v[4:5], v1, off
.LBB16_1921:
	s_andn2_b64 vcc, exec, s[0:1]
	s_cbranch_vccnz .LBB16_1923
; %bb.1922:
	v_trunc_f32_e32 v1, v6
	s_mov_b32 s0, 0x2f800000
	v_mul_f32_e64 v3, |v1|, s0
	v_floor_f32_e32 v3, v3
	s_mov_b32 s0, 0xcf800000
	v_fma_f32 v3, v3, s0, |v1|
	v_cvt_u32_f32_e32 v3, v3
	v_ashrrev_i32_e32 v1, 31, v1
	v_xor_b32_e32 v3, v3, v1
	v_sub_u32_e32 v1, v3, v1
	global_store_byte v[4:5], v1, off
.LBB16_1923:
	s_mov_b64 s[10:11], -1
.LBB16_1924:
	s_andn2_b64 vcc, exec, s[10:11]
	s_cbranch_vccnz .LBB16_2060
; %bb.1925:
	v_mul_f32_e32 v1, v12, v11
	v_cmp_eq_f32_e32 vcc, 1.0, v11
	v_cndmask_b32_e32 v4, v1, v12, vcc
	v_mov_b32_e32 v1, s9
	v_add_co_u32_e32 v2, vcc, s8, v2
	v_addc_co_u32_e32 v3, vcc, 0, v1, vcc
	s_and_b64 vcc, exec, s[4:5]
	s_cbranch_vccnz .LBB16_1932
; %bb.1926:
	v_cmp_gt_i16_e64 s[0:1], s16, 25
	s_mov_b64 s[12:13], -1
	s_mov_b64 s[6:7], 0
	s_and_b64 vcc, exec, s[0:1]
	s_mov_b64 s[10:11], 0
	s_mov_b64 s[0:1], 0
	s_cbranch_vccz .LBB16_1968
; %bb.1927:
	v_cmp_gt_i16_e64 s[0:1], s16, 28
	s_and_b64 vcc, exec, s[0:1]
	s_cbranch_vccz .LBB16_1933
; %bb.1928:
	v_cmp_gt_i16_e64 s[0:1], s16, 43
	s_and_b64 vcc, exec, s[0:1]
	;; [unrolled: 4-line block ×3, first 2 shown]
	s_cbranch_vccz .LBB16_1940
; %bb.1930:
	v_cmp_eq_u16_e64 s[10:11], s16, 46
	s_mov_b64 s[0:1], -1
	s_mov_b64 s[12:13], 0
	s_and_b64 vcc, exec, s[10:11]
	s_mov_b64 s[10:11], 0
	s_cbranch_vccz .LBB16_1941
; %bb.1931:
	v_bfe_u32 v1, v4, 16, 1
	s_movk_i32 s0, 0x7fff
	v_add3_u32 v1, v4, v1, s0
	v_lshrrev_b32_e32 v1, 16, v1
	v_mov_b32_e32 v5, 0x7fc0
	v_cmp_o_f32_e32 vcc, v4, v4
	v_cndmask_b32_e32 v1, v5, v1, vcc
	global_store_dword v[2:3], v1, off
	s_mov_b64 s[0:1], 0
	s_mov_b64 s[10:11], -1
	s_branch .LBB16_1941
.LBB16_1932:
	s_mov_b64 s[0:1], -1
	s_mov_b64 s[10:11], 0
	s_branch .LBB16_2012
.LBB16_1933:
	s_mov_b64 s[0:1], 0
	s_branch .LBB16_1951
.LBB16_1934:
	s_or_saveexec_b64 s[14:15], s[14:15]
                                        ; implicit-def: $sgpr17
	s_xor_b64 exec, exec, s[14:15]
	s_cbranch_execz .LBB16_1835
.LBB16_1935:
	s_mov_b32 s17, 0x46000000
	v_add_f32_e64 v1, |v6|, s17
	v_and_b32_e32 v1, 0xff, v1
	v_cmp_ne_u32_e32 vcc, 0, v1
	s_andn2_b64 s[12:13], s[12:13], exec
	s_and_b64 s[18:19], vcc, exec
	s_mov_b32 s17, 0
	s_or_b64 s[12:13], s[12:13], s[18:19]
	s_or_b64 exec, exec, s[14:15]
	v_mov_b32_e32 v3, s17
	s_and_saveexec_b64 s[14:15], s[12:13]
	s_cbranch_execnz .LBB16_1836
	s_branch .LBB16_1837
.LBB16_1936:
	s_mov_b64 s[0:1], 0
	s_branch .LBB16_1947
.LBB16_1937:
	s_trap 2
	s_or_b64 s[2:3], s[2:3], exec
	s_cbranch_execz .LBB16_1883
	s_branch .LBB16_1884
.LBB16_1938:
	s_or_saveexec_b64 s[12:13], s[12:13]
                                        ; implicit-def: $sgpr14
	s_xor_b64 exec, exec, s[12:13]
	s_cbranch_execz .LBB16_1848
.LBB16_1939:
	s_mov_b32 s14, 0x42800000
	v_add_f32_e64 v1, |v6|, s14
	v_and_b32_e32 v1, 0xff, v1
	v_cmp_ne_u32_e32 vcc, 0, v1
	s_andn2_b64 s[10:11], s[10:11], exec
	s_and_b64 s[18:19], vcc, exec
	s_mov_b32 s14, 0
	s_or_b64 s[10:11], s[10:11], s[18:19]
	s_or_b64 exec, exec, s[12:13]
	v_mov_b32_e32 v3, s14
	s_and_saveexec_b64 s[12:13], s[10:11]
	s_cbranch_execnz .LBB16_1849
	s_branch .LBB16_1850
.LBB16_1940:
	s_mov_b64 s[0:1], 0
.LBB16_1941:
	s_and_b64 vcc, exec, s[12:13]
	s_cbranch_vccz .LBB16_1946
; %bb.1942:
	v_cmp_eq_u16_e64 s[12:13], s16, 44
	s_mov_b64 s[0:1], -1
	s_and_b64 vcc, exec, s[12:13]
	s_cbranch_vccz .LBB16_1946
; %bb.1943:
	v_bfe_u32 v1, v4, 23, 8
	s_movk_i32 s0, 0xff
	v_cmp_ne_u32_e32 vcc, s0, v1
	v_mov_b32_e32 v5, 0xff
	s_and_saveexec_b64 s[10:11], vcc
; %bb.1944:
	s_mov_b32 s0, 0x3fffff
	v_and_b32_e32 v6, 0x400000, v4
	v_and_or_b32 v1, v4, s0, v1
	v_cmp_ne_u32_e32 vcc, 0, v6
	v_cmp_ne_u32_e64 s[0:1], 0, v1
	s_and_b64 s[0:1], vcc, s[0:1]
	v_lshrrev_b32_e32 v5, 23, v4
	v_cndmask_b32_e64 v1, 0, 1, s[0:1]
	v_add_u32_e32 v5, v5, v1
; %bb.1945:
	s_or_b64 exec, exec, s[10:11]
	s_mov_b64 s[0:1], 0
	s_mov_b64 s[10:11], -1
	global_store_byte v[2:3], v5, off
.LBB16_1946:
	s_mov_b64 s[12:13], 0
.LBB16_1947:
	s_and_b64 vcc, exec, s[12:13]
	s_cbranch_vccz .LBB16_1950
; %bb.1948:
	v_cmp_eq_u16_e64 s[12:13], s16, 29
	s_mov_b64 s[0:1], -1
	s_and_b64 vcc, exec, s[12:13]
	s_cbranch_vccz .LBB16_1950
; %bb.1949:
	v_trunc_f32_e32 v1, v4
	v_mul_f32_e32 v5, 0x2f800000, v1
	v_floor_f32_e32 v5, v5
	v_fmac_f32_e32 v1, 0xcf800000, v5
	v_cvt_u32_f32_e32 v7, v5
	v_cvt_u32_f32_e32 v6, v1
	s_mov_b64 s[0:1], 0
	s_mov_b64 s[10:11], -1
	s_mov_b64 s[12:13], 0
	global_store_dwordx2 v[2:3], v[6:7], off
	s_branch .LBB16_1951
.LBB16_1950:
	s_mov_b64 s[12:13], 0
.LBB16_1951:
	s_and_b64 vcc, exec, s[12:13]
	s_cbranch_vccz .LBB16_1967
; %bb.1952:
	v_cmp_lt_i16_e64 s[12:13], s16, 27
	s_mov_b64 s[10:11], -1
	s_and_b64 vcc, exec, s[12:13]
	s_cbranch_vccnz .LBB16_1958
; %bb.1953:
	v_cvt_u32_f32_e32 v1, v4
	v_cmp_gt_i16_e64 s[12:13], s16, 27
	s_and_b64 vcc, exec, s[12:13]
	s_cbranch_vccz .LBB16_1955
; %bb.1954:
	s_mov_b64 s[10:11], 0
	global_store_dword v[2:3], v1, off
.LBB16_1955:
	s_andn2_b64 vcc, exec, s[10:11]
	s_cbranch_vccnz .LBB16_1957
; %bb.1956:
	global_store_short v[2:3], v1, off
.LBB16_1957:
	s_mov_b64 s[10:11], 0
.LBB16_1958:
	s_andn2_b64 vcc, exec, s[10:11]
	s_cbranch_vccnz .LBB16_1966
; %bb.1959:
	v_and_b32_e32 v1, 0x7fffffff, v4
	s_mov_b32 s10, 0x43800000
	v_cmp_gt_u32_e32 vcc, s10, v1
	v_mov_b32_e32 v5, 0x80
	s_and_saveexec_b64 s[10:11], vcc
	s_cbranch_execz .LBB16_1965
; %bb.1960:
	s_mov_b32 s12, 0x3bffffff
	v_cmp_lt_u32_e32 vcc, s12, v1
	s_mov_b64 s[12:13], 0
                                        ; implicit-def: $vgpr1
	s_and_saveexec_b64 s[14:15], vcc
	s_xor_b64 s[14:15], exec, s[14:15]
	s_cbranch_execz .LBB16_2107
; %bb.1961:
	v_bfe_u32 v1, v4, 20, 1
	s_mov_b32 s17, 0x487ffff
	v_add3_u32 v1, v4, v1, s17
	s_mov_b64 s[12:13], exec
	v_lshrrev_b32_e32 v1, 20, v1
	s_or_saveexec_b64 s[14:15], s[14:15]
                                        ; implicit-def: $sgpr17
	s_xor_b64 exec, exec, s[14:15]
	s_cbranch_execnz .LBB16_2108
.LBB16_1962:
	s_or_b64 exec, exec, s[14:15]
	v_mov_b32_e32 v5, s17
	s_and_saveexec_b64 s[14:15], s[12:13]
.LBB16_1963:
	v_lshrrev_b32_e32 v5, 24, v4
	s_movk_i32 s12, 0x80
	v_and_or_b32 v5, v5, s12, v1
.LBB16_1964:
	s_or_b64 exec, exec, s[14:15]
.LBB16_1965:
	s_or_b64 exec, exec, s[10:11]
	global_store_byte v[2:3], v5, off
.LBB16_1966:
	s_mov_b64 s[10:11], -1
.LBB16_1967:
	s_mov_b64 s[12:13], 0
.LBB16_1968:
	s_and_b64 vcc, exec, s[12:13]
	s_cbranch_vccz .LBB16_2008
; %bb.1969:
	v_cmp_gt_i16_e64 s[12:13], s16, 22
	s_mov_b64 s[6:7], -1
	s_and_b64 vcc, exec, s[12:13]
	s_cbranch_vccz .LBB16_2001
; %bb.1970:
	v_cmp_lt_i16_e64 s[10:11], s16, 24
	s_and_b64 vcc, exec, s[10:11]
	s_cbranch_vccnz .LBB16_1990
; %bb.1971:
	v_cmp_gt_i16_e64 s[10:11], s16, 24
	s_and_b64 vcc, exec, s[10:11]
	s_cbranch_vccz .LBB16_1979
; %bb.1972:
	v_and_b32_e32 v1, 0x7fffffff, v4
	s_mov_b32 s6, 0x47800000
	v_cmp_gt_u32_e32 vcc, s6, v1
	v_mov_b32_e32 v5, 0x80
	s_and_saveexec_b64 s[6:7], vcc
	s_cbranch_execz .LBB16_1978
; %bb.1973:
	s_mov_b32 s10, 0x37ffffff
	v_cmp_lt_u32_e32 vcc, s10, v1
	s_mov_b64 s[10:11], 0
                                        ; implicit-def: $vgpr1
	s_and_saveexec_b64 s[12:13], vcc
	s_xor_b64 s[12:13], exec, s[12:13]
	s_cbranch_execz .LBB16_2111
; %bb.1974:
	v_bfe_u32 v1, v4, 21, 1
	s_mov_b32 s14, 0x88fffff
	v_add3_u32 v1, v4, v1, s14
	s_mov_b64 s[10:11], exec
	v_lshrrev_b32_e32 v1, 21, v1
	s_or_saveexec_b64 s[12:13], s[12:13]
                                        ; implicit-def: $sgpr14
	s_xor_b64 exec, exec, s[12:13]
	s_cbranch_execnz .LBB16_2112
.LBB16_1975:
	s_or_b64 exec, exec, s[12:13]
	v_mov_b32_e32 v5, s14
	s_and_saveexec_b64 s[12:13], s[10:11]
.LBB16_1976:
	v_lshrrev_b32_e32 v5, 24, v4
	s_movk_i32 s10, 0x80
	v_and_or_b32 v5, v5, s10, v1
.LBB16_1977:
	s_or_b64 exec, exec, s[12:13]
.LBB16_1978:
	s_or_b64 exec, exec, s[6:7]
	s_mov_b64 s[6:7], 0
	global_store_byte v[2:3], v5, off
.LBB16_1979:
	s_and_b64 vcc, exec, s[6:7]
	s_cbranch_vccz .LBB16_1989
; %bb.1980:
	v_and_b32_e32 v5, 0x7fffffff, v4
	s_mov_b32 s6, 0x43f00000
	v_cmp_gt_u32_e32 vcc, s6, v5
                                        ; implicit-def: $vgpr1
	s_and_saveexec_b64 s[6:7], vcc
	s_xor_b64 s[6:7], exec, s[6:7]
	s_cbranch_execz .LBB16_1986
; %bb.1981:
	s_mov_b32 s10, 0x3c7fffff
	v_cmp_lt_u32_e32 vcc, s10, v5
                                        ; implicit-def: $vgpr1
	s_and_saveexec_b64 s[10:11], vcc
	s_xor_b64 s[10:11], exec, s[10:11]
; %bb.1982:
	v_bfe_u32 v1, v4, 20, 1
	s_mov_b32 s12, 0x407ffff
	v_add3_u32 v1, v4, v1, s12
	v_lshrrev_b32_e32 v5, 20, v1
	v_and_b32_e32 v1, 0xff00000, v1
	s_mov_b32 s12, 0x7f00000
	v_mov_b32_e32 v6, 0x7e
	v_cmp_ne_u32_e32 vcc, s12, v1
	v_cndmask_b32_e32 v1, v6, v5, vcc
; %bb.1983:
	s_andn2_saveexec_b64 s[10:11], s[10:11]
; %bb.1984:
	s_mov_b32 s12, 0x46800000
	v_add_f32_e64 v1, |v4|, s12
; %bb.1985:
	s_or_b64 exec, exec, s[10:11]
                                        ; implicit-def: $vgpr5
.LBB16_1986:
	s_andn2_saveexec_b64 s[6:7], s[6:7]
; %bb.1987:
	s_mov_b32 s10, 0x7f800000
	v_mov_b32_e32 v1, 0x7e
	v_mov_b32_e32 v6, 0x7f
	v_cmp_lt_u32_e32 vcc, s10, v5
	v_cndmask_b32_e32 v1, v1, v6, vcc
; %bb.1988:
	s_or_b64 exec, exec, s[6:7]
	v_lshrrev_b32_e32 v5, 24, v4
	s_movk_i32 s6, 0x80
	v_and_or_b32 v1, v5, s6, v1
	global_store_byte v[2:3], v1, off
.LBB16_1989:
	s_mov_b64 s[6:7], 0
.LBB16_1990:
	s_andn2_b64 vcc, exec, s[6:7]
	s_cbranch_vccnz .LBB16_2000
; %bb.1991:
	v_and_b32_e32 v5, 0x7fffffff, v4
	s_mov_b32 s6, 0x47800000
	v_cmp_gt_u32_e32 vcc, s6, v5
                                        ; implicit-def: $vgpr1
	s_and_saveexec_b64 s[6:7], vcc
	s_xor_b64 s[6:7], exec, s[6:7]
	s_cbranch_execz .LBB16_1997
; %bb.1992:
	s_mov_b32 s10, 0x387fffff
	v_cmp_lt_u32_e32 vcc, s10, v5
                                        ; implicit-def: $vgpr1
	s_and_saveexec_b64 s[10:11], vcc
	s_xor_b64 s[10:11], exec, s[10:11]
; %bb.1993:
	v_bfe_u32 v1, v4, 21, 1
	s_mov_b32 s12, 0x80fffff
	v_add3_u32 v1, v4, v1, s12
	v_lshrrev_b32_e32 v1, 21, v1
; %bb.1994:
	s_andn2_saveexec_b64 s[10:11], s[10:11]
; %bb.1995:
	s_mov_b32 s12, 0x43000000
	v_add_f32_e64 v1, |v4|, s12
; %bb.1996:
	s_or_b64 exec, exec, s[10:11]
                                        ; implicit-def: $vgpr5
.LBB16_1997:
	s_andn2_saveexec_b64 s[6:7], s[6:7]
; %bb.1998:
	s_mov_b32 s10, 0x7f800000
	v_mov_b32_e32 v1, 0x7c
	v_mov_b32_e32 v6, 0x7f
	v_cmp_lt_u32_e32 vcc, s10, v5
	v_cndmask_b32_e32 v1, v1, v6, vcc
; %bb.1999:
	s_or_b64 exec, exec, s[6:7]
	v_lshrrev_b32_e32 v5, 24, v4
	s_movk_i32 s6, 0x80
	v_and_or_b32 v1, v5, s6, v1
	global_store_byte v[2:3], v1, off
.LBB16_2000:
	s_mov_b64 s[6:7], 0
	s_mov_b64 s[10:11], -1
.LBB16_2001:
	s_andn2_b64 vcc, exec, s[6:7]
	s_mov_b64 s[6:7], 0
	s_cbranch_vccnz .LBB16_2008
; %bb.2002:
	v_cmp_gt_i16_e64 s[6:7], s16, 14
	s_mov_b64 s[12:13], -1
	s_and_b64 vcc, exec, s[6:7]
	s_cbranch_vccz .LBB16_2006
; %bb.2003:
	v_cmp_eq_u16_e64 s[6:7], s16, 15
	s_mov_b64 s[0:1], -1
	s_and_b64 vcc, exec, s[6:7]
	s_cbranch_vccz .LBB16_2005
; %bb.2004:
	v_bfe_u32 v1, v4, 16, 1
	s_movk_i32 s0, 0x7fff
	v_add3_u32 v1, v4, v1, s0
	v_lshrrev_b32_e32 v1, 16, v1
	v_mov_b32_e32 v5, 0x7fc0
	v_cmp_o_f32_e32 vcc, v4, v4
	v_cndmask_b32_e32 v1, v5, v1, vcc
	global_store_short v[2:3], v1, off
	s_mov_b64 s[0:1], 0
	s_mov_b64 s[10:11], -1
.LBB16_2005:
	s_mov_b64 s[12:13], 0
.LBB16_2006:
	s_mov_b64 s[6:7], 0
	s_and_b64 vcc, exec, s[12:13]
	s_cbranch_vccz .LBB16_2008
; %bb.2007:
	v_cmp_ne_u16_e64 s[0:1], s16, 11
	s_mov_b64 s[6:7], -1
.LBB16_2008:
	s_and_b64 vcc, exec, s[0:1]
	s_cbranch_vccnz .LBB16_2110
; %bb.2009:
	s_andn2_b64 vcc, exec, s[6:7]
	s_cbranch_vccnz .LBB16_2011
.LBB16_2010:
	v_cmp_neq_f32_e32 vcc, 0, v4
	v_cndmask_b32_e64 v1, 0, 1, vcc
	s_mov_b64 s[10:11], -1
	global_store_byte v[2:3], v1, off
.LBB16_2011:
	s_mov_b64 s[0:1], 0
.LBB16_2012:
	s_and_b64 vcc, exec, s[0:1]
	s_cbranch_vccz .LBB16_2051
; %bb.2013:
	v_cmp_lt_i16_e64 s[6:7], s16, 5
	s_mov_b64 s[0:1], -1
	s_and_b64 vcc, exec, s[6:7]
	s_cbranch_vccnz .LBB16_2034
; %bb.2014:
	v_cmp_lt_i16_e64 s[6:7], s16, 8
	s_and_b64 vcc, exec, s[6:7]
	s_cbranch_vccnz .LBB16_2024
; %bb.2015:
	v_cmp_lt_i16_e64 s[6:7], s16, 9
	s_and_b64 vcc, exec, s[6:7]
	s_cbranch_vccnz .LBB16_2021
; %bb.2016:
	v_cmp_gt_i16_e64 s[6:7], s16, 9
	s_and_b64 vcc, exec, s[6:7]
	s_cbranch_vccz .LBB16_2018
; %bb.2017:
	v_mov_b32_e32 v8, 0
	v_cvt_f64_f32_e32 v[6:7], v4
	v_mov_b32_e32 v9, v8
	global_store_dwordx4 v[2:3], v[6:9], off
	s_mov_b64 s[0:1], 0
.LBB16_2018:
	s_andn2_b64 vcc, exec, s[0:1]
	s_cbranch_vccnz .LBB16_2020
; %bb.2019:
	v_mov_b32_e32 v5, 0
	global_store_dwordx2 v[2:3], v[4:5], off
.LBB16_2020:
	s_mov_b64 s[0:1], 0
.LBB16_2021:
	s_andn2_b64 vcc, exec, s[0:1]
	s_cbranch_vccnz .LBB16_2023
; %bb.2022:
	v_cvt_f16_f32_e32 v1, v4
	global_store_dword v[2:3], v1, off
.LBB16_2023:
	s_mov_b64 s[0:1], 0
.LBB16_2024:
	s_andn2_b64 vcc, exec, s[0:1]
	s_cbranch_vccnz .LBB16_2033
; %bb.2025:
	v_cmp_lt_i16_e64 s[6:7], s16, 6
	s_mov_b64 s[0:1], -1
	s_and_b64 vcc, exec, s[6:7]
	s_cbranch_vccnz .LBB16_2031
; %bb.2026:
	v_cmp_gt_i16_e64 s[6:7], s16, 6
	s_and_b64 vcc, exec, s[6:7]
	s_cbranch_vccz .LBB16_2028
; %bb.2027:
	v_cvt_f64_f32_e32 v[6:7], v4
	global_store_dwordx2 v[2:3], v[6:7], off
	s_mov_b64 s[0:1], 0
.LBB16_2028:
	s_andn2_b64 vcc, exec, s[0:1]
	s_cbranch_vccnz .LBB16_2030
; %bb.2029:
	global_store_dword v[2:3], v4, off
.LBB16_2030:
	s_mov_b64 s[0:1], 0
.LBB16_2031:
	s_andn2_b64 vcc, exec, s[0:1]
	s_cbranch_vccnz .LBB16_2033
; %bb.2032:
	v_cvt_f16_f32_e32 v1, v4
	global_store_short v[2:3], v1, off
.LBB16_2033:
	s_mov_b64 s[0:1], 0
.LBB16_2034:
	s_andn2_b64 vcc, exec, s[0:1]
	s_cbranch_vccnz .LBB16_2050
; %bb.2035:
	v_cmp_lt_i16_e64 s[6:7], s16, 2
	s_mov_b64 s[0:1], -1
	s_and_b64 vcc, exec, s[6:7]
	s_cbranch_vccnz .LBB16_2045
; %bb.2036:
	v_cmp_lt_i16_e64 s[6:7], s16, 3
	s_and_b64 vcc, exec, s[6:7]
	s_cbranch_vccnz .LBB16_2042
; %bb.2037:
	v_cmp_gt_i16_e64 s[6:7], s16, 3
	s_and_b64 vcc, exec, s[6:7]
	s_cbranch_vccz .LBB16_2039
; %bb.2038:
	v_trunc_f32_e32 v1, v4
	s_mov_b32 s0, 0x2f800000
	v_mul_f32_e64 v5, |v1|, s0
	v_floor_f32_e32 v5, v5
	s_mov_b32 s0, 0xcf800000
	v_cvt_u32_f32_e32 v6, v5
	v_fma_f32 v5, v5, s0, |v1|
	v_cvt_u32_f32_e32 v5, v5
	v_ashrrev_i32_e32 v1, 31, v1
	v_xor_b32_e32 v7, v6, v1
	s_mov_b64 s[0:1], 0
	v_xor_b32_e32 v5, v5, v1
	v_sub_co_u32_e32 v6, vcc, v5, v1
	v_subb_co_u32_e32 v7, vcc, v7, v1, vcc
	global_store_dwordx2 v[2:3], v[6:7], off
.LBB16_2039:
	s_andn2_b64 vcc, exec, s[0:1]
	s_cbranch_vccnz .LBB16_2041
; %bb.2040:
	v_cvt_i32_f32_e32 v1, v4
	global_store_dword v[2:3], v1, off
.LBB16_2041:
	s_mov_b64 s[0:1], 0
.LBB16_2042:
	s_andn2_b64 vcc, exec, s[0:1]
	s_cbranch_vccnz .LBB16_2044
; %bb.2043:
	v_cvt_i32_f32_e32 v1, v4
	global_store_short v[2:3], v1, off
.LBB16_2044:
	s_mov_b64 s[0:1], 0
.LBB16_2045:
	s_andn2_b64 vcc, exec, s[0:1]
	s_cbranch_vccnz .LBB16_2050
; %bb.2046:
	v_cmp_gt_i16_e64 s[6:7], s16, 0
	s_mov_b64 s[0:1], -1
	s_and_b64 vcc, exec, s[6:7]
	s_cbranch_vccz .LBB16_2048
; %bb.2047:
	v_cvt_i32_f32_e32 v1, v4
	s_mov_b64 s[0:1], 0
	global_store_byte v[2:3], v1, off
.LBB16_2048:
	s_andn2_b64 vcc, exec, s[0:1]
	s_cbranch_vccnz .LBB16_2050
; %bb.2049:
	v_trunc_f32_e32 v1, v4
	s_mov_b32 s0, 0x2f800000
	v_mul_f32_e64 v4, |v1|, s0
	v_floor_f32_e32 v4, v4
	s_mov_b32 s0, 0xcf800000
	v_fma_f32 v4, v4, s0, |v1|
	v_cvt_u32_f32_e32 v4, v4
	v_ashrrev_i32_e32 v1, 31, v1
	v_xor_b32_e32 v4, v4, v1
	v_sub_u32_e32 v1, v4, v1
	global_store_byte v[2:3], v1, off
.LBB16_2050:
	s_mov_b64 s[10:11], -1
.LBB16_2051:
	s_andn2_b64 vcc, exec, s[10:11]
	s_cbranch_vccnz .LBB16_2060
; %bb.2052:
	s_waitcnt vmcnt(0)
	v_mul_f32_e32 v1, v10, v14
	v_cmp_eq_f32_e32 vcc, 1.0, v14
	v_cndmask_b32_e32 v2, v1, v10, vcc
	v_mov_b32_e32 v1, s9
	v_add_co_u32_e32 v0, vcc, s8, v0
	v_addc_co_u32_e32 v1, vcc, 0, v1, vcc
	s_and_b64 vcc, exec, s[4:5]
	s_cbranch_vccnz .LBB16_2105
; %bb.2053:
	v_cmp_gt_i16_e64 s[0:1], s16, 25
	s_mov_b64 s[6:7], -1
	s_mov_b64 s[4:5], 0
	s_and_b64 vcc, exec, s[0:1]
	s_mov_b64 s[0:1], 0
	s_cbranch_vccz .LBB16_2140
; %bb.2054:
	v_cmp_gt_i16_e64 s[0:1], s16, 28
	s_and_b64 vcc, exec, s[0:1]
	s_cbranch_vccz .LBB16_2106
; %bb.2055:
	v_cmp_gt_i16_e64 s[0:1], s16, 43
	s_and_b64 vcc, exec, s[0:1]
	;; [unrolled: 4-line block ×3, first 2 shown]
	s_cbranch_vccz .LBB16_2113
; %bb.2057:
	v_cmp_eq_u16_e64 s[6:7], s16, 46
	s_mov_b64 s[0:1], -1
	s_and_b64 vcc, exec, s[6:7]
	s_cbranch_vccz .LBB16_2059
; %bb.2058:
	v_bfe_u32 v3, v2, 16, 1
	s_movk_i32 s0, 0x7fff
	v_add3_u32 v3, v2, v3, s0
	v_lshrrev_b32_e32 v3, 16, v3
	v_mov_b32_e32 v4, 0x7fc0
	v_cmp_o_f32_e32 vcc, v2, v2
	v_cndmask_b32_e32 v3, v4, v3, vcc
	global_store_dword v[0:1], v3, off
	s_mov_b64 s[0:1], 0
.LBB16_2059:
	s_mov_b64 s[6:7], 0
	s_branch .LBB16_2114
.LBB16_2060:
	s_mov_b64 s[0:1], 0
	s_mov_b64 s[4:5], 0
                                        ; implicit-def: $vgpr0_vgpr1
                                        ; implicit-def: $sgpr16
                                        ; implicit-def: $vgpr2
.LBB16_2061:
	s_and_b64 s[6:7], s[4:5], exec
	s_andn2_b64 s[4:5], s[28:29], exec
	s_and_b64 s[2:3], s[2:3], exec
	s_and_b64 s[0:1], s[0:1], exec
	s_or_b64 s[28:29], s[4:5], s[2:3]
.LBB16_2062:
	s_or_b64 exec, exec, s[30:31]
	s_and_saveexec_b64 s[2:3], s[28:29]
	s_cbranch_execz .LBB16_2065
; %bb.2063:
	; divergent unreachable
	s_or_b64 exec, exec, s[2:3]
	s_and_saveexec_b64 s[2:3], s[6:7]
	s_xor_b64 s[2:3], exec, s[2:3]
	s_cbranch_execnz .LBB16_2066
.LBB16_2064:
	s_or_b64 exec, exec, s[2:3]
	s_and_saveexec_b64 s[2:3], s[0:1]
	s_cbranch_execnz .LBB16_2067
	s_branch .LBB16_2104
.LBB16_2065:
	s_or_b64 exec, exec, s[2:3]
	s_and_saveexec_b64 s[2:3], s[6:7]
	s_xor_b64 s[2:3], exec, s[2:3]
	s_cbranch_execz .LBB16_2064
.LBB16_2066:
	v_cmp_neq_f32_e32 vcc, 0, v2
	s_waitcnt vmcnt(0)
	v_cndmask_b32_e64 v3, 0, 1, vcc
	global_store_byte v[0:1], v3, off
	s_or_b64 exec, exec, s[2:3]
	s_and_saveexec_b64 s[2:3], s[0:1]
	s_cbranch_execz .LBB16_2104
.LBB16_2067:
	v_cmp_lt_i16_e64 s[2:3], s16, 5
	s_mov_b64 s[0:1], -1
	s_and_b64 vcc, exec, s[2:3]
	s_cbranch_vccnz .LBB16_2088
; %bb.2068:
	v_cmp_lt_i16_e64 s[2:3], s16, 8
	s_and_b64 vcc, exec, s[2:3]
	s_cbranch_vccnz .LBB16_2078
; %bb.2069:
	v_cmp_lt_i16_e64 s[2:3], s16, 9
	s_and_b64 vcc, exec, s[2:3]
	s_cbranch_vccnz .LBB16_2075
; %bb.2070:
	v_cmp_gt_i16_e64 s[2:3], s16, 9
	s_and_b64 vcc, exec, s[2:3]
	s_cbranch_vccz .LBB16_2072
; %bb.2071:
	v_mov_b32_e32 v6, 0
	s_waitcnt vmcnt(0)
	v_cvt_f64_f32_e32 v[4:5], v2
	v_mov_b32_e32 v7, v6
	global_store_dwordx4 v[0:1], v[4:7], off
	s_mov_b64 s[0:1], 0
.LBB16_2072:
	s_andn2_b64 vcc, exec, s[0:1]
	s_cbranch_vccnz .LBB16_2074
; %bb.2073:
	s_waitcnt vmcnt(0)
	v_mov_b32_e32 v3, 0
	global_store_dwordx2 v[0:1], v[2:3], off
.LBB16_2074:
	s_mov_b64 s[0:1], 0
.LBB16_2075:
	s_andn2_b64 vcc, exec, s[0:1]
	s_cbranch_vccnz .LBB16_2077
; %bb.2076:
	s_waitcnt vmcnt(0)
	v_cvt_f16_f32_e32 v3, v2
	global_store_dword v[0:1], v3, off
.LBB16_2077:
	s_mov_b64 s[0:1], 0
.LBB16_2078:
	s_andn2_b64 vcc, exec, s[0:1]
	s_cbranch_vccnz .LBB16_2087
; %bb.2079:
	v_cmp_lt_i16_e64 s[2:3], s16, 6
	s_mov_b64 s[0:1], -1
	s_and_b64 vcc, exec, s[2:3]
	s_cbranch_vccnz .LBB16_2085
; %bb.2080:
	v_cmp_gt_i16_e64 s[2:3], s16, 6
	s_and_b64 vcc, exec, s[2:3]
	s_cbranch_vccz .LBB16_2082
; %bb.2081:
	s_waitcnt vmcnt(0)
	v_cvt_f64_f32_e32 v[4:5], v2
	global_store_dwordx2 v[0:1], v[4:5], off
	s_mov_b64 s[0:1], 0
.LBB16_2082:
	s_andn2_b64 vcc, exec, s[0:1]
	s_cbranch_vccnz .LBB16_2084
; %bb.2083:
	s_waitcnt vmcnt(0)
	global_store_dword v[0:1], v2, off
.LBB16_2084:
	s_mov_b64 s[0:1], 0
.LBB16_2085:
	s_andn2_b64 vcc, exec, s[0:1]
	s_cbranch_vccnz .LBB16_2087
; %bb.2086:
	s_waitcnt vmcnt(0)
	v_cvt_f16_f32_e32 v3, v2
	global_store_short v[0:1], v3, off
.LBB16_2087:
	s_mov_b64 s[0:1], 0
.LBB16_2088:
	s_andn2_b64 vcc, exec, s[0:1]
	s_cbranch_vccnz .LBB16_2104
; %bb.2089:
	v_cmp_lt_i16_e64 s[2:3], s16, 2
	s_mov_b64 s[0:1], -1
	s_and_b64 vcc, exec, s[2:3]
	s_cbranch_vccnz .LBB16_2099
; %bb.2090:
	v_cmp_lt_i16_e64 s[2:3], s16, 3
	s_and_b64 vcc, exec, s[2:3]
	s_cbranch_vccnz .LBB16_2096
; %bb.2091:
	v_cmp_gt_i16_e64 s[2:3], s16, 3
	s_and_b64 vcc, exec, s[2:3]
	s_cbranch_vccz .LBB16_2093
; %bb.2092:
	s_waitcnt vmcnt(0)
	v_trunc_f32_e32 v3, v2
	s_mov_b32 s0, 0x2f800000
	v_mul_f32_e64 v4, |v3|, s0
	v_floor_f32_e32 v4, v4
	s_mov_b32 s0, 0xcf800000
	v_cvt_u32_f32_e32 v5, v4
	v_fma_f32 v4, v4, s0, |v3|
	v_cvt_u32_f32_e32 v4, v4
	v_ashrrev_i32_e32 v3, 31, v3
	v_xor_b32_e32 v5, v5, v3
	s_mov_b64 s[0:1], 0
	v_xor_b32_e32 v4, v4, v3
	v_sub_co_u32_e32 v4, vcc, v4, v3
	v_subb_co_u32_e32 v5, vcc, v5, v3, vcc
	global_store_dwordx2 v[0:1], v[4:5], off
.LBB16_2093:
	s_andn2_b64 vcc, exec, s[0:1]
	s_cbranch_vccnz .LBB16_2095
; %bb.2094:
	s_waitcnt vmcnt(0)
	v_cvt_i32_f32_e32 v3, v2
	global_store_dword v[0:1], v3, off
.LBB16_2095:
	s_mov_b64 s[0:1], 0
.LBB16_2096:
	s_andn2_b64 vcc, exec, s[0:1]
	s_cbranch_vccnz .LBB16_2098
; %bb.2097:
	s_waitcnt vmcnt(0)
	v_cvt_i32_f32_e32 v3, v2
	global_store_short v[0:1], v3, off
.LBB16_2098:
	s_mov_b64 s[0:1], 0
.LBB16_2099:
	s_andn2_b64 vcc, exec, s[0:1]
	s_cbranch_vccnz .LBB16_2104
; %bb.2100:
	v_cmp_gt_i16_e64 s[2:3], s16, 0
	s_mov_b64 s[0:1], -1
	s_and_b64 vcc, exec, s[2:3]
	s_cbranch_vccz .LBB16_2102
; %bb.2101:
	s_waitcnt vmcnt(0)
	v_cvt_i32_f32_e32 v3, v2
	s_mov_b64 s[0:1], 0
	global_store_byte v[0:1], v3, off
.LBB16_2102:
	s_andn2_b64 vcc, exec, s[0:1]
	s_cbranch_vccnz .LBB16_2104
; %bb.2103:
	v_trunc_f32_e32 v2, v2
	s_mov_b32 s0, 0x2f800000
	s_waitcnt vmcnt(0)
	v_mul_f32_e64 v3, |v2|, s0
	v_floor_f32_e32 v3, v3
	s_mov_b32 s0, 0xcf800000
	v_fma_f32 v3, v3, s0, |v2|
	v_cvt_u32_f32_e32 v3, v3
	v_ashrrev_i32_e32 v2, 31, v2
	v_xor_b32_e32 v3, v3, v2
	v_sub_u32_e32 v2, v3, v2
	global_store_byte v[0:1], v2, off
	s_endpgm
.LBB16_2104:
	s_endpgm
.LBB16_2105:
	s_mov_b64 s[4:5], 0
	s_mov_b64 s[0:1], -1
	s_branch .LBB16_2061
.LBB16_2106:
	s_mov_b64 s[0:1], 0
	s_branch .LBB16_2124
.LBB16_2107:
	s_or_saveexec_b64 s[14:15], s[14:15]
                                        ; implicit-def: $sgpr17
	s_xor_b64 exec, exec, s[14:15]
	s_cbranch_execz .LBB16_1962
.LBB16_2108:
	s_mov_b32 s17, 0x46000000
	v_add_f32_e64 v1, |v4|, s17
	v_and_b32_e32 v1, 0xff, v1
	v_cmp_ne_u32_e32 vcc, 0, v1
	s_andn2_b64 s[12:13], s[12:13], exec
	s_and_b64 s[18:19], vcc, exec
	s_mov_b32 s17, 0
	s_or_b64 s[12:13], s[12:13], s[18:19]
	s_or_b64 exec, exec, s[14:15]
	v_mov_b32_e32 v5, s17
	s_and_saveexec_b64 s[14:15], s[12:13]
	s_cbranch_execnz .LBB16_1963
	s_branch .LBB16_1964
.LBB16_2109:
	s_mov_b64 s[0:1], 0
	s_branch .LBB16_2120
.LBB16_2110:
	s_trap 2
	s_or_b64 s[2:3], s[2:3], exec
	s_cbranch_execz .LBB16_2010
	s_branch .LBB16_2011
.LBB16_2111:
	s_or_saveexec_b64 s[12:13], s[12:13]
                                        ; implicit-def: $sgpr14
	s_xor_b64 exec, exec, s[12:13]
	s_cbranch_execz .LBB16_1975
.LBB16_2112:
	s_mov_b32 s14, 0x42800000
	v_add_f32_e64 v1, |v4|, s14
	v_and_b32_e32 v1, 0xff, v1
	v_cmp_ne_u32_e32 vcc, 0, v1
	s_andn2_b64 s[10:11], s[10:11], exec
	s_and_b64 s[18:19], vcc, exec
	s_mov_b32 s14, 0
	s_or_b64 s[10:11], s[10:11], s[18:19]
	s_or_b64 exec, exec, s[12:13]
	v_mov_b32_e32 v5, s14
	s_and_saveexec_b64 s[12:13], s[10:11]
	s_cbranch_execnz .LBB16_1976
	s_branch .LBB16_1977
.LBB16_2113:
	s_mov_b64 s[0:1], 0
.LBB16_2114:
	s_and_b64 vcc, exec, s[6:7]
	s_cbranch_vccz .LBB16_2119
; %bb.2115:
	v_cmp_eq_u16_e64 s[6:7], s16, 44
	s_mov_b64 s[0:1], -1
	s_and_b64 vcc, exec, s[6:7]
	s_cbranch_vccz .LBB16_2119
; %bb.2116:
	v_bfe_u32 v3, v2, 23, 8
	s_movk_i32 s0, 0xff
	v_cmp_ne_u32_e32 vcc, s0, v3
	v_mov_b32_e32 v4, 0xff
	s_and_saveexec_b64 s[6:7], vcc
; %bb.2117:
	s_mov_b32 s0, 0x3fffff
	v_and_b32_e32 v5, 0x400000, v2
	v_and_or_b32 v3, v2, s0, v3
	v_cmp_ne_u32_e32 vcc, 0, v5
	v_cmp_ne_u32_e64 s[0:1], 0, v3
	s_and_b64 s[0:1], vcc, s[0:1]
	v_lshrrev_b32_e32 v4, 23, v2
	v_cndmask_b32_e64 v3, 0, 1, s[0:1]
	v_add_u32_e32 v4, v4, v3
; %bb.2118:
	s_or_b64 exec, exec, s[6:7]
	s_mov_b64 s[0:1], 0
	global_store_byte v[0:1], v4, off
.LBB16_2119:
	s_mov_b64 s[6:7], 0
.LBB16_2120:
	s_and_b64 vcc, exec, s[6:7]
	s_cbranch_vccz .LBB16_2123
; %bb.2121:
	v_cmp_eq_u16_e64 s[6:7], s16, 29
	s_mov_b64 s[0:1], -1
	s_and_b64 vcc, exec, s[6:7]
	s_cbranch_vccz .LBB16_2123
; %bb.2122:
	v_trunc_f32_e32 v3, v2
	v_mul_f32_e32 v4, 0x2f800000, v3
	v_floor_f32_e32 v4, v4
	v_fmac_f32_e32 v3, 0xcf800000, v4
	v_cvt_u32_f32_e32 v5, v4
	v_cvt_u32_f32_e32 v4, v3
	s_mov_b64 s[0:1], 0
	global_store_dwordx2 v[0:1], v[4:5], off
.LBB16_2123:
	s_mov_b64 s[6:7], 0
.LBB16_2124:
	s_and_b64 vcc, exec, s[6:7]
	s_cbranch_vccz .LBB16_2139
; %bb.2125:
	v_cmp_lt_i16_e64 s[8:9], s16, 27
	s_mov_b64 s[6:7], -1
	s_and_b64 vcc, exec, s[8:9]
	s_cbranch_vccnz .LBB16_2131
; %bb.2126:
	v_cmp_gt_i16_e64 s[8:9], s16, 27
	s_and_b64 vcc, exec, s[8:9]
	s_cbranch_vccz .LBB16_2128
; %bb.2127:
	v_cvt_u32_f32_e32 v3, v2
	s_mov_b64 s[6:7], 0
	global_store_dword v[0:1], v3, off
.LBB16_2128:
	s_andn2_b64 vcc, exec, s[6:7]
	s_cbranch_vccnz .LBB16_2130
; %bb.2129:
	v_cvt_u32_f32_e32 v3, v2
	global_store_short v[0:1], v3, off
.LBB16_2130:
	s_mov_b64 s[6:7], 0
.LBB16_2131:
	s_andn2_b64 vcc, exec, s[6:7]
	s_cbranch_vccnz .LBB16_2139
; %bb.2132:
	v_and_b32_e32 v3, 0x7fffffff, v2
	s_mov_b32 s6, 0x43800000
	v_cmp_gt_u32_e32 vcc, s6, v3
	v_mov_b32_e32 v4, 0x80
	s_and_saveexec_b64 s[6:7], vcc
	s_cbranch_execz .LBB16_2138
; %bb.2133:
	s_mov_b32 s8, 0x3bffffff
	v_cmp_lt_u32_e32 vcc, s8, v3
	s_mov_b64 s[8:9], 0
                                        ; implicit-def: $vgpr3
	s_and_saveexec_b64 s[10:11], vcc
	s_xor_b64 s[10:11], exec, s[10:11]
	s_cbranch_execz .LBB16_2182
; %bb.2134:
	v_bfe_u32 v3, v2, 20, 1
	s_mov_b32 s12, 0x487ffff
	v_add3_u32 v3, v2, v3, s12
	s_mov_b64 s[8:9], exec
	v_lshrrev_b32_e32 v3, 20, v3
	s_or_saveexec_b64 s[10:11], s[10:11]
                                        ; implicit-def: $sgpr12
	s_xor_b64 exec, exec, s[10:11]
	s_cbranch_execnz .LBB16_2183
.LBB16_2135:
	s_or_b64 exec, exec, s[10:11]
	v_mov_b32_e32 v4, s12
	s_and_saveexec_b64 s[10:11], s[8:9]
.LBB16_2136:
	v_lshrrev_b32_e32 v4, 24, v2
	s_movk_i32 s8, 0x80
	v_and_or_b32 v4, v4, s8, v3
.LBB16_2137:
	s_or_b64 exec, exec, s[10:11]
.LBB16_2138:
	s_or_b64 exec, exec, s[6:7]
	global_store_byte v[0:1], v4, off
.LBB16_2139:
	s_mov_b64 s[6:7], 0
.LBB16_2140:
	s_and_b64 vcc, exec, s[6:7]
	s_cbranch_vccz .LBB16_2180
; %bb.2141:
	v_cmp_gt_i16_e64 s[6:7], s16, 22
	s_mov_b64 s[4:5], -1
	s_and_b64 vcc, exec, s[6:7]
	s_cbranch_vccz .LBB16_2173
; %bb.2142:
	v_cmp_lt_i16_e64 s[6:7], s16, 24
	s_and_b64 vcc, exec, s[6:7]
	s_cbranch_vccnz .LBB16_2162
; %bb.2143:
	v_cmp_gt_i16_e64 s[6:7], s16, 24
	s_and_b64 vcc, exec, s[6:7]
	s_cbranch_vccz .LBB16_2151
; %bb.2144:
	v_and_b32_e32 v3, 0x7fffffff, v2
	s_mov_b32 s4, 0x47800000
	v_cmp_gt_u32_e32 vcc, s4, v3
	v_mov_b32_e32 v4, 0x80
	s_and_saveexec_b64 s[4:5], vcc
	s_cbranch_execz .LBB16_2150
; %bb.2145:
	s_mov_b32 s6, 0x37ffffff
	v_cmp_lt_u32_e32 vcc, s6, v3
	s_mov_b64 s[6:7], 0
                                        ; implicit-def: $vgpr3
	s_and_saveexec_b64 s[8:9], vcc
	s_xor_b64 s[8:9], exec, s[8:9]
	s_cbranch_execz .LBB16_2185
; %bb.2146:
	v_bfe_u32 v3, v2, 21, 1
	s_mov_b32 s10, 0x88fffff
	v_add3_u32 v3, v2, v3, s10
	s_mov_b64 s[6:7], exec
	v_lshrrev_b32_e32 v3, 21, v3
	s_or_saveexec_b64 s[8:9], s[8:9]
                                        ; implicit-def: $sgpr10
	s_xor_b64 exec, exec, s[8:9]
	s_cbranch_execnz .LBB16_2186
.LBB16_2147:
	s_or_b64 exec, exec, s[8:9]
	v_mov_b32_e32 v4, s10
	s_and_saveexec_b64 s[8:9], s[6:7]
.LBB16_2148:
	v_lshrrev_b32_e32 v4, 24, v2
	s_movk_i32 s6, 0x80
	v_and_or_b32 v4, v4, s6, v3
.LBB16_2149:
	s_or_b64 exec, exec, s[8:9]
.LBB16_2150:
	s_or_b64 exec, exec, s[4:5]
	s_mov_b64 s[4:5], 0
	global_store_byte v[0:1], v4, off
.LBB16_2151:
	s_and_b64 vcc, exec, s[4:5]
	s_cbranch_vccz .LBB16_2161
; %bb.2152:
	v_and_b32_e32 v4, 0x7fffffff, v2
	s_mov_b32 s4, 0x43f00000
	v_cmp_gt_u32_e32 vcc, s4, v4
                                        ; implicit-def: $vgpr3
	s_and_saveexec_b64 s[4:5], vcc
	s_xor_b64 s[4:5], exec, s[4:5]
	s_cbranch_execz .LBB16_2158
; %bb.2153:
	s_mov_b32 s6, 0x3c7fffff
	v_cmp_lt_u32_e32 vcc, s6, v4
                                        ; implicit-def: $vgpr3
	s_and_saveexec_b64 s[6:7], vcc
	s_xor_b64 s[6:7], exec, s[6:7]
; %bb.2154:
	v_bfe_u32 v3, v2, 20, 1
	s_mov_b32 s8, 0x407ffff
	v_add3_u32 v3, v2, v3, s8
	v_lshrrev_b32_e32 v4, 20, v3
	v_and_b32_e32 v3, 0xff00000, v3
	s_mov_b32 s8, 0x7f00000
	v_mov_b32_e32 v5, 0x7e
	v_cmp_ne_u32_e32 vcc, s8, v3
	v_cndmask_b32_e32 v3, v5, v4, vcc
; %bb.2155:
	s_andn2_saveexec_b64 s[6:7], s[6:7]
; %bb.2156:
	s_mov_b32 s8, 0x46800000
	v_add_f32_e64 v3, |v2|, s8
; %bb.2157:
	s_or_b64 exec, exec, s[6:7]
                                        ; implicit-def: $vgpr4
.LBB16_2158:
	s_andn2_saveexec_b64 s[4:5], s[4:5]
; %bb.2159:
	s_mov_b32 s6, 0x7f800000
	v_mov_b32_e32 v3, 0x7e
	v_mov_b32_e32 v5, 0x7f
	v_cmp_lt_u32_e32 vcc, s6, v4
	v_cndmask_b32_e32 v3, v3, v5, vcc
; %bb.2160:
	s_or_b64 exec, exec, s[4:5]
	v_lshrrev_b32_e32 v4, 24, v2
	s_movk_i32 s4, 0x80
	v_and_or_b32 v3, v4, s4, v3
	global_store_byte v[0:1], v3, off
.LBB16_2161:
	s_mov_b64 s[4:5], 0
.LBB16_2162:
	s_andn2_b64 vcc, exec, s[4:5]
	s_cbranch_vccnz .LBB16_2172
; %bb.2163:
	v_and_b32_e32 v4, 0x7fffffff, v2
	s_mov_b32 s4, 0x47800000
	v_cmp_gt_u32_e32 vcc, s4, v4
                                        ; implicit-def: $vgpr3
	s_and_saveexec_b64 s[4:5], vcc
	s_xor_b64 s[4:5], exec, s[4:5]
	s_cbranch_execz .LBB16_2169
; %bb.2164:
	s_mov_b32 s6, 0x387fffff
	v_cmp_lt_u32_e32 vcc, s6, v4
                                        ; implicit-def: $vgpr3
	s_and_saveexec_b64 s[6:7], vcc
	s_xor_b64 s[6:7], exec, s[6:7]
; %bb.2165:
	v_bfe_u32 v3, v2, 21, 1
	s_mov_b32 s8, 0x80fffff
	v_add3_u32 v3, v2, v3, s8
	v_lshrrev_b32_e32 v3, 21, v3
; %bb.2166:
	s_andn2_saveexec_b64 s[6:7], s[6:7]
; %bb.2167:
	s_mov_b32 s8, 0x43000000
	v_add_f32_e64 v3, |v2|, s8
; %bb.2168:
	s_or_b64 exec, exec, s[6:7]
                                        ; implicit-def: $vgpr4
.LBB16_2169:
	s_andn2_saveexec_b64 s[4:5], s[4:5]
; %bb.2170:
	s_mov_b32 s6, 0x7f800000
	v_mov_b32_e32 v3, 0x7c
	v_mov_b32_e32 v5, 0x7f
	v_cmp_lt_u32_e32 vcc, s6, v4
	v_cndmask_b32_e32 v3, v3, v5, vcc
; %bb.2171:
	s_or_b64 exec, exec, s[4:5]
	v_lshrrev_b32_e32 v4, 24, v2
	s_movk_i32 s4, 0x80
	v_and_or_b32 v3, v4, s4, v3
	global_store_byte v[0:1], v3, off
.LBB16_2172:
	s_mov_b64 s[4:5], 0
.LBB16_2173:
	s_andn2_b64 vcc, exec, s[4:5]
	s_mov_b64 s[4:5], 0
	s_cbranch_vccnz .LBB16_2180
; %bb.2174:
	v_cmp_gt_i16_e64 s[4:5], s16, 14
	s_mov_b64 s[6:7], -1
	s_and_b64 vcc, exec, s[4:5]
	s_cbranch_vccz .LBB16_2178
; %bb.2175:
	v_cmp_eq_u16_e64 s[4:5], s16, 15
	s_mov_b64 s[0:1], -1
	s_and_b64 vcc, exec, s[4:5]
	s_cbranch_vccz .LBB16_2177
; %bb.2176:
	v_bfe_u32 v3, v2, 16, 1
	s_movk_i32 s0, 0x7fff
	v_add3_u32 v3, v2, v3, s0
	v_lshrrev_b32_e32 v3, 16, v3
	v_mov_b32_e32 v4, 0x7fc0
	v_cmp_o_f32_e32 vcc, v2, v2
	v_cndmask_b32_e32 v3, v4, v3, vcc
	global_store_short v[0:1], v3, off
	s_mov_b64 s[0:1], 0
.LBB16_2177:
	s_mov_b64 s[6:7], 0
.LBB16_2178:
	s_mov_b64 s[4:5], 0
	s_and_b64 vcc, exec, s[6:7]
	s_cbranch_vccz .LBB16_2180
; %bb.2179:
	v_cmp_ne_u16_e64 s[0:1], s16, 11
	s_mov_b64 s[4:5], -1
.LBB16_2180:
	s_and_b64 vcc, exec, s[0:1]
	s_cbranch_vccnz .LBB16_2184
.LBB16_2181:
	s_mov_b64 s[0:1], 0
	s_branch .LBB16_2061
.LBB16_2182:
	s_or_saveexec_b64 s[10:11], s[10:11]
                                        ; implicit-def: $sgpr12
	s_xor_b64 exec, exec, s[10:11]
	s_cbranch_execz .LBB16_2135
.LBB16_2183:
	s_mov_b32 s12, 0x46000000
	v_add_f32_e64 v3, |v2|, s12
	v_and_b32_e32 v3, 0xff, v3
	v_cmp_ne_u32_e32 vcc, 0, v3
	s_andn2_b64 s[8:9], s[8:9], exec
	s_and_b64 s[14:15], vcc, exec
	s_mov_b32 s12, 0
	s_or_b64 s[8:9], s[8:9], s[14:15]
	s_or_b64 exec, exec, s[10:11]
	v_mov_b32_e32 v4, s12
	s_and_saveexec_b64 s[10:11], s[8:9]
	s_cbranch_execnz .LBB16_2136
	s_branch .LBB16_2137
.LBB16_2184:
	s_mov_b64 s[4:5], 0
	s_or_b64 s[2:3], s[2:3], exec
	s_trap 2
	s_branch .LBB16_2181
.LBB16_2185:
	s_or_saveexec_b64 s[8:9], s[8:9]
                                        ; implicit-def: $sgpr10
	s_xor_b64 exec, exec, s[8:9]
	s_cbranch_execz .LBB16_2147
.LBB16_2186:
	s_mov_b32 s10, 0x42800000
	v_add_f32_e64 v3, |v2|, s10
	v_and_b32_e32 v3, 0xff, v3
	v_cmp_ne_u32_e32 vcc, 0, v3
	s_andn2_b64 s[6:7], s[6:7], exec
	s_and_b64 s[12:13], vcc, exec
	s_mov_b32 s10, 0
	s_or_b64 s[6:7], s[6:7], s[12:13]
	s_or_b64 exec, exec, s[8:9]
	v_mov_b32_e32 v4, s10
	s_and_saveexec_b64 s[8:9], s[6:7]
	s_cbranch_execnz .LBB16_2148
	s_branch .LBB16_2149
	.section	.rodata,"a",@progbits
	.p2align	6, 0x0
	.amdhsa_kernel _ZN2at6native32elementwise_kernel_manual_unrollILi128ELi4EZNS0_15gpu_kernel_implIZZZNS0_12_GLOBAL__N_139_amp_non_finite_check_and_unscale_cuda_ERNS_6TensorES5_RKS4_ENKUlvE_clEvENKUlvE0_clEvEUlfE_EEvRNS_18TensorIteratorBaseERKT_EUlibE0_EEviT1_
		.amdhsa_group_segment_fixed_size 0
		.amdhsa_private_segment_fixed_size 0
		.amdhsa_kernarg_size 376
		.amdhsa_user_sgpr_count 6
		.amdhsa_user_sgpr_private_segment_buffer 1
		.amdhsa_user_sgpr_dispatch_ptr 0
		.amdhsa_user_sgpr_queue_ptr 0
		.amdhsa_user_sgpr_kernarg_segment_ptr 1
		.amdhsa_user_sgpr_dispatch_id 0
		.amdhsa_user_sgpr_flat_scratch_init 0
		.amdhsa_user_sgpr_kernarg_preload_length 0
		.amdhsa_user_sgpr_kernarg_preload_offset 0
		.amdhsa_user_sgpr_private_segment_size 0
		.amdhsa_uses_dynamic_stack 0
		.amdhsa_system_sgpr_private_segment_wavefront_offset 0
		.amdhsa_system_sgpr_workgroup_id_x 1
		.amdhsa_system_sgpr_workgroup_id_y 0
		.amdhsa_system_sgpr_workgroup_id_z 0
		.amdhsa_system_sgpr_workgroup_info 0
		.amdhsa_system_vgpr_workitem_id 0
		.amdhsa_next_free_vgpr 20
		.amdhsa_next_free_sgpr 81
		.amdhsa_accum_offset 20
		.amdhsa_reserve_vcc 1
		.amdhsa_reserve_flat_scratch 0
		.amdhsa_float_round_mode_32 0
		.amdhsa_float_round_mode_16_64 0
		.amdhsa_float_denorm_mode_32 3
		.amdhsa_float_denorm_mode_16_64 3
		.amdhsa_dx10_clamp 1
		.amdhsa_ieee_mode 1
		.amdhsa_fp16_overflow 0
		.amdhsa_tg_split 0
		.amdhsa_exception_fp_ieee_invalid_op 0
		.amdhsa_exception_fp_denorm_src 0
		.amdhsa_exception_fp_ieee_div_zero 0
		.amdhsa_exception_fp_ieee_overflow 0
		.amdhsa_exception_fp_ieee_underflow 0
		.amdhsa_exception_fp_ieee_inexact 0
		.amdhsa_exception_int_div_zero 0
	.end_amdhsa_kernel
	.section	.text._ZN2at6native32elementwise_kernel_manual_unrollILi128ELi4EZNS0_15gpu_kernel_implIZZZNS0_12_GLOBAL__N_139_amp_non_finite_check_and_unscale_cuda_ERNS_6TensorES5_RKS4_ENKUlvE_clEvENKUlvE0_clEvEUlfE_EEvRNS_18TensorIteratorBaseERKT_EUlibE0_EEviT1_,"axG",@progbits,_ZN2at6native32elementwise_kernel_manual_unrollILi128ELi4EZNS0_15gpu_kernel_implIZZZNS0_12_GLOBAL__N_139_amp_non_finite_check_and_unscale_cuda_ERNS_6TensorES5_RKS4_ENKUlvE_clEvENKUlvE0_clEvEUlfE_EEvRNS_18TensorIteratorBaseERKT_EUlibE0_EEviT1_,comdat
.Lfunc_end16:
	.size	_ZN2at6native32elementwise_kernel_manual_unrollILi128ELi4EZNS0_15gpu_kernel_implIZZZNS0_12_GLOBAL__N_139_amp_non_finite_check_and_unscale_cuda_ERNS_6TensorES5_RKS4_ENKUlvE_clEvENKUlvE0_clEvEUlfE_EEvRNS_18TensorIteratorBaseERKT_EUlibE0_EEviT1_, .Lfunc_end16-_ZN2at6native32elementwise_kernel_manual_unrollILi128ELi4EZNS0_15gpu_kernel_implIZZZNS0_12_GLOBAL__N_139_amp_non_finite_check_and_unscale_cuda_ERNS_6TensorES5_RKS4_ENKUlvE_clEvENKUlvE0_clEvEUlfE_EEvRNS_18TensorIteratorBaseERKT_EUlibE0_EEviT1_
                                        ; -- End function
	.section	.AMDGPU.csdata,"",@progbits
; Kernel info:
; codeLenInByte = 41096
; NumSgprs: 85
; NumVgprs: 20
; NumAgprs: 0
; TotalNumVgprs: 20
; ScratchSize: 0
; MemoryBound: 1
; FloatMode: 240
; IeeeMode: 1
; LDSByteSize: 0 bytes/workgroup (compile time only)
; SGPRBlocks: 10
; VGPRBlocks: 2
; NumSGPRsForWavesPerEU: 85
; NumVGPRsForWavesPerEU: 20
; AccumOffset: 20
; Occupancy: 8
; WaveLimiterHint : 1
; COMPUTE_PGM_RSRC2:SCRATCH_EN: 0
; COMPUTE_PGM_RSRC2:USER_SGPR: 6
; COMPUTE_PGM_RSRC2:TRAP_HANDLER: 0
; COMPUTE_PGM_RSRC2:TGID_X_EN: 1
; COMPUTE_PGM_RSRC2:TGID_Y_EN: 0
; COMPUTE_PGM_RSRC2:TGID_Z_EN: 0
; COMPUTE_PGM_RSRC2:TIDIG_COMP_CNT: 0
; COMPUTE_PGM_RSRC3_GFX90A:ACCUM_OFFSET: 4
; COMPUTE_PGM_RSRC3_GFX90A:TG_SPLIT: 0
	.section	.text._ZN2at6native29vectorized_elementwise_kernelILi16EZZZNS0_12_GLOBAL__N_139_amp_non_finite_check_and_unscale_cuda_ERNS_6TensorES4_RKS3_ENKUlvE_clEvENKUlvE1_clEvEUlN3c104HalfEE_St5arrayIPcLm2EEEEviT0_T1_,"axG",@progbits,_ZN2at6native29vectorized_elementwise_kernelILi16EZZZNS0_12_GLOBAL__N_139_amp_non_finite_check_and_unscale_cuda_ERNS_6TensorES4_RKS3_ENKUlvE_clEvENKUlvE1_clEvEUlN3c104HalfEE_St5arrayIPcLm2EEEEviT0_T1_,comdat
	.globl	_ZN2at6native29vectorized_elementwise_kernelILi16EZZZNS0_12_GLOBAL__N_139_amp_non_finite_check_and_unscale_cuda_ERNS_6TensorES4_RKS3_ENKUlvE_clEvENKUlvE1_clEvEUlN3c104HalfEE_St5arrayIPcLm2EEEEviT0_T1_ ; -- Begin function _ZN2at6native29vectorized_elementwise_kernelILi16EZZZNS0_12_GLOBAL__N_139_amp_non_finite_check_and_unscale_cuda_ERNS_6TensorES4_RKS3_ENKUlvE_clEvENKUlvE1_clEvEUlN3c104HalfEE_St5arrayIPcLm2EEEEviT0_T1_
	.p2align	8
	.type	_ZN2at6native29vectorized_elementwise_kernelILi16EZZZNS0_12_GLOBAL__N_139_amp_non_finite_check_and_unscale_cuda_ERNS_6TensorES4_RKS3_ENKUlvE_clEvENKUlvE1_clEvEUlN3c104HalfEE_St5arrayIPcLm2EEEEviT0_T1_,@function
_ZN2at6native29vectorized_elementwise_kernelILi16EZZZNS0_12_GLOBAL__N_139_amp_non_finite_check_and_unscale_cuda_ERNS_6TensorES4_RKS3_ENKUlvE_clEvENKUlvE1_clEvEUlN3c104HalfEE_St5arrayIPcLm2EEEEviT0_T1_: ; @_ZN2at6native29vectorized_elementwise_kernelILi16EZZZNS0_12_GLOBAL__N_139_amp_non_finite_check_and_unscale_cuda_ERNS_6TensorES4_RKS3_ENKUlvE_clEvENKUlvE1_clEvEUlN3c104HalfEE_St5arrayIPcLm2EEEEviT0_T1_
; %bb.0:
	s_load_dword s0, s[4:5], 0x0
	s_load_dwordx8 s[8:15], s[4:5], 0x8
	s_lshl_b32 s2, s6, 11
	s_waitcnt lgkmcnt(0)
	s_sub_i32 s6, s0, s2
	s_cmpk_gt_i32 s6, 0x7ff
	s_mov_b64 s[0:1], -1
	s_cbranch_scc0 .LBB17_18
; %bb.1:
	s_ashr_i32 s3, s2, 31
	s_lshl_b64 s[0:1], s[2:3], 1
	s_add_u32 s4, s14, s0
	s_addc_u32 s5, s15, s1
	v_lshlrev_b32_e32 v1, 4, v0
	global_load_dwordx4 v[2:5], v1, s[4:5]
	s_mov_b32 s3, 0x7f800000
	v_mov_b32_e32 v7, 0
	s_waitcnt vmcnt(0)
	v_cvt_f32_f16_e32 v6, v2
	v_cmp_nlg_f32_e64 s[16:17], |v6|, s3
	s_and_saveexec_b64 s[4:5], s[16:17]
	s_cbranch_execz .LBB17_3
; %bb.2:
	v_mov_b32_e32 v8, 1.0
	global_store_dword v7, v8, s[8:9]
.LBB17_3:
	s_or_b64 exec, exec, s[4:5]
	global_load_dword v7, v7, s[10:11]
	v_lshrrev_b32_e32 v8, 16, v2
	v_cvt_f32_f16_e32 v9, v8
	v_cmp_nlg_f32_e64 s[16:17], |v9|, s3
	s_waitcnt vmcnt(0)
	v_mov_b32_e32 v10, v7
	s_and_saveexec_b64 s[4:5], s[16:17]
	s_cbranch_execz .LBB17_5
; %bb.4:
	v_mov_b32_e32 v10, 0
	v_mov_b32_e32 v11, 1.0
	global_store_dword v10, v11, s[8:9]
	global_load_dword v10, v10, s[10:11]
.LBB17_5:
	s_or_b64 exec, exec, s[4:5]
	v_cvt_f32_f16_e32 v11, v3
	s_waitcnt vmcnt(0)
	v_mov_b32_e32 v12, v10
	v_cmp_nlg_f32_e64 s[16:17], |v11|, s3
	s_and_saveexec_b64 s[4:5], s[16:17]
	s_cbranch_execz .LBB17_7
; %bb.6:
	v_mov_b32_e32 v12, 0
	v_mov_b32_e32 v13, 1.0
	global_store_dword v12, v13, s[8:9]
	global_load_dword v12, v12, s[10:11]
.LBB17_7:
	s_or_b64 exec, exec, s[4:5]
	v_lshrrev_b32_e32 v13, 16, v3
	v_cvt_f32_f16_e32 v14, v13
	s_waitcnt vmcnt(0)
	v_mov_b32_e32 v15, v12
	v_cmp_nlg_f32_e64 s[16:17], |v14|, s3
	s_and_saveexec_b64 s[4:5], s[16:17]
	s_cbranch_execz .LBB17_9
; %bb.8:
	v_mov_b32_e32 v15, 0
	v_mov_b32_e32 v16, 1.0
	global_store_dword v15, v16, s[8:9]
	global_load_dword v15, v15, s[10:11]
.LBB17_9:
	s_or_b64 exec, exec, s[4:5]
	v_cvt_f32_f16_e32 v16, v4
	s_waitcnt vmcnt(0)
	v_mov_b32_e32 v17, v15
	v_cmp_nlg_f32_e64 s[16:17], |v16|, s3
	s_and_saveexec_b64 s[4:5], s[16:17]
	s_cbranch_execz .LBB17_11
; %bb.10:
	v_mov_b32_e32 v17, 0
	v_mov_b32_e32 v18, 1.0
	global_store_dword v17, v18, s[8:9]
	global_load_dword v17, v17, s[10:11]
.LBB17_11:
	s_or_b64 exec, exec, s[4:5]
	v_lshrrev_b32_e32 v18, 16, v4
	v_cvt_f32_f16_e32 v19, v18
	s_waitcnt vmcnt(0)
	v_mov_b32_e32 v20, v17
	v_cmp_nlg_f32_e64 s[16:17], |v19|, s3
	;; [unrolled: 27-line block ×3, first 2 shown]
	s_and_saveexec_b64 s[4:5], s[16:17]
	s_cbranch_execz .LBB17_17
; %bb.16:
	v_mov_b32_e32 v23, 0
	v_mov_b32_e32 v26, 1.0
	global_store_dword v23, v26, s[8:9]
	global_load_dword v23, v23, s[10:11]
.LBB17_17:
	s_or_b64 exec, exec, s[4:5]
	v_fma_mixlo_f16 v24, v25, v24, 0
	v_cmp_eq_f32_e32 vcc, 1.0, v25
	v_cndmask_b32_e32 v5, v24, v5, vcc
	v_fma_mixlo_f16 v19, v20, v19, 0
	v_cmp_eq_f32_e32 vcc, 1.0, v20
	v_cndmask_b32_e32 v18, v19, v18, vcc
	;; [unrolled: 3-line block ×7, first 2 shown]
	s_waitcnt vmcnt(0)
	v_fma_mixlo_f16 v6, v23, v22, 0
	v_cmp_eq_f32_e32 vcc, 1.0, v23
	v_cndmask_b32_e32 v6, v6, v21, vcc
	s_add_u32 s0, s12, s0
	s_mov_b32 s3, 0x5040100
	s_addc_u32 s1, s13, s1
	v_perm_b32 v5, v6, v5, s3
	v_perm_b32 v4, v18, v4, s3
	;; [unrolled: 1-line block ×4, first 2 shown]
	global_store_dwordx4 v1, v[2:5], s[0:1]
	s_mov_b64 s[0:1], 0
.LBB17_18:
	s_and_b64 vcc, exec, s[0:1]
	s_cbranch_vccz .LBB17_73
; %bb.19:
	v_cmp_gt_i32_e32 vcc, s6, v0
	v_mov_b32_e32 v7, 0
	v_or_b32_e32 v2, s2, v0
	v_mov_b32_e32 v8, 0
	v_mov_b32_e32 v5, v0
	s_and_saveexec_b64 s[4:5], vcc
	s_cbranch_execz .LBB17_21
; %bb.20:
	v_mov_b32_e32 v3, 0
	v_lshlrev_b64 v[4:5], 1, v[2:3]
	v_mov_b32_e32 v1, s15
	v_add_co_u32_e64 v4, s[0:1], s14, v4
	v_addc_co_u32_e64 v5, s[0:1], v1, v5, s[0:1]
	global_load_ushort v8, v[4:5], off
	v_or_b32_e32 v5, 0x100, v0
.LBB17_21:
	s_or_b64 exec, exec, s[4:5]
	v_cmp_gt_i32_e64 s[0:1], s6, v5
	s_and_saveexec_b64 s[4:5], s[0:1]
	s_cbranch_execz .LBB17_23
; %bb.22:
	v_add_u32_e32 v6, s2, v5
	v_mov_b32_e32 v7, 0
	v_lshlrev_b64 v[6:7], 1, v[6:7]
	v_mov_b32_e32 v1, s15
	v_add_co_u32_e64 v6, s[0:1], s14, v6
	v_addc_co_u32_e64 v7, s[0:1], v1, v7, s[0:1]
	global_load_ushort v7, v[6:7], off
	v_add_u32_e32 v5, 0x100, v5
.LBB17_23:
	s_or_b64 exec, exec, s[4:5]
	v_cmp_gt_i32_e64 s[0:1], s6, v5
	v_mov_b32_e32 v4, 0
	v_mov_b32_e32 v11, 0
	s_and_saveexec_b64 s[4:5], s[0:1]
	s_cbranch_execz .LBB17_25
; %bb.24:
	v_add_u32_e32 v10, s2, v5
	v_mov_b32_e32 v11, 0
	v_lshlrev_b64 v[10:11], 1, v[10:11]
	v_mov_b32_e32 v1, s15
	v_add_co_u32_e64 v10, s[0:1], s14, v10
	v_addc_co_u32_e64 v11, s[0:1], v1, v11, s[0:1]
	global_load_ushort v11, v[10:11], off
	v_add_u32_e32 v5, 0x100, v5
.LBB17_25:
	s_or_b64 exec, exec, s[4:5]
	v_cmp_gt_i32_e64 s[0:1], s6, v5
	s_and_saveexec_b64 s[4:5], s[0:1]
	s_cbranch_execz .LBB17_27
; %bb.26:
	v_add_u32_e32 v12, s2, v5
	v_mov_b32_e32 v13, 0
	v_lshlrev_b64 v[12:13], 1, v[12:13]
	v_mov_b32_e32 v1, s15
	v_add_co_u32_e64 v12, s[0:1], s14, v12
	v_addc_co_u32_e64 v13, s[0:1], v1, v13, s[0:1]
	global_load_ushort v4, v[12:13], off
	v_add_u32_e32 v5, 0x100, v5
.LBB17_27:
	s_or_b64 exec, exec, s[4:5]
	v_cmp_gt_i32_e64 s[0:1], s6, v5
	v_mov_b32_e32 v3, 0
	v_mov_b32_e32 v10, 0
	s_and_saveexec_b64 s[4:5], s[0:1]
	s_cbranch_execz .LBB17_29
; %bb.28:
	v_add_u32_e32 v12, s2, v5
	v_mov_b32_e32 v13, 0
	v_lshlrev_b64 v[12:13], 1, v[12:13]
	v_mov_b32_e32 v1, s15
	v_add_co_u32_e64 v12, s[0:1], s14, v12
	v_addc_co_u32_e64 v13, s[0:1], v1, v13, s[0:1]
	global_load_ushort v10, v[12:13], off
	v_add_u32_e32 v5, 0x100, v5
.LBB17_29:
	s_or_b64 exec, exec, s[4:5]
	v_cmp_gt_i32_e64 s[0:1], s6, v5
	s_and_saveexec_b64 s[4:5], s[0:1]
	s_cbranch_execz .LBB17_31
; %bb.30:
	v_add_u32_e32 v12, s2, v5
	v_mov_b32_e32 v13, 0
	v_lshlrev_b64 v[12:13], 1, v[12:13]
	v_mov_b32_e32 v1, s15
	v_add_co_u32_e64 v12, s[0:1], s14, v12
	v_addc_co_u32_e64 v13, s[0:1], v1, v13, s[0:1]
	global_load_ushort v3, v[12:13], off
	v_add_u32_e32 v5, 0x100, v5
.LBB17_31:
	s_or_b64 exec, exec, s[4:5]
	v_cmp_gt_i32_e64 s[0:1], s6, v5
	v_mov_b32_e32 v1, 0
	v_mov_b32_e32 v6, 0
	s_and_saveexec_b64 s[4:5], s[0:1]
	s_cbranch_execnz .LBB17_34
; %bb.32:
	s_or_b64 exec, exec, s[4:5]
	v_cmp_gt_i32_e64 s[0:1], s6, v5
	s_and_saveexec_b64 s[4:5], s[0:1]
	s_cbranch_execnz .LBB17_35
.LBB17_33:
	s_or_b64 exec, exec, s[4:5]
                                        ; implicit-def: $vgpr5
	s_and_saveexec_b64 s[4:5], vcc
	s_cbranch_execnz .LBB17_36
	s_branch .LBB17_39
.LBB17_34:
	v_add_u32_e32 v12, s2, v5
	v_mov_b32_e32 v13, 0
	v_lshlrev_b64 v[12:13], 1, v[12:13]
	v_mov_b32_e32 v6, s15
	v_add_co_u32_e64 v12, s[0:1], s14, v12
	v_addc_co_u32_e64 v13, s[0:1], v6, v13, s[0:1]
	global_load_ushort v6, v[12:13], off
	v_add_u32_e32 v5, 0x100, v5
	s_or_b64 exec, exec, s[4:5]
	v_cmp_gt_i32_e64 s[0:1], s6, v5
	s_and_saveexec_b64 s[4:5], s[0:1]
	s_cbranch_execz .LBB17_33
.LBB17_35:
	v_add_u32_e32 v12, s2, v5
	v_mov_b32_e32 v13, 0
	v_lshlrev_b64 v[12:13], 1, v[12:13]
	v_mov_b32_e32 v1, s15
	v_add_co_u32_e64 v12, s[0:1], s14, v12
	v_addc_co_u32_e64 v13, s[0:1], v1, v13, s[0:1]
	global_load_ushort v1, v[12:13], off
	s_or_b64 exec, exec, s[4:5]
                                        ; implicit-def: $vgpr5
	s_and_saveexec_b64 s[4:5], vcc
	s_cbranch_execz .LBB17_39
.LBB17_36:
	s_waitcnt vmcnt(0)
	v_cvt_f32_f16_e32 v5, v8
	s_mov_b32 s0, 0x7f800000
	v_cmp_nlg_f32_e64 s[14:15], |v5|, s0
	s_and_saveexec_b64 s[0:1], s[14:15]
	s_cbranch_execz .LBB17_38
; %bb.37:
	v_mov_b32_e32 v9, 0
	v_mov_b32_e32 v12, 1.0
	global_store_dword v9, v12, s[8:9]
.LBB17_38:
	s_or_b64 exec, exec, s[0:1]
	v_mov_b32_e32 v9, 0
	global_load_dword v9, v9, s[10:11]
	s_waitcnt vmcnt(0)
	v_fma_mixlo_f16 v5, v9, v5, 0
	v_cmp_eq_f32_e64 s[0:1], 1.0, v9
	v_cndmask_b32_e64 v5, v5, v8, s[0:1]
.LBB17_39:
	s_or_b64 exec, exec, s[4:5]
	v_or_b32_e32 v9, 0x100, v0
	v_cmp_gt_i32_e64 s[0:1], s6, v9
                                        ; implicit-def: $vgpr8
	s_and_saveexec_b64 s[4:5], s[0:1]
	s_cbranch_execz .LBB17_43
; %bb.40:
	s_waitcnt vmcnt(0)
	v_cvt_f32_f16_e32 v8, v7
	s_mov_b32 s0, 0x7f800000
	v_cmp_nlg_f32_e64 s[14:15], |v8|, s0
	s_and_saveexec_b64 s[0:1], s[14:15]
	s_cbranch_execz .LBB17_42
; %bb.41:
	v_mov_b32_e32 v12, 0
	v_mov_b32_e32 v13, 1.0
	global_store_dword v12, v13, s[8:9]
.LBB17_42:
	s_or_b64 exec, exec, s[0:1]
	v_mov_b32_e32 v12, 0
	global_load_dword v12, v12, s[10:11]
	s_waitcnt vmcnt(0)
	v_fma_mixlo_f16 v8, v12, v8, 0
	v_cmp_eq_f32_e64 s[0:1], 1.0, v12
	v_cndmask_b32_e64 v8, v8, v7, s[0:1]
.LBB17_43:
	s_or_b64 exec, exec, s[4:5]
	s_waitcnt vmcnt(0)
	v_or_b32_e32 v7, 0x200, v0
	v_cmp_gt_i32_e64 s[0:1], s6, v7
                                        ; implicit-def: $vgpr7
	s_and_saveexec_b64 s[4:5], s[0:1]
	s_cbranch_execz .LBB17_47
; %bb.44:
	v_cvt_f32_f16_e32 v7, v11
	s_mov_b32 s0, 0x7f800000
	v_cmp_nlg_f32_e64 s[14:15], |v7|, s0
	s_and_saveexec_b64 s[0:1], s[14:15]
	s_cbranch_execz .LBB17_46
; %bb.45:
	v_mov_b32_e32 v12, 0
	v_mov_b32_e32 v13, 1.0
	global_store_dword v12, v13, s[8:9]
.LBB17_46:
	s_or_b64 exec, exec, s[0:1]
	v_mov_b32_e32 v12, 0
	global_load_dword v12, v12, s[10:11]
	s_waitcnt vmcnt(0)
	v_fma_mixlo_f16 v7, v12, v7, 0
	v_cmp_eq_f32_e64 s[0:1], 1.0, v12
	v_cndmask_b32_e64 v7, v7, v11, s[0:1]
.LBB17_47:
	s_or_b64 exec, exec, s[4:5]
	v_or_b32_e32 v11, 0x300, v0
	v_cmp_gt_i32_e64 s[0:1], s6, v11
                                        ; implicit-def: $vgpr11
	s_and_saveexec_b64 s[4:5], s[0:1]
	s_cbranch_execz .LBB17_51
; %bb.48:
	v_cvt_f32_f16_e32 v11, v4
	s_mov_b32 s0, 0x7f800000
	v_cmp_nlg_f32_e64 s[14:15], |v11|, s0
	s_and_saveexec_b64 s[0:1], s[14:15]
	s_cbranch_execz .LBB17_50
; %bb.49:
	v_mov_b32_e32 v12, 0
	v_mov_b32_e32 v13, 1.0
	global_store_dword v12, v13, s[8:9]
.LBB17_50:
	s_or_b64 exec, exec, s[0:1]
	v_mov_b32_e32 v12, 0
	global_load_dword v12, v12, s[10:11]
	s_waitcnt vmcnt(0)
	v_fma_mixlo_f16 v11, v12, v11, 0
	v_cmp_eq_f32_e64 s[0:1], 1.0, v12
	v_cndmask_b32_e64 v11, v11, v4, s[0:1]
.LBB17_51:
	s_or_b64 exec, exec, s[4:5]
	v_or_b32_e32 v4, 0x400, v0
	v_cmp_gt_i32_e64 s[0:1], s6, v4
                                        ; implicit-def: $vgpr4
	s_and_saveexec_b64 s[4:5], s[0:1]
	s_cbranch_execz .LBB17_55
; %bb.52:
	v_cvt_f32_f16_e32 v4, v10
	s_mov_b32 s0, 0x7f800000
	v_cmp_nlg_f32_e64 s[14:15], |v4|, s0
	s_and_saveexec_b64 s[0:1], s[14:15]
	s_cbranch_execz .LBB17_54
; %bb.53:
	v_mov_b32_e32 v12, 0
	v_mov_b32_e32 v13, 1.0
	global_store_dword v12, v13, s[8:9]
.LBB17_54:
	s_or_b64 exec, exec, s[0:1]
	v_mov_b32_e32 v12, 0
	global_load_dword v12, v12, s[10:11]
	s_waitcnt vmcnt(0)
	v_fma_mixlo_f16 v4, v12, v4, 0
	v_cmp_eq_f32_e64 s[0:1], 1.0, v12
	v_cndmask_b32_e64 v4, v4, v10, s[0:1]
.LBB17_55:
	s_or_b64 exec, exec, s[4:5]
	v_or_b32_e32 v10, 0x500, v0
	v_cmp_gt_i32_e64 s[0:1], s6, v10
                                        ; implicit-def: $vgpr10
	s_and_saveexec_b64 s[4:5], s[0:1]
	s_cbranch_execz .LBB17_59
; %bb.56:
	v_cvt_f32_f16_e32 v10, v3
	s_mov_b32 s0, 0x7f800000
	v_cmp_nlg_f32_e64 s[14:15], |v10|, s0
	s_and_saveexec_b64 s[0:1], s[14:15]
	s_cbranch_execz .LBB17_58
; %bb.57:
	v_mov_b32_e32 v12, 0
	v_mov_b32_e32 v13, 1.0
	global_store_dword v12, v13, s[8:9]
.LBB17_58:
	s_or_b64 exec, exec, s[0:1]
	v_mov_b32_e32 v12, 0
	global_load_dword v12, v12, s[10:11]
	s_waitcnt vmcnt(0)
	v_fma_mixlo_f16 v10, v12, v10, 0
	v_cmp_eq_f32_e64 s[0:1], 1.0, v12
	v_cndmask_b32_e64 v10, v10, v3, s[0:1]
.LBB17_59:
	s_or_b64 exec, exec, s[4:5]
	v_or_b32_e32 v3, 0x600, v0
	v_cmp_gt_i32_e64 s[0:1], s6, v3
                                        ; implicit-def: $vgpr12
	s_and_saveexec_b64 s[4:5], s[0:1]
	s_cbranch_execz .LBB17_63
; %bb.60:
	v_cvt_f32_f16_e32 v3, v6
	s_mov_b32 s0, 0x7f800000
	v_cmp_nlg_f32_e64 s[14:15], |v3|, s0
	s_and_saveexec_b64 s[0:1], s[14:15]
	s_cbranch_execz .LBB17_62
; %bb.61:
	v_mov_b32_e32 v12, 0
	v_mov_b32_e32 v13, 1.0
	global_store_dword v12, v13, s[8:9]
.LBB17_62:
	s_or_b64 exec, exec, s[0:1]
	v_mov_b32_e32 v12, 0
	global_load_dword v12, v12, s[10:11]
	s_waitcnt vmcnt(0)
	v_fma_mixlo_f16 v3, v12, v3, 0
	v_cmp_eq_f32_e64 s[0:1], 1.0, v12
	v_cndmask_b32_e64 v12, v3, v6, s[0:1]
.LBB17_63:
	s_or_b64 exec, exec, s[4:5]
	v_or_b32_e32 v3, 0x700, v0
	v_cmp_gt_i32_e64 s[0:1], s6, v3
                                        ; implicit-def: $vgpr6
	s_and_saveexec_b64 s[4:5], s[0:1]
	s_cbranch_execnz .LBB17_74
; %bb.64:
	s_or_b64 exec, exec, s[4:5]
	s_and_saveexec_b64 s[0:1], vcc
	s_xor_b64 s[0:1], exec, s[0:1]
	s_cbranch_execnz .LBB17_77
.LBB17_65:
	s_or_b64 exec, exec, s[0:1]
	v_cmp_gt_i32_e32 vcc, s6, v0
	s_and_saveexec_b64 s[0:1], vcc
	s_cbranch_execnz .LBB17_78
.LBB17_66:
	s_or_b64 exec, exec, s[0:1]
	v_cmp_gt_i32_e32 vcc, s6, v0
	s_and_saveexec_b64 s[0:1], vcc
	s_cbranch_execnz .LBB17_79
.LBB17_67:
	s_or_b64 exec, exec, s[0:1]
	v_cmp_gt_i32_e32 vcc, s6, v0
	s_and_saveexec_b64 s[0:1], vcc
	s_cbranch_execnz .LBB17_80
.LBB17_68:
	s_or_b64 exec, exec, s[0:1]
	v_cmp_gt_i32_e32 vcc, s6, v0
	s_and_saveexec_b64 s[0:1], vcc
	s_cbranch_execnz .LBB17_81
.LBB17_69:
	s_or_b64 exec, exec, s[0:1]
	v_cmp_gt_i32_e32 vcc, s6, v0
	s_and_saveexec_b64 s[0:1], vcc
	s_cbranch_execnz .LBB17_82
.LBB17_70:
	s_or_b64 exec, exec, s[0:1]
	v_cmp_gt_i32_e32 vcc, s6, v0
	s_and_saveexec_b64 s[0:1], vcc
	s_cbranch_execnz .LBB17_83
.LBB17_71:
	s_or_b64 exec, exec, s[0:1]
	v_cmp_gt_i32_e32 vcc, s6, v0
	s_and_saveexec_b64 s[0:1], vcc
	s_cbranch_execz .LBB17_73
.LBB17_72:
	v_add_u32_e32 v0, s2, v0
	v_mov_b32_e32 v1, 0
	v_lshlrev_b64 v[0:1], 1, v[0:1]
	v_mov_b32_e32 v2, s13
	v_add_co_u32_e32 v0, vcc, s12, v0
	v_addc_co_u32_e32 v1, vcc, v2, v1, vcc
	global_store_short v[0:1], v6, off
.LBB17_73:
	s_endpgm
.LBB17_74:
	v_cvt_f32_f16_e32 v3, v1
	s_mov_b32 s0, 0x7f800000
	v_cmp_nlg_f32_e64 s[14:15], |v3|, s0
	s_and_saveexec_b64 s[0:1], s[14:15]
	s_cbranch_execz .LBB17_76
; %bb.75:
	v_mov_b32_e32 v6, 0
	v_mov_b32_e32 v13, 1.0
	global_store_dword v6, v13, s[8:9]
.LBB17_76:
	s_or_b64 exec, exec, s[0:1]
	v_mov_b32_e32 v6, 0
	global_load_dword v6, v6, s[10:11]
	s_waitcnt vmcnt(0)
	v_fma_mixlo_f16 v3, v6, v3, 0
	v_cmp_eq_f32_e64 s[0:1], 1.0, v6
	v_cndmask_b32_e64 v6, v3, v1, s[0:1]
	s_or_b64 exec, exec, s[4:5]
	s_and_saveexec_b64 s[0:1], vcc
	s_xor_b64 s[0:1], exec, s[0:1]
	s_cbranch_execz .LBB17_65
.LBB17_77:
	v_mov_b32_e32 v3, 0
	v_lshlrev_b64 v[0:1], 1, v[2:3]
	v_mov_b32_e32 v2, s13
	v_add_co_u32_e32 v0, vcc, s12, v0
	v_addc_co_u32_e32 v1, vcc, v2, v1, vcc
	global_store_short v[0:1], v5, off
	v_mov_b32_e32 v0, v9
	s_or_b64 exec, exec, s[0:1]
	v_cmp_gt_i32_e32 vcc, s6, v0
	s_and_saveexec_b64 s[0:1], vcc
	s_cbranch_execz .LBB17_66
.LBB17_78:
	v_add_u32_e32 v2, s2, v0
	v_mov_b32_e32 v3, 0
	v_lshlrev_b64 v[2:3], 1, v[2:3]
	v_mov_b32_e32 v1, s13
	v_add_co_u32_e32 v2, vcc, s12, v2
	v_addc_co_u32_e32 v3, vcc, v1, v3, vcc
	v_add_u32_e32 v0, 0x100, v0
	global_store_short v[2:3], v8, off
	s_or_b64 exec, exec, s[0:1]
	v_cmp_gt_i32_e32 vcc, s6, v0
	s_and_saveexec_b64 s[0:1], vcc
	s_cbranch_execz .LBB17_67
.LBB17_79:
	v_add_u32_e32 v2, s2, v0
	v_mov_b32_e32 v3, 0
	v_lshlrev_b64 v[2:3], 1, v[2:3]
	v_mov_b32_e32 v1, s13
	v_add_co_u32_e32 v2, vcc, s12, v2
	v_addc_co_u32_e32 v3, vcc, v1, v3, vcc
	v_add_u32_e32 v0, 0x100, v0
	global_store_short v[2:3], v7, off
	s_or_b64 exec, exec, s[0:1]
	v_cmp_gt_i32_e32 vcc, s6, v0
	s_and_saveexec_b64 s[0:1], vcc
	s_cbranch_execz .LBB17_68
.LBB17_80:
	v_add_u32_e32 v2, s2, v0
	v_mov_b32_e32 v3, 0
	v_lshlrev_b64 v[2:3], 1, v[2:3]
	v_mov_b32_e32 v1, s13
	v_add_co_u32_e32 v2, vcc, s12, v2
	v_addc_co_u32_e32 v3, vcc, v1, v3, vcc
	v_add_u32_e32 v0, 0x100, v0
	global_store_short v[2:3], v11, off
	s_or_b64 exec, exec, s[0:1]
	v_cmp_gt_i32_e32 vcc, s6, v0
	s_and_saveexec_b64 s[0:1], vcc
	s_cbranch_execz .LBB17_69
.LBB17_81:
	v_add_u32_e32 v2, s2, v0
	v_mov_b32_e32 v3, 0
	v_lshlrev_b64 v[2:3], 1, v[2:3]
	v_mov_b32_e32 v1, s13
	v_add_co_u32_e32 v2, vcc, s12, v2
	v_addc_co_u32_e32 v3, vcc, v1, v3, vcc
	v_add_u32_e32 v0, 0x100, v0
	global_store_short v[2:3], v4, off
	s_or_b64 exec, exec, s[0:1]
	v_cmp_gt_i32_e32 vcc, s6, v0
	s_and_saveexec_b64 s[0:1], vcc
	s_cbranch_execz .LBB17_70
.LBB17_82:
	v_add_u32_e32 v2, s2, v0
	v_mov_b32_e32 v3, 0
	v_lshlrev_b64 v[2:3], 1, v[2:3]
	v_mov_b32_e32 v1, s13
	v_add_co_u32_e32 v2, vcc, s12, v2
	v_addc_co_u32_e32 v3, vcc, v1, v3, vcc
	v_add_u32_e32 v0, 0x100, v0
	global_store_short v[2:3], v10, off
	s_or_b64 exec, exec, s[0:1]
	v_cmp_gt_i32_e32 vcc, s6, v0
	s_and_saveexec_b64 s[0:1], vcc
	s_cbranch_execz .LBB17_71
.LBB17_83:
	v_add_u32_e32 v2, s2, v0
	v_mov_b32_e32 v3, 0
	v_lshlrev_b64 v[2:3], 1, v[2:3]
	v_mov_b32_e32 v1, s13
	v_add_co_u32_e32 v2, vcc, s12, v2
	v_addc_co_u32_e32 v3, vcc, v1, v3, vcc
	v_add_u32_e32 v0, 0x100, v0
	global_store_short v[2:3], v12, off
	s_or_b64 exec, exec, s[0:1]
	v_cmp_gt_i32_e32 vcc, s6, v0
	s_and_saveexec_b64 s[0:1], vcc
	s_cbranch_execnz .LBB17_72
	s_branch .LBB17_73
	.section	.rodata,"a",@progbits
	.p2align	6, 0x0
	.amdhsa_kernel _ZN2at6native29vectorized_elementwise_kernelILi16EZZZNS0_12_GLOBAL__N_139_amp_non_finite_check_and_unscale_cuda_ERNS_6TensorES4_RKS3_ENKUlvE_clEvENKUlvE1_clEvEUlN3c104HalfEE_St5arrayIPcLm2EEEEviT0_T1_
		.amdhsa_group_segment_fixed_size 0
		.amdhsa_private_segment_fixed_size 0
		.amdhsa_kernarg_size 40
		.amdhsa_user_sgpr_count 6
		.amdhsa_user_sgpr_private_segment_buffer 1
		.amdhsa_user_sgpr_dispatch_ptr 0
		.amdhsa_user_sgpr_queue_ptr 0
		.amdhsa_user_sgpr_kernarg_segment_ptr 1
		.amdhsa_user_sgpr_dispatch_id 0
		.amdhsa_user_sgpr_flat_scratch_init 0
		.amdhsa_user_sgpr_kernarg_preload_length 0
		.amdhsa_user_sgpr_kernarg_preload_offset 0
		.amdhsa_user_sgpr_private_segment_size 0
		.amdhsa_uses_dynamic_stack 0
		.amdhsa_system_sgpr_private_segment_wavefront_offset 0
		.amdhsa_system_sgpr_workgroup_id_x 1
		.amdhsa_system_sgpr_workgroup_id_y 0
		.amdhsa_system_sgpr_workgroup_id_z 0
		.amdhsa_system_sgpr_workgroup_info 0
		.amdhsa_system_vgpr_workitem_id 0
		.amdhsa_next_free_vgpr 27
		.amdhsa_next_free_sgpr 18
		.amdhsa_accum_offset 28
		.amdhsa_reserve_vcc 1
		.amdhsa_reserve_flat_scratch 0
		.amdhsa_float_round_mode_32 0
		.amdhsa_float_round_mode_16_64 0
		.amdhsa_float_denorm_mode_32 3
		.amdhsa_float_denorm_mode_16_64 3
		.amdhsa_dx10_clamp 1
		.amdhsa_ieee_mode 1
		.amdhsa_fp16_overflow 0
		.amdhsa_tg_split 0
		.amdhsa_exception_fp_ieee_invalid_op 0
		.amdhsa_exception_fp_denorm_src 0
		.amdhsa_exception_fp_ieee_div_zero 0
		.amdhsa_exception_fp_ieee_overflow 0
		.amdhsa_exception_fp_ieee_underflow 0
		.amdhsa_exception_fp_ieee_inexact 0
		.amdhsa_exception_int_div_zero 0
	.end_amdhsa_kernel
	.section	.text._ZN2at6native29vectorized_elementwise_kernelILi16EZZZNS0_12_GLOBAL__N_139_amp_non_finite_check_and_unscale_cuda_ERNS_6TensorES4_RKS3_ENKUlvE_clEvENKUlvE1_clEvEUlN3c104HalfEE_St5arrayIPcLm2EEEEviT0_T1_,"axG",@progbits,_ZN2at6native29vectorized_elementwise_kernelILi16EZZZNS0_12_GLOBAL__N_139_amp_non_finite_check_and_unscale_cuda_ERNS_6TensorES4_RKS3_ENKUlvE_clEvENKUlvE1_clEvEUlN3c104HalfEE_St5arrayIPcLm2EEEEviT0_T1_,comdat
.Lfunc_end17:
	.size	_ZN2at6native29vectorized_elementwise_kernelILi16EZZZNS0_12_GLOBAL__N_139_amp_non_finite_check_and_unscale_cuda_ERNS_6TensorES4_RKS3_ENKUlvE_clEvENKUlvE1_clEvEUlN3c104HalfEE_St5arrayIPcLm2EEEEviT0_T1_, .Lfunc_end17-_ZN2at6native29vectorized_elementwise_kernelILi16EZZZNS0_12_GLOBAL__N_139_amp_non_finite_check_and_unscale_cuda_ERNS_6TensorES4_RKS3_ENKUlvE_clEvENKUlvE1_clEvEUlN3c104HalfEE_St5arrayIPcLm2EEEEviT0_T1_
                                        ; -- End function
	.section	.AMDGPU.csdata,"",@progbits
; Kernel info:
; codeLenInByte = 2892
; NumSgprs: 22
; NumVgprs: 27
; NumAgprs: 0
; TotalNumVgprs: 27
; ScratchSize: 0
; MemoryBound: 0
; FloatMode: 240
; IeeeMode: 1
; LDSByteSize: 0 bytes/workgroup (compile time only)
; SGPRBlocks: 2
; VGPRBlocks: 3
; NumSGPRsForWavesPerEU: 22
; NumVGPRsForWavesPerEU: 27
; AccumOffset: 28
; Occupancy: 8
; WaveLimiterHint : 0
; COMPUTE_PGM_RSRC2:SCRATCH_EN: 0
; COMPUTE_PGM_RSRC2:USER_SGPR: 6
; COMPUTE_PGM_RSRC2:TRAP_HANDLER: 0
; COMPUTE_PGM_RSRC2:TGID_X_EN: 1
; COMPUTE_PGM_RSRC2:TGID_Y_EN: 0
; COMPUTE_PGM_RSRC2:TGID_Z_EN: 0
; COMPUTE_PGM_RSRC2:TIDIG_COMP_CNT: 0
; COMPUTE_PGM_RSRC3_GFX90A:ACCUM_OFFSET: 6
; COMPUTE_PGM_RSRC3_GFX90A:TG_SPLIT: 0
	.section	.text._ZN2at6native29vectorized_elementwise_kernelILi8EZZZNS0_12_GLOBAL__N_139_amp_non_finite_check_and_unscale_cuda_ERNS_6TensorES4_RKS3_ENKUlvE_clEvENKUlvE1_clEvEUlN3c104HalfEE_St5arrayIPcLm2EEEEviT0_T1_,"axG",@progbits,_ZN2at6native29vectorized_elementwise_kernelILi8EZZZNS0_12_GLOBAL__N_139_amp_non_finite_check_and_unscale_cuda_ERNS_6TensorES4_RKS3_ENKUlvE_clEvENKUlvE1_clEvEUlN3c104HalfEE_St5arrayIPcLm2EEEEviT0_T1_,comdat
	.globl	_ZN2at6native29vectorized_elementwise_kernelILi8EZZZNS0_12_GLOBAL__N_139_amp_non_finite_check_and_unscale_cuda_ERNS_6TensorES4_RKS3_ENKUlvE_clEvENKUlvE1_clEvEUlN3c104HalfEE_St5arrayIPcLm2EEEEviT0_T1_ ; -- Begin function _ZN2at6native29vectorized_elementwise_kernelILi8EZZZNS0_12_GLOBAL__N_139_amp_non_finite_check_and_unscale_cuda_ERNS_6TensorES4_RKS3_ENKUlvE_clEvENKUlvE1_clEvEUlN3c104HalfEE_St5arrayIPcLm2EEEEviT0_T1_
	.p2align	8
	.type	_ZN2at6native29vectorized_elementwise_kernelILi8EZZZNS0_12_GLOBAL__N_139_amp_non_finite_check_and_unscale_cuda_ERNS_6TensorES4_RKS3_ENKUlvE_clEvENKUlvE1_clEvEUlN3c104HalfEE_St5arrayIPcLm2EEEEviT0_T1_,@function
_ZN2at6native29vectorized_elementwise_kernelILi8EZZZNS0_12_GLOBAL__N_139_amp_non_finite_check_and_unscale_cuda_ERNS_6TensorES4_RKS3_ENKUlvE_clEvENKUlvE1_clEvEUlN3c104HalfEE_St5arrayIPcLm2EEEEviT0_T1_: ; @_ZN2at6native29vectorized_elementwise_kernelILi8EZZZNS0_12_GLOBAL__N_139_amp_non_finite_check_and_unscale_cuda_ERNS_6TensorES4_RKS3_ENKUlvE_clEvENKUlvE1_clEvEUlN3c104HalfEE_St5arrayIPcLm2EEEEviT0_T1_
; %bb.0:
	s_load_dword s0, s[4:5], 0x0
	s_load_dwordx8 s[8:15], s[4:5], 0x8
	s_lshl_b32 s2, s6, 11
	s_waitcnt lgkmcnt(0)
	s_sub_i32 s6, s0, s2
	s_cmpk_gt_i32 s6, 0x7ff
	s_mov_b64 s[0:1], -1
	s_cbranch_scc0 .LBB18_18
; %bb.1:
	s_ashr_i32 s3, s2, 31
	s_lshl_b64 s[0:1], s[2:3], 1
	s_add_u32 s4, s14, s0
	s_addc_u32 s5, s15, s1
	v_lshlrev_b32_e32 v1, 4, v0
	global_load_dwordx4 v[2:5], v1, s[4:5]
	s_mov_b32 s3, 0x7f800000
	v_mov_b32_e32 v7, 0
	s_waitcnt vmcnt(0)
	v_cvt_f32_f16_e32 v6, v2
	v_cmp_nlg_f32_e64 s[16:17], |v6|, s3
	s_and_saveexec_b64 s[4:5], s[16:17]
	s_cbranch_execz .LBB18_3
; %bb.2:
	v_mov_b32_e32 v8, 1.0
	global_store_dword v7, v8, s[8:9]
.LBB18_3:
	s_or_b64 exec, exec, s[4:5]
	global_load_dword v7, v7, s[10:11]
	v_lshrrev_b32_e32 v8, 16, v2
	v_cvt_f32_f16_e32 v9, v8
	v_cmp_nlg_f32_e64 s[16:17], |v9|, s3
	s_waitcnt vmcnt(0)
	v_mov_b32_e32 v10, v7
	s_and_saveexec_b64 s[4:5], s[16:17]
	s_cbranch_execz .LBB18_5
; %bb.4:
	v_mov_b32_e32 v10, 0
	v_mov_b32_e32 v11, 1.0
	global_store_dword v10, v11, s[8:9]
	global_load_dword v10, v10, s[10:11]
.LBB18_5:
	s_or_b64 exec, exec, s[4:5]
	v_cvt_f32_f16_e32 v11, v3
	s_waitcnt vmcnt(0)
	v_mov_b32_e32 v12, v10
	v_cmp_nlg_f32_e64 s[16:17], |v11|, s3
	s_and_saveexec_b64 s[4:5], s[16:17]
	s_cbranch_execz .LBB18_7
; %bb.6:
	v_mov_b32_e32 v12, 0
	v_mov_b32_e32 v13, 1.0
	global_store_dword v12, v13, s[8:9]
	global_load_dword v12, v12, s[10:11]
.LBB18_7:
	s_or_b64 exec, exec, s[4:5]
	v_lshrrev_b32_e32 v13, 16, v3
	v_cvt_f32_f16_e32 v14, v13
	s_waitcnt vmcnt(0)
	v_mov_b32_e32 v15, v12
	v_cmp_nlg_f32_e64 s[16:17], |v14|, s3
	s_and_saveexec_b64 s[4:5], s[16:17]
	s_cbranch_execz .LBB18_9
; %bb.8:
	v_mov_b32_e32 v15, 0
	v_mov_b32_e32 v16, 1.0
	global_store_dword v15, v16, s[8:9]
	global_load_dword v15, v15, s[10:11]
.LBB18_9:
	s_or_b64 exec, exec, s[4:5]
	v_cvt_f32_f16_e32 v16, v4
	s_waitcnt vmcnt(0)
	v_mov_b32_e32 v17, v15
	v_cmp_nlg_f32_e64 s[16:17], |v16|, s3
	s_and_saveexec_b64 s[4:5], s[16:17]
	s_cbranch_execz .LBB18_11
; %bb.10:
	v_mov_b32_e32 v17, 0
	v_mov_b32_e32 v18, 1.0
	global_store_dword v17, v18, s[8:9]
	global_load_dword v17, v17, s[10:11]
.LBB18_11:
	s_or_b64 exec, exec, s[4:5]
	v_lshrrev_b32_e32 v18, 16, v4
	v_cvt_f32_f16_e32 v19, v18
	s_waitcnt vmcnt(0)
	v_mov_b32_e32 v20, v17
	v_cmp_nlg_f32_e64 s[16:17], |v19|, s3
	;; [unrolled: 27-line block ×3, first 2 shown]
	s_and_saveexec_b64 s[4:5], s[16:17]
	s_cbranch_execz .LBB18_17
; %bb.16:
	v_mov_b32_e32 v23, 0
	v_mov_b32_e32 v26, 1.0
	global_store_dword v23, v26, s[8:9]
	global_load_dword v23, v23, s[10:11]
.LBB18_17:
	s_or_b64 exec, exec, s[4:5]
	v_fma_mixlo_f16 v24, v25, v24, 0
	v_cmp_eq_f32_e32 vcc, 1.0, v25
	v_cndmask_b32_e32 v5, v24, v5, vcc
	v_fma_mixlo_f16 v19, v20, v19, 0
	v_cmp_eq_f32_e32 vcc, 1.0, v20
	v_cndmask_b32_e32 v18, v19, v18, vcc
	;; [unrolled: 3-line block ×7, first 2 shown]
	s_waitcnt vmcnt(0)
	v_fma_mixlo_f16 v6, v23, v22, 0
	v_cmp_eq_f32_e32 vcc, 1.0, v23
	v_cndmask_b32_e32 v6, v6, v21, vcc
	s_add_u32 s0, s12, s0
	s_mov_b32 s3, 0x5040100
	s_addc_u32 s1, s13, s1
	v_perm_b32 v5, v6, v5, s3
	v_perm_b32 v4, v18, v4, s3
	v_perm_b32 v3, v13, v3, s3
	v_perm_b32 v2, v8, v2, s3
	global_store_dwordx4 v1, v[2:5], s[0:1]
	s_mov_b64 s[0:1], 0
.LBB18_18:
	s_and_b64 vcc, exec, s[0:1]
	s_cbranch_vccz .LBB18_73
; %bb.19:
	v_cmp_gt_i32_e32 vcc, s6, v0
	v_mov_b32_e32 v7, 0
	v_or_b32_e32 v2, s2, v0
	v_mov_b32_e32 v8, 0
	v_mov_b32_e32 v5, v0
	s_and_saveexec_b64 s[4:5], vcc
	s_cbranch_execz .LBB18_21
; %bb.20:
	v_mov_b32_e32 v3, 0
	v_lshlrev_b64 v[4:5], 1, v[2:3]
	v_mov_b32_e32 v1, s15
	v_add_co_u32_e64 v4, s[0:1], s14, v4
	v_addc_co_u32_e64 v5, s[0:1], v1, v5, s[0:1]
	global_load_ushort v8, v[4:5], off
	v_or_b32_e32 v5, 0x100, v0
.LBB18_21:
	s_or_b64 exec, exec, s[4:5]
	v_cmp_gt_i32_e64 s[0:1], s6, v5
	s_and_saveexec_b64 s[4:5], s[0:1]
	s_cbranch_execz .LBB18_23
; %bb.22:
	v_add_u32_e32 v6, s2, v5
	v_mov_b32_e32 v7, 0
	v_lshlrev_b64 v[6:7], 1, v[6:7]
	v_mov_b32_e32 v1, s15
	v_add_co_u32_e64 v6, s[0:1], s14, v6
	v_addc_co_u32_e64 v7, s[0:1], v1, v7, s[0:1]
	global_load_ushort v7, v[6:7], off
	v_add_u32_e32 v5, 0x100, v5
.LBB18_23:
	s_or_b64 exec, exec, s[4:5]
	v_cmp_gt_i32_e64 s[0:1], s6, v5
	v_mov_b32_e32 v4, 0
	v_mov_b32_e32 v11, 0
	s_and_saveexec_b64 s[4:5], s[0:1]
	s_cbranch_execz .LBB18_25
; %bb.24:
	v_add_u32_e32 v10, s2, v5
	v_mov_b32_e32 v11, 0
	v_lshlrev_b64 v[10:11], 1, v[10:11]
	v_mov_b32_e32 v1, s15
	v_add_co_u32_e64 v10, s[0:1], s14, v10
	v_addc_co_u32_e64 v11, s[0:1], v1, v11, s[0:1]
	global_load_ushort v11, v[10:11], off
	v_add_u32_e32 v5, 0x100, v5
.LBB18_25:
	s_or_b64 exec, exec, s[4:5]
	v_cmp_gt_i32_e64 s[0:1], s6, v5
	s_and_saveexec_b64 s[4:5], s[0:1]
	s_cbranch_execz .LBB18_27
; %bb.26:
	v_add_u32_e32 v12, s2, v5
	v_mov_b32_e32 v13, 0
	v_lshlrev_b64 v[12:13], 1, v[12:13]
	v_mov_b32_e32 v1, s15
	v_add_co_u32_e64 v12, s[0:1], s14, v12
	v_addc_co_u32_e64 v13, s[0:1], v1, v13, s[0:1]
	global_load_ushort v4, v[12:13], off
	v_add_u32_e32 v5, 0x100, v5
.LBB18_27:
	s_or_b64 exec, exec, s[4:5]
	v_cmp_gt_i32_e64 s[0:1], s6, v5
	v_mov_b32_e32 v3, 0
	v_mov_b32_e32 v10, 0
	s_and_saveexec_b64 s[4:5], s[0:1]
	s_cbranch_execz .LBB18_29
; %bb.28:
	v_add_u32_e32 v12, s2, v5
	v_mov_b32_e32 v13, 0
	v_lshlrev_b64 v[12:13], 1, v[12:13]
	v_mov_b32_e32 v1, s15
	v_add_co_u32_e64 v12, s[0:1], s14, v12
	v_addc_co_u32_e64 v13, s[0:1], v1, v13, s[0:1]
	global_load_ushort v10, v[12:13], off
	v_add_u32_e32 v5, 0x100, v5
.LBB18_29:
	s_or_b64 exec, exec, s[4:5]
	v_cmp_gt_i32_e64 s[0:1], s6, v5
	s_and_saveexec_b64 s[4:5], s[0:1]
	s_cbranch_execz .LBB18_31
; %bb.30:
	v_add_u32_e32 v12, s2, v5
	v_mov_b32_e32 v13, 0
	v_lshlrev_b64 v[12:13], 1, v[12:13]
	v_mov_b32_e32 v1, s15
	v_add_co_u32_e64 v12, s[0:1], s14, v12
	v_addc_co_u32_e64 v13, s[0:1], v1, v13, s[0:1]
	global_load_ushort v3, v[12:13], off
	v_add_u32_e32 v5, 0x100, v5
.LBB18_31:
	s_or_b64 exec, exec, s[4:5]
	v_cmp_gt_i32_e64 s[0:1], s6, v5
	v_mov_b32_e32 v1, 0
	v_mov_b32_e32 v6, 0
	s_and_saveexec_b64 s[4:5], s[0:1]
	s_cbranch_execnz .LBB18_34
; %bb.32:
	s_or_b64 exec, exec, s[4:5]
	v_cmp_gt_i32_e64 s[0:1], s6, v5
	s_and_saveexec_b64 s[4:5], s[0:1]
	s_cbranch_execnz .LBB18_35
.LBB18_33:
	s_or_b64 exec, exec, s[4:5]
                                        ; implicit-def: $vgpr5
	s_and_saveexec_b64 s[4:5], vcc
	s_cbranch_execnz .LBB18_36
	s_branch .LBB18_39
.LBB18_34:
	v_add_u32_e32 v12, s2, v5
	v_mov_b32_e32 v13, 0
	v_lshlrev_b64 v[12:13], 1, v[12:13]
	v_mov_b32_e32 v6, s15
	v_add_co_u32_e64 v12, s[0:1], s14, v12
	v_addc_co_u32_e64 v13, s[0:1], v6, v13, s[0:1]
	global_load_ushort v6, v[12:13], off
	v_add_u32_e32 v5, 0x100, v5
	s_or_b64 exec, exec, s[4:5]
	v_cmp_gt_i32_e64 s[0:1], s6, v5
	s_and_saveexec_b64 s[4:5], s[0:1]
	s_cbranch_execz .LBB18_33
.LBB18_35:
	v_add_u32_e32 v12, s2, v5
	v_mov_b32_e32 v13, 0
	v_lshlrev_b64 v[12:13], 1, v[12:13]
	v_mov_b32_e32 v1, s15
	v_add_co_u32_e64 v12, s[0:1], s14, v12
	v_addc_co_u32_e64 v13, s[0:1], v1, v13, s[0:1]
	global_load_ushort v1, v[12:13], off
	s_or_b64 exec, exec, s[4:5]
                                        ; implicit-def: $vgpr5
	s_and_saveexec_b64 s[4:5], vcc
	s_cbranch_execz .LBB18_39
.LBB18_36:
	s_waitcnt vmcnt(0)
	v_cvt_f32_f16_e32 v5, v8
	s_mov_b32 s0, 0x7f800000
	v_cmp_nlg_f32_e64 s[14:15], |v5|, s0
	s_and_saveexec_b64 s[0:1], s[14:15]
	s_cbranch_execz .LBB18_38
; %bb.37:
	v_mov_b32_e32 v9, 0
	v_mov_b32_e32 v12, 1.0
	global_store_dword v9, v12, s[8:9]
.LBB18_38:
	s_or_b64 exec, exec, s[0:1]
	v_mov_b32_e32 v9, 0
	global_load_dword v9, v9, s[10:11]
	s_waitcnt vmcnt(0)
	v_fma_mixlo_f16 v5, v9, v5, 0
	v_cmp_eq_f32_e64 s[0:1], 1.0, v9
	v_cndmask_b32_e64 v5, v5, v8, s[0:1]
.LBB18_39:
	s_or_b64 exec, exec, s[4:5]
	v_or_b32_e32 v9, 0x100, v0
	v_cmp_gt_i32_e64 s[0:1], s6, v9
                                        ; implicit-def: $vgpr8
	s_and_saveexec_b64 s[4:5], s[0:1]
	s_cbranch_execz .LBB18_43
; %bb.40:
	s_waitcnt vmcnt(0)
	v_cvt_f32_f16_e32 v8, v7
	s_mov_b32 s0, 0x7f800000
	v_cmp_nlg_f32_e64 s[14:15], |v8|, s0
	s_and_saveexec_b64 s[0:1], s[14:15]
	s_cbranch_execz .LBB18_42
; %bb.41:
	v_mov_b32_e32 v12, 0
	v_mov_b32_e32 v13, 1.0
	global_store_dword v12, v13, s[8:9]
.LBB18_42:
	s_or_b64 exec, exec, s[0:1]
	v_mov_b32_e32 v12, 0
	global_load_dword v12, v12, s[10:11]
	s_waitcnt vmcnt(0)
	v_fma_mixlo_f16 v8, v12, v8, 0
	v_cmp_eq_f32_e64 s[0:1], 1.0, v12
	v_cndmask_b32_e64 v8, v8, v7, s[0:1]
.LBB18_43:
	s_or_b64 exec, exec, s[4:5]
	s_waitcnt vmcnt(0)
	v_or_b32_e32 v7, 0x200, v0
	v_cmp_gt_i32_e64 s[0:1], s6, v7
                                        ; implicit-def: $vgpr7
	s_and_saveexec_b64 s[4:5], s[0:1]
	s_cbranch_execz .LBB18_47
; %bb.44:
	v_cvt_f32_f16_e32 v7, v11
	s_mov_b32 s0, 0x7f800000
	v_cmp_nlg_f32_e64 s[14:15], |v7|, s0
	s_and_saveexec_b64 s[0:1], s[14:15]
	s_cbranch_execz .LBB18_46
; %bb.45:
	v_mov_b32_e32 v12, 0
	v_mov_b32_e32 v13, 1.0
	global_store_dword v12, v13, s[8:9]
.LBB18_46:
	s_or_b64 exec, exec, s[0:1]
	v_mov_b32_e32 v12, 0
	global_load_dword v12, v12, s[10:11]
	s_waitcnt vmcnt(0)
	v_fma_mixlo_f16 v7, v12, v7, 0
	v_cmp_eq_f32_e64 s[0:1], 1.0, v12
	v_cndmask_b32_e64 v7, v7, v11, s[0:1]
.LBB18_47:
	s_or_b64 exec, exec, s[4:5]
	v_or_b32_e32 v11, 0x300, v0
	v_cmp_gt_i32_e64 s[0:1], s6, v11
                                        ; implicit-def: $vgpr11
	s_and_saveexec_b64 s[4:5], s[0:1]
	s_cbranch_execz .LBB18_51
; %bb.48:
	v_cvt_f32_f16_e32 v11, v4
	s_mov_b32 s0, 0x7f800000
	v_cmp_nlg_f32_e64 s[14:15], |v11|, s0
	s_and_saveexec_b64 s[0:1], s[14:15]
	s_cbranch_execz .LBB18_50
; %bb.49:
	v_mov_b32_e32 v12, 0
	v_mov_b32_e32 v13, 1.0
	global_store_dword v12, v13, s[8:9]
.LBB18_50:
	s_or_b64 exec, exec, s[0:1]
	v_mov_b32_e32 v12, 0
	global_load_dword v12, v12, s[10:11]
	s_waitcnt vmcnt(0)
	v_fma_mixlo_f16 v11, v12, v11, 0
	v_cmp_eq_f32_e64 s[0:1], 1.0, v12
	v_cndmask_b32_e64 v11, v11, v4, s[0:1]
.LBB18_51:
	s_or_b64 exec, exec, s[4:5]
	v_or_b32_e32 v4, 0x400, v0
	v_cmp_gt_i32_e64 s[0:1], s6, v4
                                        ; implicit-def: $vgpr4
	s_and_saveexec_b64 s[4:5], s[0:1]
	s_cbranch_execz .LBB18_55
; %bb.52:
	v_cvt_f32_f16_e32 v4, v10
	s_mov_b32 s0, 0x7f800000
	v_cmp_nlg_f32_e64 s[14:15], |v4|, s0
	s_and_saveexec_b64 s[0:1], s[14:15]
	s_cbranch_execz .LBB18_54
; %bb.53:
	v_mov_b32_e32 v12, 0
	v_mov_b32_e32 v13, 1.0
	global_store_dword v12, v13, s[8:9]
.LBB18_54:
	s_or_b64 exec, exec, s[0:1]
	v_mov_b32_e32 v12, 0
	global_load_dword v12, v12, s[10:11]
	s_waitcnt vmcnt(0)
	v_fma_mixlo_f16 v4, v12, v4, 0
	v_cmp_eq_f32_e64 s[0:1], 1.0, v12
	v_cndmask_b32_e64 v4, v4, v10, s[0:1]
.LBB18_55:
	s_or_b64 exec, exec, s[4:5]
	v_or_b32_e32 v10, 0x500, v0
	v_cmp_gt_i32_e64 s[0:1], s6, v10
                                        ; implicit-def: $vgpr10
	s_and_saveexec_b64 s[4:5], s[0:1]
	s_cbranch_execz .LBB18_59
; %bb.56:
	v_cvt_f32_f16_e32 v10, v3
	s_mov_b32 s0, 0x7f800000
	v_cmp_nlg_f32_e64 s[14:15], |v10|, s0
	s_and_saveexec_b64 s[0:1], s[14:15]
	s_cbranch_execz .LBB18_58
; %bb.57:
	v_mov_b32_e32 v12, 0
	v_mov_b32_e32 v13, 1.0
	global_store_dword v12, v13, s[8:9]
.LBB18_58:
	s_or_b64 exec, exec, s[0:1]
	v_mov_b32_e32 v12, 0
	global_load_dword v12, v12, s[10:11]
	s_waitcnt vmcnt(0)
	v_fma_mixlo_f16 v10, v12, v10, 0
	v_cmp_eq_f32_e64 s[0:1], 1.0, v12
	v_cndmask_b32_e64 v10, v10, v3, s[0:1]
.LBB18_59:
	s_or_b64 exec, exec, s[4:5]
	v_or_b32_e32 v3, 0x600, v0
	v_cmp_gt_i32_e64 s[0:1], s6, v3
                                        ; implicit-def: $vgpr12
	s_and_saveexec_b64 s[4:5], s[0:1]
	s_cbranch_execz .LBB18_63
; %bb.60:
	v_cvt_f32_f16_e32 v3, v6
	s_mov_b32 s0, 0x7f800000
	v_cmp_nlg_f32_e64 s[14:15], |v3|, s0
	s_and_saveexec_b64 s[0:1], s[14:15]
	s_cbranch_execz .LBB18_62
; %bb.61:
	v_mov_b32_e32 v12, 0
	v_mov_b32_e32 v13, 1.0
	global_store_dword v12, v13, s[8:9]
.LBB18_62:
	s_or_b64 exec, exec, s[0:1]
	v_mov_b32_e32 v12, 0
	global_load_dword v12, v12, s[10:11]
	s_waitcnt vmcnt(0)
	v_fma_mixlo_f16 v3, v12, v3, 0
	v_cmp_eq_f32_e64 s[0:1], 1.0, v12
	v_cndmask_b32_e64 v12, v3, v6, s[0:1]
.LBB18_63:
	s_or_b64 exec, exec, s[4:5]
	v_or_b32_e32 v3, 0x700, v0
	v_cmp_gt_i32_e64 s[0:1], s6, v3
                                        ; implicit-def: $vgpr6
	s_and_saveexec_b64 s[4:5], s[0:1]
	s_cbranch_execnz .LBB18_74
; %bb.64:
	s_or_b64 exec, exec, s[4:5]
	s_and_saveexec_b64 s[0:1], vcc
	s_xor_b64 s[0:1], exec, s[0:1]
	s_cbranch_execnz .LBB18_77
.LBB18_65:
	s_or_b64 exec, exec, s[0:1]
	v_cmp_gt_i32_e32 vcc, s6, v0
	s_and_saveexec_b64 s[0:1], vcc
	s_cbranch_execnz .LBB18_78
.LBB18_66:
	s_or_b64 exec, exec, s[0:1]
	v_cmp_gt_i32_e32 vcc, s6, v0
	s_and_saveexec_b64 s[0:1], vcc
	s_cbranch_execnz .LBB18_79
.LBB18_67:
	s_or_b64 exec, exec, s[0:1]
	v_cmp_gt_i32_e32 vcc, s6, v0
	s_and_saveexec_b64 s[0:1], vcc
	s_cbranch_execnz .LBB18_80
.LBB18_68:
	s_or_b64 exec, exec, s[0:1]
	v_cmp_gt_i32_e32 vcc, s6, v0
	s_and_saveexec_b64 s[0:1], vcc
	s_cbranch_execnz .LBB18_81
.LBB18_69:
	s_or_b64 exec, exec, s[0:1]
	v_cmp_gt_i32_e32 vcc, s6, v0
	s_and_saveexec_b64 s[0:1], vcc
	s_cbranch_execnz .LBB18_82
.LBB18_70:
	s_or_b64 exec, exec, s[0:1]
	v_cmp_gt_i32_e32 vcc, s6, v0
	s_and_saveexec_b64 s[0:1], vcc
	s_cbranch_execnz .LBB18_83
.LBB18_71:
	s_or_b64 exec, exec, s[0:1]
	v_cmp_gt_i32_e32 vcc, s6, v0
	s_and_saveexec_b64 s[0:1], vcc
	s_cbranch_execz .LBB18_73
.LBB18_72:
	v_add_u32_e32 v0, s2, v0
	v_mov_b32_e32 v1, 0
	v_lshlrev_b64 v[0:1], 1, v[0:1]
	v_mov_b32_e32 v2, s13
	v_add_co_u32_e32 v0, vcc, s12, v0
	v_addc_co_u32_e32 v1, vcc, v2, v1, vcc
	global_store_short v[0:1], v6, off
.LBB18_73:
	s_endpgm
.LBB18_74:
	v_cvt_f32_f16_e32 v3, v1
	s_mov_b32 s0, 0x7f800000
	v_cmp_nlg_f32_e64 s[14:15], |v3|, s0
	s_and_saveexec_b64 s[0:1], s[14:15]
	s_cbranch_execz .LBB18_76
; %bb.75:
	v_mov_b32_e32 v6, 0
	v_mov_b32_e32 v13, 1.0
	global_store_dword v6, v13, s[8:9]
.LBB18_76:
	s_or_b64 exec, exec, s[0:1]
	v_mov_b32_e32 v6, 0
	global_load_dword v6, v6, s[10:11]
	s_waitcnt vmcnt(0)
	v_fma_mixlo_f16 v3, v6, v3, 0
	v_cmp_eq_f32_e64 s[0:1], 1.0, v6
	v_cndmask_b32_e64 v6, v3, v1, s[0:1]
	s_or_b64 exec, exec, s[4:5]
	s_and_saveexec_b64 s[0:1], vcc
	s_xor_b64 s[0:1], exec, s[0:1]
	s_cbranch_execz .LBB18_65
.LBB18_77:
	v_mov_b32_e32 v3, 0
	v_lshlrev_b64 v[0:1], 1, v[2:3]
	v_mov_b32_e32 v2, s13
	v_add_co_u32_e32 v0, vcc, s12, v0
	v_addc_co_u32_e32 v1, vcc, v2, v1, vcc
	global_store_short v[0:1], v5, off
	v_mov_b32_e32 v0, v9
	s_or_b64 exec, exec, s[0:1]
	v_cmp_gt_i32_e32 vcc, s6, v0
	s_and_saveexec_b64 s[0:1], vcc
	s_cbranch_execz .LBB18_66
.LBB18_78:
	v_add_u32_e32 v2, s2, v0
	v_mov_b32_e32 v3, 0
	v_lshlrev_b64 v[2:3], 1, v[2:3]
	v_mov_b32_e32 v1, s13
	v_add_co_u32_e32 v2, vcc, s12, v2
	v_addc_co_u32_e32 v3, vcc, v1, v3, vcc
	v_add_u32_e32 v0, 0x100, v0
	global_store_short v[2:3], v8, off
	s_or_b64 exec, exec, s[0:1]
	v_cmp_gt_i32_e32 vcc, s6, v0
	s_and_saveexec_b64 s[0:1], vcc
	s_cbranch_execz .LBB18_67
.LBB18_79:
	v_add_u32_e32 v2, s2, v0
	v_mov_b32_e32 v3, 0
	v_lshlrev_b64 v[2:3], 1, v[2:3]
	v_mov_b32_e32 v1, s13
	v_add_co_u32_e32 v2, vcc, s12, v2
	v_addc_co_u32_e32 v3, vcc, v1, v3, vcc
	v_add_u32_e32 v0, 0x100, v0
	global_store_short v[2:3], v7, off
	s_or_b64 exec, exec, s[0:1]
	v_cmp_gt_i32_e32 vcc, s6, v0
	s_and_saveexec_b64 s[0:1], vcc
	s_cbranch_execz .LBB18_68
.LBB18_80:
	v_add_u32_e32 v2, s2, v0
	v_mov_b32_e32 v3, 0
	v_lshlrev_b64 v[2:3], 1, v[2:3]
	v_mov_b32_e32 v1, s13
	v_add_co_u32_e32 v2, vcc, s12, v2
	v_addc_co_u32_e32 v3, vcc, v1, v3, vcc
	v_add_u32_e32 v0, 0x100, v0
	global_store_short v[2:3], v11, off
	s_or_b64 exec, exec, s[0:1]
	v_cmp_gt_i32_e32 vcc, s6, v0
	s_and_saveexec_b64 s[0:1], vcc
	s_cbranch_execz .LBB18_69
.LBB18_81:
	v_add_u32_e32 v2, s2, v0
	v_mov_b32_e32 v3, 0
	v_lshlrev_b64 v[2:3], 1, v[2:3]
	v_mov_b32_e32 v1, s13
	v_add_co_u32_e32 v2, vcc, s12, v2
	v_addc_co_u32_e32 v3, vcc, v1, v3, vcc
	v_add_u32_e32 v0, 0x100, v0
	global_store_short v[2:3], v4, off
	s_or_b64 exec, exec, s[0:1]
	v_cmp_gt_i32_e32 vcc, s6, v0
	s_and_saveexec_b64 s[0:1], vcc
	s_cbranch_execz .LBB18_70
.LBB18_82:
	v_add_u32_e32 v2, s2, v0
	v_mov_b32_e32 v3, 0
	v_lshlrev_b64 v[2:3], 1, v[2:3]
	v_mov_b32_e32 v1, s13
	v_add_co_u32_e32 v2, vcc, s12, v2
	v_addc_co_u32_e32 v3, vcc, v1, v3, vcc
	v_add_u32_e32 v0, 0x100, v0
	global_store_short v[2:3], v10, off
	s_or_b64 exec, exec, s[0:1]
	v_cmp_gt_i32_e32 vcc, s6, v0
	s_and_saveexec_b64 s[0:1], vcc
	s_cbranch_execz .LBB18_71
.LBB18_83:
	v_add_u32_e32 v2, s2, v0
	v_mov_b32_e32 v3, 0
	v_lshlrev_b64 v[2:3], 1, v[2:3]
	v_mov_b32_e32 v1, s13
	v_add_co_u32_e32 v2, vcc, s12, v2
	v_addc_co_u32_e32 v3, vcc, v1, v3, vcc
	v_add_u32_e32 v0, 0x100, v0
	global_store_short v[2:3], v12, off
	s_or_b64 exec, exec, s[0:1]
	v_cmp_gt_i32_e32 vcc, s6, v0
	s_and_saveexec_b64 s[0:1], vcc
	s_cbranch_execnz .LBB18_72
	s_branch .LBB18_73
	.section	.rodata,"a",@progbits
	.p2align	6, 0x0
	.amdhsa_kernel _ZN2at6native29vectorized_elementwise_kernelILi8EZZZNS0_12_GLOBAL__N_139_amp_non_finite_check_and_unscale_cuda_ERNS_6TensorES4_RKS3_ENKUlvE_clEvENKUlvE1_clEvEUlN3c104HalfEE_St5arrayIPcLm2EEEEviT0_T1_
		.amdhsa_group_segment_fixed_size 0
		.amdhsa_private_segment_fixed_size 0
		.amdhsa_kernarg_size 40
		.amdhsa_user_sgpr_count 6
		.amdhsa_user_sgpr_private_segment_buffer 1
		.amdhsa_user_sgpr_dispatch_ptr 0
		.amdhsa_user_sgpr_queue_ptr 0
		.amdhsa_user_sgpr_kernarg_segment_ptr 1
		.amdhsa_user_sgpr_dispatch_id 0
		.amdhsa_user_sgpr_flat_scratch_init 0
		.amdhsa_user_sgpr_kernarg_preload_length 0
		.amdhsa_user_sgpr_kernarg_preload_offset 0
		.amdhsa_user_sgpr_private_segment_size 0
		.amdhsa_uses_dynamic_stack 0
		.amdhsa_system_sgpr_private_segment_wavefront_offset 0
		.amdhsa_system_sgpr_workgroup_id_x 1
		.amdhsa_system_sgpr_workgroup_id_y 0
		.amdhsa_system_sgpr_workgroup_id_z 0
		.amdhsa_system_sgpr_workgroup_info 0
		.amdhsa_system_vgpr_workitem_id 0
		.amdhsa_next_free_vgpr 27
		.amdhsa_next_free_sgpr 18
		.amdhsa_accum_offset 28
		.amdhsa_reserve_vcc 1
		.amdhsa_reserve_flat_scratch 0
		.amdhsa_float_round_mode_32 0
		.amdhsa_float_round_mode_16_64 0
		.amdhsa_float_denorm_mode_32 3
		.amdhsa_float_denorm_mode_16_64 3
		.amdhsa_dx10_clamp 1
		.amdhsa_ieee_mode 1
		.amdhsa_fp16_overflow 0
		.amdhsa_tg_split 0
		.amdhsa_exception_fp_ieee_invalid_op 0
		.amdhsa_exception_fp_denorm_src 0
		.amdhsa_exception_fp_ieee_div_zero 0
		.amdhsa_exception_fp_ieee_overflow 0
		.amdhsa_exception_fp_ieee_underflow 0
		.amdhsa_exception_fp_ieee_inexact 0
		.amdhsa_exception_int_div_zero 0
	.end_amdhsa_kernel
	.section	.text._ZN2at6native29vectorized_elementwise_kernelILi8EZZZNS0_12_GLOBAL__N_139_amp_non_finite_check_and_unscale_cuda_ERNS_6TensorES4_RKS3_ENKUlvE_clEvENKUlvE1_clEvEUlN3c104HalfEE_St5arrayIPcLm2EEEEviT0_T1_,"axG",@progbits,_ZN2at6native29vectorized_elementwise_kernelILi8EZZZNS0_12_GLOBAL__N_139_amp_non_finite_check_and_unscale_cuda_ERNS_6TensorES4_RKS3_ENKUlvE_clEvENKUlvE1_clEvEUlN3c104HalfEE_St5arrayIPcLm2EEEEviT0_T1_,comdat
.Lfunc_end18:
	.size	_ZN2at6native29vectorized_elementwise_kernelILi8EZZZNS0_12_GLOBAL__N_139_amp_non_finite_check_and_unscale_cuda_ERNS_6TensorES4_RKS3_ENKUlvE_clEvENKUlvE1_clEvEUlN3c104HalfEE_St5arrayIPcLm2EEEEviT0_T1_, .Lfunc_end18-_ZN2at6native29vectorized_elementwise_kernelILi8EZZZNS0_12_GLOBAL__N_139_amp_non_finite_check_and_unscale_cuda_ERNS_6TensorES4_RKS3_ENKUlvE_clEvENKUlvE1_clEvEUlN3c104HalfEE_St5arrayIPcLm2EEEEviT0_T1_
                                        ; -- End function
	.section	.AMDGPU.csdata,"",@progbits
; Kernel info:
; codeLenInByte = 2892
; NumSgprs: 22
; NumVgprs: 27
; NumAgprs: 0
; TotalNumVgprs: 27
; ScratchSize: 0
; MemoryBound: 0
; FloatMode: 240
; IeeeMode: 1
; LDSByteSize: 0 bytes/workgroup (compile time only)
; SGPRBlocks: 2
; VGPRBlocks: 3
; NumSGPRsForWavesPerEU: 22
; NumVGPRsForWavesPerEU: 27
; AccumOffset: 28
; Occupancy: 8
; WaveLimiterHint : 0
; COMPUTE_PGM_RSRC2:SCRATCH_EN: 0
; COMPUTE_PGM_RSRC2:USER_SGPR: 6
; COMPUTE_PGM_RSRC2:TRAP_HANDLER: 0
; COMPUTE_PGM_RSRC2:TGID_X_EN: 1
; COMPUTE_PGM_RSRC2:TGID_Y_EN: 0
; COMPUTE_PGM_RSRC2:TGID_Z_EN: 0
; COMPUTE_PGM_RSRC2:TIDIG_COMP_CNT: 0
; COMPUTE_PGM_RSRC3_GFX90A:ACCUM_OFFSET: 6
; COMPUTE_PGM_RSRC3_GFX90A:TG_SPLIT: 0
	.section	.text._ZN2at6native29vectorized_elementwise_kernelILi4EZZZNS0_12_GLOBAL__N_139_amp_non_finite_check_and_unscale_cuda_ERNS_6TensorES4_RKS3_ENKUlvE_clEvENKUlvE1_clEvEUlN3c104HalfEE_St5arrayIPcLm2EEEEviT0_T1_,"axG",@progbits,_ZN2at6native29vectorized_elementwise_kernelILi4EZZZNS0_12_GLOBAL__N_139_amp_non_finite_check_and_unscale_cuda_ERNS_6TensorES4_RKS3_ENKUlvE_clEvENKUlvE1_clEvEUlN3c104HalfEE_St5arrayIPcLm2EEEEviT0_T1_,comdat
	.globl	_ZN2at6native29vectorized_elementwise_kernelILi4EZZZNS0_12_GLOBAL__N_139_amp_non_finite_check_and_unscale_cuda_ERNS_6TensorES4_RKS3_ENKUlvE_clEvENKUlvE1_clEvEUlN3c104HalfEE_St5arrayIPcLm2EEEEviT0_T1_ ; -- Begin function _ZN2at6native29vectorized_elementwise_kernelILi4EZZZNS0_12_GLOBAL__N_139_amp_non_finite_check_and_unscale_cuda_ERNS_6TensorES4_RKS3_ENKUlvE_clEvENKUlvE1_clEvEUlN3c104HalfEE_St5arrayIPcLm2EEEEviT0_T1_
	.p2align	8
	.type	_ZN2at6native29vectorized_elementwise_kernelILi4EZZZNS0_12_GLOBAL__N_139_amp_non_finite_check_and_unscale_cuda_ERNS_6TensorES4_RKS3_ENKUlvE_clEvENKUlvE1_clEvEUlN3c104HalfEE_St5arrayIPcLm2EEEEviT0_T1_,@function
_ZN2at6native29vectorized_elementwise_kernelILi4EZZZNS0_12_GLOBAL__N_139_amp_non_finite_check_and_unscale_cuda_ERNS_6TensorES4_RKS3_ENKUlvE_clEvENKUlvE1_clEvEUlN3c104HalfEE_St5arrayIPcLm2EEEEviT0_T1_: ; @_ZN2at6native29vectorized_elementwise_kernelILi4EZZZNS0_12_GLOBAL__N_139_amp_non_finite_check_and_unscale_cuda_ERNS_6TensorES4_RKS3_ENKUlvE_clEvENKUlvE1_clEvEUlN3c104HalfEE_St5arrayIPcLm2EEEEviT0_T1_
; %bb.0:
	s_load_dword s0, s[4:5], 0x0
	s_load_dwordx8 s[8:15], s[4:5], 0x8
	s_lshl_b32 s2, s6, 11
	s_waitcnt lgkmcnt(0)
	s_sub_i32 s6, s0, s2
	s_cmpk_gt_i32 s6, 0x7ff
	s_mov_b64 s[0:1], -1
	s_cbranch_scc0 .LBB19_18
; %bb.1:
	s_ashr_i32 s3, s2, 31
	s_lshl_b64 s[0:1], s[2:3], 1
	s_add_u32 s4, s14, s0
	s_addc_u32 s5, s15, s1
	v_lshlrev_b32_e32 v1, 3, v0
	global_load_dwordx2 v[2:3], v1, s[4:5]
	global_load_dwordx2 v[4:5], v1, s[4:5] offset:2048
	s_mov_b32 s3, 0x7f800000
	v_mov_b32_e32 v7, 0
	s_waitcnt vmcnt(1)
	v_cvt_f32_f16_e32 v6, v2
	v_cmp_nlg_f32_e64 s[16:17], |v6|, s3
	s_and_saveexec_b64 s[4:5], s[16:17]
	s_cbranch_execz .LBB19_3
; %bb.2:
	v_mov_b32_e32 v8, 1.0
	global_store_dword v7, v8, s[8:9]
.LBB19_3:
	s_or_b64 exec, exec, s[4:5]
	global_load_dword v7, v7, s[10:11]
	v_lshrrev_b32_e32 v8, 16, v2
	v_cvt_f32_f16_e32 v9, v8
	v_cmp_nlg_f32_e64 s[16:17], |v9|, s3
	s_waitcnt vmcnt(0)
	v_mov_b32_e32 v10, v7
	s_and_saveexec_b64 s[4:5], s[16:17]
	s_cbranch_execz .LBB19_5
; %bb.4:
	v_mov_b32_e32 v10, 0
	v_mov_b32_e32 v11, 1.0
	global_store_dword v10, v11, s[8:9]
	global_load_dword v10, v10, s[10:11]
.LBB19_5:
	s_or_b64 exec, exec, s[4:5]
	v_cvt_f32_f16_e32 v11, v3
	s_waitcnt vmcnt(0)
	v_mov_b32_e32 v12, v10
	v_cmp_nlg_f32_e64 s[16:17], |v11|, s3
	s_and_saveexec_b64 s[4:5], s[16:17]
	s_cbranch_execz .LBB19_7
; %bb.6:
	v_mov_b32_e32 v12, 0
	v_mov_b32_e32 v13, 1.0
	global_store_dword v12, v13, s[8:9]
	global_load_dword v12, v12, s[10:11]
.LBB19_7:
	s_or_b64 exec, exec, s[4:5]
	v_lshrrev_b32_e32 v13, 16, v3
	v_cvt_f32_f16_e32 v14, v13
	s_waitcnt vmcnt(0)
	v_mov_b32_e32 v15, v12
	v_cmp_nlg_f32_e64 s[16:17], |v14|, s3
	s_and_saveexec_b64 s[4:5], s[16:17]
	s_cbranch_execz .LBB19_9
; %bb.8:
	v_mov_b32_e32 v15, 0
	v_mov_b32_e32 v16, 1.0
	global_store_dword v15, v16, s[8:9]
	global_load_dword v15, v15, s[10:11]
.LBB19_9:
	s_or_b64 exec, exec, s[4:5]
	v_cvt_f32_f16_e32 v16, v4
	s_waitcnt vmcnt(0)
	v_mov_b32_e32 v17, v15
	v_cmp_nlg_f32_e64 s[16:17], |v16|, s3
	s_and_saveexec_b64 s[4:5], s[16:17]
	s_cbranch_execz .LBB19_11
; %bb.10:
	v_mov_b32_e32 v17, 0
	v_mov_b32_e32 v18, 1.0
	global_store_dword v17, v18, s[8:9]
	global_load_dword v17, v17, s[10:11]
.LBB19_11:
	s_or_b64 exec, exec, s[4:5]
	v_lshrrev_b32_e32 v18, 16, v4
	v_cvt_f32_f16_e32 v19, v18
	s_waitcnt vmcnt(0)
	v_mov_b32_e32 v20, v17
	v_cmp_nlg_f32_e64 s[16:17], |v19|, s3
	;; [unrolled: 27-line block ×3, first 2 shown]
	s_and_saveexec_b64 s[4:5], s[16:17]
	s_cbranch_execz .LBB19_17
; %bb.16:
	v_mov_b32_e32 v23, 0
	v_mov_b32_e32 v26, 1.0
	global_store_dword v23, v26, s[8:9]
	global_load_dword v23, v23, s[10:11]
.LBB19_17:
	s_or_b64 exec, exec, s[4:5]
	v_fma_mixlo_f16 v24, v25, v24, 0
	v_cmp_eq_f32_e32 vcc, 1.0, v25
	v_cndmask_b32_e32 v5, v24, v5, vcc
	v_fma_mixlo_f16 v19, v20, v19, 0
	v_cmp_eq_f32_e32 vcc, 1.0, v20
	v_cndmask_b32_e32 v18, v19, v18, vcc
	;; [unrolled: 3-line block ×7, first 2 shown]
	v_lshlrev_b32_e32 v8, 16, v8
	v_and_b32_e32 v2, 0xffff, v2
	s_add_u32 s0, s12, s0
	v_lshlrev_b32_e32 v7, 16, v13
	v_and_b32_e32 v3, 0xffff, v3
	v_or_b32_e32 v2, v8, v2
	s_waitcnt vmcnt(0)
	v_fma_mixlo_f16 v6, v23, v22, 0
	v_cmp_eq_f32_e32 vcc, 1.0, v23
	s_addc_u32 s1, s13, s1
	v_or3_b32 v3, v3, 0, v7
	v_or3_b32 v2, 0, v2, 0
	v_cndmask_b32_e32 v6, v6, v21, vcc
	global_store_dwordx2 v1, v[2:3], s[0:1]
	v_and_b32_e32 v3, 0xffff, v5
	v_lshlrev_b32_e32 v5, 16, v18
	v_and_b32_e32 v4, 0xffff, v4
	v_lshlrev_b32_e32 v2, 16, v6
	v_or_b32_e32 v4, v5, v4
	v_or3_b32 v3, v3, 0, v2
	v_or3_b32 v2, 0, v4, 0
	global_store_dwordx2 v1, v[2:3], s[0:1] offset:2048
	s_mov_b64 s[0:1], 0
.LBB19_18:
	s_and_b64 vcc, exec, s[0:1]
	s_cbranch_vccz .LBB19_73
; %bb.19:
	v_cmp_gt_i32_e32 vcc, s6, v0
	v_mov_b32_e32 v7, 0
	v_or_b32_e32 v2, s2, v0
	v_mov_b32_e32 v8, 0
	v_mov_b32_e32 v5, v0
	s_and_saveexec_b64 s[4:5], vcc
	s_cbranch_execz .LBB19_21
; %bb.20:
	v_mov_b32_e32 v3, 0
	v_lshlrev_b64 v[4:5], 1, v[2:3]
	v_mov_b32_e32 v1, s15
	v_add_co_u32_e64 v4, s[0:1], s14, v4
	v_addc_co_u32_e64 v5, s[0:1], v1, v5, s[0:1]
	global_load_ushort v8, v[4:5], off
	v_or_b32_e32 v5, 0x100, v0
.LBB19_21:
	s_or_b64 exec, exec, s[4:5]
	v_cmp_gt_i32_e64 s[0:1], s6, v5
	s_and_saveexec_b64 s[4:5], s[0:1]
	s_cbranch_execz .LBB19_23
; %bb.22:
	v_add_u32_e32 v6, s2, v5
	v_mov_b32_e32 v7, 0
	v_lshlrev_b64 v[6:7], 1, v[6:7]
	v_mov_b32_e32 v1, s15
	v_add_co_u32_e64 v6, s[0:1], s14, v6
	v_addc_co_u32_e64 v7, s[0:1], v1, v7, s[0:1]
	global_load_ushort v7, v[6:7], off
	v_add_u32_e32 v5, 0x100, v5
.LBB19_23:
	s_or_b64 exec, exec, s[4:5]
	v_cmp_gt_i32_e64 s[0:1], s6, v5
	v_mov_b32_e32 v4, 0
	v_mov_b32_e32 v11, 0
	s_and_saveexec_b64 s[4:5], s[0:1]
	s_cbranch_execz .LBB19_25
; %bb.24:
	v_add_u32_e32 v10, s2, v5
	v_mov_b32_e32 v11, 0
	v_lshlrev_b64 v[10:11], 1, v[10:11]
	v_mov_b32_e32 v1, s15
	v_add_co_u32_e64 v10, s[0:1], s14, v10
	v_addc_co_u32_e64 v11, s[0:1], v1, v11, s[0:1]
	global_load_ushort v11, v[10:11], off
	v_add_u32_e32 v5, 0x100, v5
.LBB19_25:
	s_or_b64 exec, exec, s[4:5]
	v_cmp_gt_i32_e64 s[0:1], s6, v5
	s_and_saveexec_b64 s[4:5], s[0:1]
	s_cbranch_execz .LBB19_27
; %bb.26:
	v_add_u32_e32 v12, s2, v5
	v_mov_b32_e32 v13, 0
	v_lshlrev_b64 v[12:13], 1, v[12:13]
	v_mov_b32_e32 v1, s15
	v_add_co_u32_e64 v12, s[0:1], s14, v12
	v_addc_co_u32_e64 v13, s[0:1], v1, v13, s[0:1]
	global_load_ushort v4, v[12:13], off
	v_add_u32_e32 v5, 0x100, v5
.LBB19_27:
	s_or_b64 exec, exec, s[4:5]
	v_cmp_gt_i32_e64 s[0:1], s6, v5
	v_mov_b32_e32 v3, 0
	v_mov_b32_e32 v10, 0
	s_and_saveexec_b64 s[4:5], s[0:1]
	s_cbranch_execz .LBB19_29
; %bb.28:
	v_add_u32_e32 v12, s2, v5
	v_mov_b32_e32 v13, 0
	v_lshlrev_b64 v[12:13], 1, v[12:13]
	v_mov_b32_e32 v1, s15
	v_add_co_u32_e64 v12, s[0:1], s14, v12
	v_addc_co_u32_e64 v13, s[0:1], v1, v13, s[0:1]
	global_load_ushort v10, v[12:13], off
	v_add_u32_e32 v5, 0x100, v5
.LBB19_29:
	s_or_b64 exec, exec, s[4:5]
	v_cmp_gt_i32_e64 s[0:1], s6, v5
	s_and_saveexec_b64 s[4:5], s[0:1]
	s_cbranch_execz .LBB19_31
; %bb.30:
	v_add_u32_e32 v12, s2, v5
	v_mov_b32_e32 v13, 0
	v_lshlrev_b64 v[12:13], 1, v[12:13]
	v_mov_b32_e32 v1, s15
	v_add_co_u32_e64 v12, s[0:1], s14, v12
	v_addc_co_u32_e64 v13, s[0:1], v1, v13, s[0:1]
	global_load_ushort v3, v[12:13], off
	v_add_u32_e32 v5, 0x100, v5
.LBB19_31:
	s_or_b64 exec, exec, s[4:5]
	v_cmp_gt_i32_e64 s[0:1], s6, v5
	v_mov_b32_e32 v1, 0
	v_mov_b32_e32 v6, 0
	s_and_saveexec_b64 s[4:5], s[0:1]
	s_cbranch_execnz .LBB19_34
; %bb.32:
	s_or_b64 exec, exec, s[4:5]
	v_cmp_gt_i32_e64 s[0:1], s6, v5
	s_and_saveexec_b64 s[4:5], s[0:1]
	s_cbranch_execnz .LBB19_35
.LBB19_33:
	s_or_b64 exec, exec, s[4:5]
                                        ; implicit-def: $vgpr5
	s_and_saveexec_b64 s[4:5], vcc
	s_cbranch_execnz .LBB19_36
	s_branch .LBB19_39
.LBB19_34:
	v_add_u32_e32 v12, s2, v5
	v_mov_b32_e32 v13, 0
	v_lshlrev_b64 v[12:13], 1, v[12:13]
	v_mov_b32_e32 v6, s15
	v_add_co_u32_e64 v12, s[0:1], s14, v12
	v_addc_co_u32_e64 v13, s[0:1], v6, v13, s[0:1]
	global_load_ushort v6, v[12:13], off
	v_add_u32_e32 v5, 0x100, v5
	s_or_b64 exec, exec, s[4:5]
	v_cmp_gt_i32_e64 s[0:1], s6, v5
	s_and_saveexec_b64 s[4:5], s[0:1]
	s_cbranch_execz .LBB19_33
.LBB19_35:
	v_add_u32_e32 v12, s2, v5
	v_mov_b32_e32 v13, 0
	v_lshlrev_b64 v[12:13], 1, v[12:13]
	v_mov_b32_e32 v1, s15
	v_add_co_u32_e64 v12, s[0:1], s14, v12
	v_addc_co_u32_e64 v13, s[0:1], v1, v13, s[0:1]
	global_load_ushort v1, v[12:13], off
	s_or_b64 exec, exec, s[4:5]
                                        ; implicit-def: $vgpr5
	s_and_saveexec_b64 s[4:5], vcc
	s_cbranch_execz .LBB19_39
.LBB19_36:
	s_waitcnt vmcnt(0)
	v_cvt_f32_f16_e32 v5, v8
	s_mov_b32 s0, 0x7f800000
	v_cmp_nlg_f32_e64 s[14:15], |v5|, s0
	s_and_saveexec_b64 s[0:1], s[14:15]
	s_cbranch_execz .LBB19_38
; %bb.37:
	v_mov_b32_e32 v9, 0
	v_mov_b32_e32 v12, 1.0
	global_store_dword v9, v12, s[8:9]
.LBB19_38:
	s_or_b64 exec, exec, s[0:1]
	v_mov_b32_e32 v9, 0
	global_load_dword v9, v9, s[10:11]
	s_waitcnt vmcnt(0)
	v_fma_mixlo_f16 v5, v9, v5, 0
	v_cmp_eq_f32_e64 s[0:1], 1.0, v9
	v_cndmask_b32_e64 v5, v5, v8, s[0:1]
.LBB19_39:
	s_or_b64 exec, exec, s[4:5]
	v_or_b32_e32 v9, 0x100, v0
	v_cmp_gt_i32_e64 s[0:1], s6, v9
                                        ; implicit-def: $vgpr8
	s_and_saveexec_b64 s[4:5], s[0:1]
	s_cbranch_execz .LBB19_43
; %bb.40:
	s_waitcnt vmcnt(0)
	v_cvt_f32_f16_e32 v8, v7
	s_mov_b32 s0, 0x7f800000
	v_cmp_nlg_f32_e64 s[14:15], |v8|, s0
	s_and_saveexec_b64 s[0:1], s[14:15]
	s_cbranch_execz .LBB19_42
; %bb.41:
	v_mov_b32_e32 v12, 0
	v_mov_b32_e32 v13, 1.0
	global_store_dword v12, v13, s[8:9]
.LBB19_42:
	s_or_b64 exec, exec, s[0:1]
	v_mov_b32_e32 v12, 0
	global_load_dword v12, v12, s[10:11]
	s_waitcnt vmcnt(0)
	v_fma_mixlo_f16 v8, v12, v8, 0
	v_cmp_eq_f32_e64 s[0:1], 1.0, v12
	v_cndmask_b32_e64 v8, v8, v7, s[0:1]
.LBB19_43:
	s_or_b64 exec, exec, s[4:5]
	s_waitcnt vmcnt(0)
	v_or_b32_e32 v7, 0x200, v0
	v_cmp_gt_i32_e64 s[0:1], s6, v7
                                        ; implicit-def: $vgpr7
	s_and_saveexec_b64 s[4:5], s[0:1]
	s_cbranch_execz .LBB19_47
; %bb.44:
	v_cvt_f32_f16_e32 v7, v11
	s_mov_b32 s0, 0x7f800000
	v_cmp_nlg_f32_e64 s[14:15], |v7|, s0
	s_and_saveexec_b64 s[0:1], s[14:15]
	s_cbranch_execz .LBB19_46
; %bb.45:
	v_mov_b32_e32 v12, 0
	v_mov_b32_e32 v13, 1.0
	global_store_dword v12, v13, s[8:9]
.LBB19_46:
	s_or_b64 exec, exec, s[0:1]
	v_mov_b32_e32 v12, 0
	global_load_dword v12, v12, s[10:11]
	s_waitcnt vmcnt(0)
	v_fma_mixlo_f16 v7, v12, v7, 0
	v_cmp_eq_f32_e64 s[0:1], 1.0, v12
	v_cndmask_b32_e64 v7, v7, v11, s[0:1]
.LBB19_47:
	s_or_b64 exec, exec, s[4:5]
	v_or_b32_e32 v11, 0x300, v0
	v_cmp_gt_i32_e64 s[0:1], s6, v11
                                        ; implicit-def: $vgpr11
	s_and_saveexec_b64 s[4:5], s[0:1]
	s_cbranch_execz .LBB19_51
; %bb.48:
	v_cvt_f32_f16_e32 v11, v4
	s_mov_b32 s0, 0x7f800000
	v_cmp_nlg_f32_e64 s[14:15], |v11|, s0
	s_and_saveexec_b64 s[0:1], s[14:15]
	s_cbranch_execz .LBB19_50
; %bb.49:
	v_mov_b32_e32 v12, 0
	v_mov_b32_e32 v13, 1.0
	global_store_dword v12, v13, s[8:9]
.LBB19_50:
	s_or_b64 exec, exec, s[0:1]
	v_mov_b32_e32 v12, 0
	global_load_dword v12, v12, s[10:11]
	s_waitcnt vmcnt(0)
	v_fma_mixlo_f16 v11, v12, v11, 0
	v_cmp_eq_f32_e64 s[0:1], 1.0, v12
	v_cndmask_b32_e64 v11, v11, v4, s[0:1]
.LBB19_51:
	s_or_b64 exec, exec, s[4:5]
	v_or_b32_e32 v4, 0x400, v0
	v_cmp_gt_i32_e64 s[0:1], s6, v4
                                        ; implicit-def: $vgpr4
	s_and_saveexec_b64 s[4:5], s[0:1]
	s_cbranch_execz .LBB19_55
; %bb.52:
	v_cvt_f32_f16_e32 v4, v10
	s_mov_b32 s0, 0x7f800000
	v_cmp_nlg_f32_e64 s[14:15], |v4|, s0
	s_and_saveexec_b64 s[0:1], s[14:15]
	s_cbranch_execz .LBB19_54
; %bb.53:
	v_mov_b32_e32 v12, 0
	v_mov_b32_e32 v13, 1.0
	global_store_dword v12, v13, s[8:9]
.LBB19_54:
	s_or_b64 exec, exec, s[0:1]
	v_mov_b32_e32 v12, 0
	global_load_dword v12, v12, s[10:11]
	s_waitcnt vmcnt(0)
	v_fma_mixlo_f16 v4, v12, v4, 0
	v_cmp_eq_f32_e64 s[0:1], 1.0, v12
	v_cndmask_b32_e64 v4, v4, v10, s[0:1]
.LBB19_55:
	s_or_b64 exec, exec, s[4:5]
	v_or_b32_e32 v10, 0x500, v0
	v_cmp_gt_i32_e64 s[0:1], s6, v10
                                        ; implicit-def: $vgpr10
	s_and_saveexec_b64 s[4:5], s[0:1]
	s_cbranch_execz .LBB19_59
; %bb.56:
	v_cvt_f32_f16_e32 v10, v3
	s_mov_b32 s0, 0x7f800000
	v_cmp_nlg_f32_e64 s[14:15], |v10|, s0
	s_and_saveexec_b64 s[0:1], s[14:15]
	s_cbranch_execz .LBB19_58
; %bb.57:
	v_mov_b32_e32 v12, 0
	v_mov_b32_e32 v13, 1.0
	global_store_dword v12, v13, s[8:9]
.LBB19_58:
	s_or_b64 exec, exec, s[0:1]
	v_mov_b32_e32 v12, 0
	global_load_dword v12, v12, s[10:11]
	s_waitcnt vmcnt(0)
	v_fma_mixlo_f16 v10, v12, v10, 0
	v_cmp_eq_f32_e64 s[0:1], 1.0, v12
	v_cndmask_b32_e64 v10, v10, v3, s[0:1]
.LBB19_59:
	s_or_b64 exec, exec, s[4:5]
	v_or_b32_e32 v3, 0x600, v0
	v_cmp_gt_i32_e64 s[0:1], s6, v3
                                        ; implicit-def: $vgpr12
	s_and_saveexec_b64 s[4:5], s[0:1]
	s_cbranch_execz .LBB19_63
; %bb.60:
	v_cvt_f32_f16_e32 v3, v6
	s_mov_b32 s0, 0x7f800000
	v_cmp_nlg_f32_e64 s[14:15], |v3|, s0
	s_and_saveexec_b64 s[0:1], s[14:15]
	s_cbranch_execz .LBB19_62
; %bb.61:
	v_mov_b32_e32 v12, 0
	v_mov_b32_e32 v13, 1.0
	global_store_dword v12, v13, s[8:9]
.LBB19_62:
	s_or_b64 exec, exec, s[0:1]
	v_mov_b32_e32 v12, 0
	global_load_dword v12, v12, s[10:11]
	s_waitcnt vmcnt(0)
	v_fma_mixlo_f16 v3, v12, v3, 0
	v_cmp_eq_f32_e64 s[0:1], 1.0, v12
	v_cndmask_b32_e64 v12, v3, v6, s[0:1]
.LBB19_63:
	s_or_b64 exec, exec, s[4:5]
	v_or_b32_e32 v3, 0x700, v0
	v_cmp_gt_i32_e64 s[0:1], s6, v3
                                        ; implicit-def: $vgpr6
	s_and_saveexec_b64 s[4:5], s[0:1]
	s_cbranch_execnz .LBB19_74
; %bb.64:
	s_or_b64 exec, exec, s[4:5]
	s_and_saveexec_b64 s[0:1], vcc
	s_xor_b64 s[0:1], exec, s[0:1]
	s_cbranch_execnz .LBB19_77
.LBB19_65:
	s_or_b64 exec, exec, s[0:1]
	v_cmp_gt_i32_e32 vcc, s6, v0
	s_and_saveexec_b64 s[0:1], vcc
	s_cbranch_execnz .LBB19_78
.LBB19_66:
	s_or_b64 exec, exec, s[0:1]
	v_cmp_gt_i32_e32 vcc, s6, v0
	s_and_saveexec_b64 s[0:1], vcc
	s_cbranch_execnz .LBB19_79
.LBB19_67:
	s_or_b64 exec, exec, s[0:1]
	v_cmp_gt_i32_e32 vcc, s6, v0
	s_and_saveexec_b64 s[0:1], vcc
	s_cbranch_execnz .LBB19_80
.LBB19_68:
	s_or_b64 exec, exec, s[0:1]
	v_cmp_gt_i32_e32 vcc, s6, v0
	s_and_saveexec_b64 s[0:1], vcc
	s_cbranch_execnz .LBB19_81
.LBB19_69:
	s_or_b64 exec, exec, s[0:1]
	v_cmp_gt_i32_e32 vcc, s6, v0
	s_and_saveexec_b64 s[0:1], vcc
	s_cbranch_execnz .LBB19_82
.LBB19_70:
	s_or_b64 exec, exec, s[0:1]
	v_cmp_gt_i32_e32 vcc, s6, v0
	s_and_saveexec_b64 s[0:1], vcc
	s_cbranch_execnz .LBB19_83
.LBB19_71:
	s_or_b64 exec, exec, s[0:1]
	v_cmp_gt_i32_e32 vcc, s6, v0
	s_and_saveexec_b64 s[0:1], vcc
	s_cbranch_execz .LBB19_73
.LBB19_72:
	v_add_u32_e32 v0, s2, v0
	v_mov_b32_e32 v1, 0
	v_lshlrev_b64 v[0:1], 1, v[0:1]
	v_mov_b32_e32 v2, s13
	v_add_co_u32_e32 v0, vcc, s12, v0
	v_addc_co_u32_e32 v1, vcc, v2, v1, vcc
	global_store_short v[0:1], v6, off
.LBB19_73:
	s_endpgm
.LBB19_74:
	v_cvt_f32_f16_e32 v3, v1
	s_mov_b32 s0, 0x7f800000
	v_cmp_nlg_f32_e64 s[14:15], |v3|, s0
	s_and_saveexec_b64 s[0:1], s[14:15]
	s_cbranch_execz .LBB19_76
; %bb.75:
	v_mov_b32_e32 v6, 0
	v_mov_b32_e32 v13, 1.0
	global_store_dword v6, v13, s[8:9]
.LBB19_76:
	s_or_b64 exec, exec, s[0:1]
	v_mov_b32_e32 v6, 0
	global_load_dword v6, v6, s[10:11]
	s_waitcnt vmcnt(0)
	v_fma_mixlo_f16 v3, v6, v3, 0
	v_cmp_eq_f32_e64 s[0:1], 1.0, v6
	v_cndmask_b32_e64 v6, v3, v1, s[0:1]
	s_or_b64 exec, exec, s[4:5]
	s_and_saveexec_b64 s[0:1], vcc
	s_xor_b64 s[0:1], exec, s[0:1]
	s_cbranch_execz .LBB19_65
.LBB19_77:
	v_mov_b32_e32 v3, 0
	v_lshlrev_b64 v[0:1], 1, v[2:3]
	v_mov_b32_e32 v2, s13
	v_add_co_u32_e32 v0, vcc, s12, v0
	v_addc_co_u32_e32 v1, vcc, v2, v1, vcc
	global_store_short v[0:1], v5, off
	v_mov_b32_e32 v0, v9
	s_or_b64 exec, exec, s[0:1]
	v_cmp_gt_i32_e32 vcc, s6, v0
	s_and_saveexec_b64 s[0:1], vcc
	s_cbranch_execz .LBB19_66
.LBB19_78:
	v_add_u32_e32 v2, s2, v0
	v_mov_b32_e32 v3, 0
	v_lshlrev_b64 v[2:3], 1, v[2:3]
	v_mov_b32_e32 v1, s13
	v_add_co_u32_e32 v2, vcc, s12, v2
	v_addc_co_u32_e32 v3, vcc, v1, v3, vcc
	v_add_u32_e32 v0, 0x100, v0
	global_store_short v[2:3], v8, off
	s_or_b64 exec, exec, s[0:1]
	v_cmp_gt_i32_e32 vcc, s6, v0
	s_and_saveexec_b64 s[0:1], vcc
	s_cbranch_execz .LBB19_67
.LBB19_79:
	v_add_u32_e32 v2, s2, v0
	v_mov_b32_e32 v3, 0
	v_lshlrev_b64 v[2:3], 1, v[2:3]
	v_mov_b32_e32 v1, s13
	v_add_co_u32_e32 v2, vcc, s12, v2
	v_addc_co_u32_e32 v3, vcc, v1, v3, vcc
	v_add_u32_e32 v0, 0x100, v0
	global_store_short v[2:3], v7, off
	s_or_b64 exec, exec, s[0:1]
	v_cmp_gt_i32_e32 vcc, s6, v0
	s_and_saveexec_b64 s[0:1], vcc
	s_cbranch_execz .LBB19_68
.LBB19_80:
	v_add_u32_e32 v2, s2, v0
	v_mov_b32_e32 v3, 0
	v_lshlrev_b64 v[2:3], 1, v[2:3]
	v_mov_b32_e32 v1, s13
	v_add_co_u32_e32 v2, vcc, s12, v2
	v_addc_co_u32_e32 v3, vcc, v1, v3, vcc
	v_add_u32_e32 v0, 0x100, v0
	global_store_short v[2:3], v11, off
	s_or_b64 exec, exec, s[0:1]
	v_cmp_gt_i32_e32 vcc, s6, v0
	s_and_saveexec_b64 s[0:1], vcc
	s_cbranch_execz .LBB19_69
.LBB19_81:
	v_add_u32_e32 v2, s2, v0
	v_mov_b32_e32 v3, 0
	v_lshlrev_b64 v[2:3], 1, v[2:3]
	v_mov_b32_e32 v1, s13
	v_add_co_u32_e32 v2, vcc, s12, v2
	v_addc_co_u32_e32 v3, vcc, v1, v3, vcc
	v_add_u32_e32 v0, 0x100, v0
	global_store_short v[2:3], v4, off
	s_or_b64 exec, exec, s[0:1]
	v_cmp_gt_i32_e32 vcc, s6, v0
	s_and_saveexec_b64 s[0:1], vcc
	s_cbranch_execz .LBB19_70
.LBB19_82:
	v_add_u32_e32 v2, s2, v0
	v_mov_b32_e32 v3, 0
	v_lshlrev_b64 v[2:3], 1, v[2:3]
	v_mov_b32_e32 v1, s13
	v_add_co_u32_e32 v2, vcc, s12, v2
	v_addc_co_u32_e32 v3, vcc, v1, v3, vcc
	v_add_u32_e32 v0, 0x100, v0
	global_store_short v[2:3], v10, off
	s_or_b64 exec, exec, s[0:1]
	v_cmp_gt_i32_e32 vcc, s6, v0
	s_and_saveexec_b64 s[0:1], vcc
	s_cbranch_execz .LBB19_71
.LBB19_83:
	v_add_u32_e32 v2, s2, v0
	v_mov_b32_e32 v3, 0
	v_lshlrev_b64 v[2:3], 1, v[2:3]
	v_mov_b32_e32 v1, s13
	v_add_co_u32_e32 v2, vcc, s12, v2
	v_addc_co_u32_e32 v3, vcc, v1, v3, vcc
	v_add_u32_e32 v0, 0x100, v0
	global_store_short v[2:3], v12, off
	s_or_b64 exec, exec, s[0:1]
	v_cmp_gt_i32_e32 vcc, s6, v0
	s_and_saveexec_b64 s[0:1], vcc
	s_cbranch_execnz .LBB19_72
	s_branch .LBB19_73
	.section	.rodata,"a",@progbits
	.p2align	6, 0x0
	.amdhsa_kernel _ZN2at6native29vectorized_elementwise_kernelILi4EZZZNS0_12_GLOBAL__N_139_amp_non_finite_check_and_unscale_cuda_ERNS_6TensorES4_RKS3_ENKUlvE_clEvENKUlvE1_clEvEUlN3c104HalfEE_St5arrayIPcLm2EEEEviT0_T1_
		.amdhsa_group_segment_fixed_size 0
		.amdhsa_private_segment_fixed_size 0
		.amdhsa_kernarg_size 40
		.amdhsa_user_sgpr_count 6
		.amdhsa_user_sgpr_private_segment_buffer 1
		.amdhsa_user_sgpr_dispatch_ptr 0
		.amdhsa_user_sgpr_queue_ptr 0
		.amdhsa_user_sgpr_kernarg_segment_ptr 1
		.amdhsa_user_sgpr_dispatch_id 0
		.amdhsa_user_sgpr_flat_scratch_init 0
		.amdhsa_user_sgpr_kernarg_preload_length 0
		.amdhsa_user_sgpr_kernarg_preload_offset 0
		.amdhsa_user_sgpr_private_segment_size 0
		.amdhsa_uses_dynamic_stack 0
		.amdhsa_system_sgpr_private_segment_wavefront_offset 0
		.amdhsa_system_sgpr_workgroup_id_x 1
		.amdhsa_system_sgpr_workgroup_id_y 0
		.amdhsa_system_sgpr_workgroup_id_z 0
		.amdhsa_system_sgpr_workgroup_info 0
		.amdhsa_system_vgpr_workitem_id 0
		.amdhsa_next_free_vgpr 27
		.amdhsa_next_free_sgpr 18
		.amdhsa_accum_offset 28
		.amdhsa_reserve_vcc 1
		.amdhsa_reserve_flat_scratch 0
		.amdhsa_float_round_mode_32 0
		.amdhsa_float_round_mode_16_64 0
		.amdhsa_float_denorm_mode_32 3
		.amdhsa_float_denorm_mode_16_64 3
		.amdhsa_dx10_clamp 1
		.amdhsa_ieee_mode 1
		.amdhsa_fp16_overflow 0
		.amdhsa_tg_split 0
		.amdhsa_exception_fp_ieee_invalid_op 0
		.amdhsa_exception_fp_denorm_src 0
		.amdhsa_exception_fp_ieee_div_zero 0
		.amdhsa_exception_fp_ieee_overflow 0
		.amdhsa_exception_fp_ieee_underflow 0
		.amdhsa_exception_fp_ieee_inexact 0
		.amdhsa_exception_int_div_zero 0
	.end_amdhsa_kernel
	.section	.text._ZN2at6native29vectorized_elementwise_kernelILi4EZZZNS0_12_GLOBAL__N_139_amp_non_finite_check_and_unscale_cuda_ERNS_6TensorES4_RKS3_ENKUlvE_clEvENKUlvE1_clEvEUlN3c104HalfEE_St5arrayIPcLm2EEEEviT0_T1_,"axG",@progbits,_ZN2at6native29vectorized_elementwise_kernelILi4EZZZNS0_12_GLOBAL__N_139_amp_non_finite_check_and_unscale_cuda_ERNS_6TensorES4_RKS3_ENKUlvE_clEvENKUlvE1_clEvEUlN3c104HalfEE_St5arrayIPcLm2EEEEviT0_T1_,comdat
.Lfunc_end19:
	.size	_ZN2at6native29vectorized_elementwise_kernelILi4EZZZNS0_12_GLOBAL__N_139_amp_non_finite_check_and_unscale_cuda_ERNS_6TensorES4_RKS3_ENKUlvE_clEvENKUlvE1_clEvEUlN3c104HalfEE_St5arrayIPcLm2EEEEviT0_T1_, .Lfunc_end19-_ZN2at6native29vectorized_elementwise_kernelILi4EZZZNS0_12_GLOBAL__N_139_amp_non_finite_check_and_unscale_cuda_ERNS_6TensorES4_RKS3_ENKUlvE_clEvENKUlvE1_clEvEUlN3c104HalfEE_St5arrayIPcLm2EEEEviT0_T1_
                                        ; -- End function
	.section	.AMDGPU.csdata,"",@progbits
; Kernel info:
; codeLenInByte = 2956
; NumSgprs: 22
; NumVgprs: 27
; NumAgprs: 0
; TotalNumVgprs: 27
; ScratchSize: 0
; MemoryBound: 0
; FloatMode: 240
; IeeeMode: 1
; LDSByteSize: 0 bytes/workgroup (compile time only)
; SGPRBlocks: 2
; VGPRBlocks: 3
; NumSGPRsForWavesPerEU: 22
; NumVGPRsForWavesPerEU: 27
; AccumOffset: 28
; Occupancy: 8
; WaveLimiterHint : 1
; COMPUTE_PGM_RSRC2:SCRATCH_EN: 0
; COMPUTE_PGM_RSRC2:USER_SGPR: 6
; COMPUTE_PGM_RSRC2:TRAP_HANDLER: 0
; COMPUTE_PGM_RSRC2:TGID_X_EN: 1
; COMPUTE_PGM_RSRC2:TGID_Y_EN: 0
; COMPUTE_PGM_RSRC2:TGID_Z_EN: 0
; COMPUTE_PGM_RSRC2:TIDIG_COMP_CNT: 0
; COMPUTE_PGM_RSRC3_GFX90A:ACCUM_OFFSET: 6
; COMPUTE_PGM_RSRC3_GFX90A:TG_SPLIT: 0
	.section	.text._ZN2at6native29vectorized_elementwise_kernelILi2EZZZNS0_12_GLOBAL__N_139_amp_non_finite_check_and_unscale_cuda_ERNS_6TensorES4_RKS3_ENKUlvE_clEvENKUlvE1_clEvEUlN3c104HalfEE_St5arrayIPcLm2EEEEviT0_T1_,"axG",@progbits,_ZN2at6native29vectorized_elementwise_kernelILi2EZZZNS0_12_GLOBAL__N_139_amp_non_finite_check_and_unscale_cuda_ERNS_6TensorES4_RKS3_ENKUlvE_clEvENKUlvE1_clEvEUlN3c104HalfEE_St5arrayIPcLm2EEEEviT0_T1_,comdat
	.globl	_ZN2at6native29vectorized_elementwise_kernelILi2EZZZNS0_12_GLOBAL__N_139_amp_non_finite_check_and_unscale_cuda_ERNS_6TensorES4_RKS3_ENKUlvE_clEvENKUlvE1_clEvEUlN3c104HalfEE_St5arrayIPcLm2EEEEviT0_T1_ ; -- Begin function _ZN2at6native29vectorized_elementwise_kernelILi2EZZZNS0_12_GLOBAL__N_139_amp_non_finite_check_and_unscale_cuda_ERNS_6TensorES4_RKS3_ENKUlvE_clEvENKUlvE1_clEvEUlN3c104HalfEE_St5arrayIPcLm2EEEEviT0_T1_
	.p2align	8
	.type	_ZN2at6native29vectorized_elementwise_kernelILi2EZZZNS0_12_GLOBAL__N_139_amp_non_finite_check_and_unscale_cuda_ERNS_6TensorES4_RKS3_ENKUlvE_clEvENKUlvE1_clEvEUlN3c104HalfEE_St5arrayIPcLm2EEEEviT0_T1_,@function
_ZN2at6native29vectorized_elementwise_kernelILi2EZZZNS0_12_GLOBAL__N_139_amp_non_finite_check_and_unscale_cuda_ERNS_6TensorES4_RKS3_ENKUlvE_clEvENKUlvE1_clEvEUlN3c104HalfEE_St5arrayIPcLm2EEEEviT0_T1_: ; @_ZN2at6native29vectorized_elementwise_kernelILi2EZZZNS0_12_GLOBAL__N_139_amp_non_finite_check_and_unscale_cuda_ERNS_6TensorES4_RKS3_ENKUlvE_clEvENKUlvE1_clEvEUlN3c104HalfEE_St5arrayIPcLm2EEEEviT0_T1_
; %bb.0:
	s_load_dword s0, s[4:5], 0x0
	s_load_dwordx8 s[8:15], s[4:5], 0x8
	s_lshl_b32 s2, s6, 11
	s_waitcnt lgkmcnt(0)
	s_sub_i32 s6, s0, s2
	s_cmpk_gt_i32 s6, 0x7ff
	s_mov_b64 s[0:1], -1
	s_cbranch_scc0 .LBB20_18
; %bb.1:
	s_ashr_i32 s3, s2, 31
	s_lshl_b64 s[0:1], s[2:3], 1
	s_add_u32 s4, s14, s0
	s_addc_u32 s5, s15, s1
	v_lshlrev_b32_e32 v1, 2, v0
	global_load_dword v2, v1, s[4:5]
	global_load_dword v4, v1, s[4:5] offset:1024
	global_load_dword v5, v1, s[4:5] offset:2048
	;; [unrolled: 1-line block ×3, first 2 shown]
	s_mov_b32 s3, 0x7f800000
	v_mov_b32_e32 v6, 0
	s_waitcnt vmcnt(3)
	v_cvt_f32_f16_e32 v3, v2
	v_cmp_nlg_f32_e64 s[16:17], |v3|, s3
	s_and_saveexec_b64 s[4:5], s[16:17]
	s_cbranch_execz .LBB20_3
; %bb.2:
	v_mov_b32_e32 v7, 1.0
	global_store_dword v6, v7, s[8:9]
.LBB20_3:
	s_or_b64 exec, exec, s[4:5]
	global_load_dword v6, v6, s[10:11]
	v_lshrrev_b32_e32 v7, 16, v2
	v_cvt_f32_f16_e32 v9, v7
	v_cmp_nlg_f32_e64 s[16:17], |v9|, s3
	s_waitcnt vmcnt(0)
	v_mov_b32_e32 v10, v6
	s_and_saveexec_b64 s[4:5], s[16:17]
	s_cbranch_execz .LBB20_5
; %bb.4:
	v_mov_b32_e32 v10, 0
	v_mov_b32_e32 v11, 1.0
	global_store_dword v10, v11, s[8:9]
	global_load_dword v10, v10, s[10:11]
.LBB20_5:
	s_or_b64 exec, exec, s[4:5]
	v_cvt_f32_f16_e32 v11, v4
	s_waitcnt vmcnt(0)
	v_mov_b32_e32 v12, v10
	v_cmp_nlg_f32_e64 s[16:17], |v11|, s3
	s_and_saveexec_b64 s[4:5], s[16:17]
	s_cbranch_execz .LBB20_7
; %bb.6:
	v_mov_b32_e32 v12, 0
	v_mov_b32_e32 v13, 1.0
	global_store_dword v12, v13, s[8:9]
	global_load_dword v12, v12, s[10:11]
.LBB20_7:
	s_or_b64 exec, exec, s[4:5]
	v_lshrrev_b32_e32 v13, 16, v4
	v_cvt_f32_f16_e32 v14, v13
	s_waitcnt vmcnt(0)
	v_mov_b32_e32 v15, v12
	v_cmp_nlg_f32_e64 s[16:17], |v14|, s3
	s_and_saveexec_b64 s[4:5], s[16:17]
	s_cbranch_execz .LBB20_9
; %bb.8:
	v_mov_b32_e32 v15, 0
	v_mov_b32_e32 v16, 1.0
	global_store_dword v15, v16, s[8:9]
	global_load_dword v15, v15, s[10:11]
.LBB20_9:
	s_or_b64 exec, exec, s[4:5]
	v_cvt_f32_f16_e32 v16, v5
	s_waitcnt vmcnt(0)
	v_mov_b32_e32 v17, v15
	v_cmp_nlg_f32_e64 s[16:17], |v16|, s3
	s_and_saveexec_b64 s[4:5], s[16:17]
	s_cbranch_execz .LBB20_11
; %bb.10:
	v_mov_b32_e32 v17, 0
	v_mov_b32_e32 v18, 1.0
	global_store_dword v17, v18, s[8:9]
	global_load_dword v17, v17, s[10:11]
.LBB20_11:
	s_or_b64 exec, exec, s[4:5]
	v_lshrrev_b32_e32 v18, 16, v5
	v_cvt_f32_f16_e32 v19, v18
	s_waitcnt vmcnt(0)
	v_mov_b32_e32 v20, v17
	v_cmp_nlg_f32_e64 s[16:17], |v19|, s3
	;; [unrolled: 27-line block ×3, first 2 shown]
	s_and_saveexec_b64 s[4:5], s[16:17]
	s_cbranch_execz .LBB20_17
; %bb.16:
	v_mov_b32_e32 v23, 0
	v_mov_b32_e32 v26, 1.0
	global_store_dword v23, v26, s[8:9]
	global_load_dword v23, v23, s[10:11]
.LBB20_17:
	s_or_b64 exec, exec, s[4:5]
	v_fma_mixlo_f16 v24, v25, v24, 0
	v_cmp_eq_f32_e32 vcc, 1.0, v25
	v_cndmask_b32_e32 v8, v24, v8, vcc
	v_fma_mixlo_f16 v19, v20, v19, 0
	v_cmp_eq_f32_e32 vcc, 1.0, v20
	v_cndmask_b32_e32 v18, v19, v18, vcc
	;; [unrolled: 3-line block ×7, first 2 shown]
	s_add_u32 s0, s12, s0
	v_lshlrev_b32_e32 v6, 16, v7
	s_addc_u32 s1, s13, s1
	v_or_b32_sdwa v2, v6, v2 dst_sel:DWORD dst_unused:UNUSED_PAD src0_sel:DWORD src1_sel:WORD_0
	global_store_dword v1, v2, s[0:1]
	v_lshlrev_b32_e32 v2, 16, v13
	v_or_b32_sdwa v2, v2, v4 dst_sel:DWORD dst_unused:UNUSED_PAD src0_sel:DWORD src1_sel:WORD_0
	s_waitcnt vmcnt(1)
	v_fma_mixlo_f16 v3, v23, v22, 0
	v_cmp_eq_f32_e32 vcc, 1.0, v23
	global_store_dword v1, v2, s[0:1] offset:1024
	v_lshlrev_b32_e32 v2, 16, v18
	v_cndmask_b32_e32 v3, v3, v21, vcc
	v_or_b32_sdwa v2, v2, v5 dst_sel:DWORD dst_unused:UNUSED_PAD src0_sel:DWORD src1_sel:WORD_0
	global_store_dword v1, v2, s[0:1] offset:2048
	v_lshlrev_b32_e32 v2, 16, v3
	v_or_b32_sdwa v2, v2, v8 dst_sel:DWORD dst_unused:UNUSED_PAD src0_sel:DWORD src1_sel:WORD_0
	global_store_dword v1, v2, s[0:1] offset:3072
	s_mov_b64 s[0:1], 0
.LBB20_18:
	s_and_b64 vcc, exec, s[0:1]
	s_cbranch_vccz .LBB20_73
; %bb.19:
	v_cmp_gt_i32_e32 vcc, s6, v0
	v_mov_b32_e32 v7, 0
	v_or_b32_e32 v2, s2, v0
	v_mov_b32_e32 v8, 0
	v_mov_b32_e32 v5, v0
	s_and_saveexec_b64 s[4:5], vcc
	s_cbranch_execz .LBB20_21
; %bb.20:
	v_mov_b32_e32 v3, 0
	v_lshlrev_b64 v[4:5], 1, v[2:3]
	v_mov_b32_e32 v1, s15
	v_add_co_u32_e64 v4, s[0:1], s14, v4
	v_addc_co_u32_e64 v5, s[0:1], v1, v5, s[0:1]
	global_load_ushort v8, v[4:5], off
	v_or_b32_e32 v5, 0x100, v0
.LBB20_21:
	s_or_b64 exec, exec, s[4:5]
	v_cmp_gt_i32_e64 s[0:1], s6, v5
	s_and_saveexec_b64 s[4:5], s[0:1]
	s_cbranch_execz .LBB20_23
; %bb.22:
	v_add_u32_e32 v6, s2, v5
	v_mov_b32_e32 v7, 0
	v_lshlrev_b64 v[6:7], 1, v[6:7]
	v_mov_b32_e32 v1, s15
	v_add_co_u32_e64 v6, s[0:1], s14, v6
	v_addc_co_u32_e64 v7, s[0:1], v1, v7, s[0:1]
	global_load_ushort v7, v[6:7], off
	v_add_u32_e32 v5, 0x100, v5
.LBB20_23:
	s_or_b64 exec, exec, s[4:5]
	v_cmp_gt_i32_e64 s[0:1], s6, v5
	v_mov_b32_e32 v4, 0
	v_mov_b32_e32 v11, 0
	s_and_saveexec_b64 s[4:5], s[0:1]
	s_cbranch_execz .LBB20_25
; %bb.24:
	v_add_u32_e32 v10, s2, v5
	v_mov_b32_e32 v11, 0
	v_lshlrev_b64 v[10:11], 1, v[10:11]
	v_mov_b32_e32 v1, s15
	v_add_co_u32_e64 v10, s[0:1], s14, v10
	v_addc_co_u32_e64 v11, s[0:1], v1, v11, s[0:1]
	global_load_ushort v11, v[10:11], off
	v_add_u32_e32 v5, 0x100, v5
.LBB20_25:
	s_or_b64 exec, exec, s[4:5]
	v_cmp_gt_i32_e64 s[0:1], s6, v5
	s_and_saveexec_b64 s[4:5], s[0:1]
	s_cbranch_execz .LBB20_27
; %bb.26:
	v_add_u32_e32 v12, s2, v5
	v_mov_b32_e32 v13, 0
	v_lshlrev_b64 v[12:13], 1, v[12:13]
	v_mov_b32_e32 v1, s15
	v_add_co_u32_e64 v12, s[0:1], s14, v12
	v_addc_co_u32_e64 v13, s[0:1], v1, v13, s[0:1]
	global_load_ushort v4, v[12:13], off
	v_add_u32_e32 v5, 0x100, v5
.LBB20_27:
	s_or_b64 exec, exec, s[4:5]
	v_cmp_gt_i32_e64 s[0:1], s6, v5
	v_mov_b32_e32 v3, 0
	v_mov_b32_e32 v10, 0
	s_and_saveexec_b64 s[4:5], s[0:1]
	s_cbranch_execz .LBB20_29
; %bb.28:
	v_add_u32_e32 v12, s2, v5
	v_mov_b32_e32 v13, 0
	v_lshlrev_b64 v[12:13], 1, v[12:13]
	v_mov_b32_e32 v1, s15
	v_add_co_u32_e64 v12, s[0:1], s14, v12
	v_addc_co_u32_e64 v13, s[0:1], v1, v13, s[0:1]
	global_load_ushort v10, v[12:13], off
	v_add_u32_e32 v5, 0x100, v5
.LBB20_29:
	s_or_b64 exec, exec, s[4:5]
	v_cmp_gt_i32_e64 s[0:1], s6, v5
	s_and_saveexec_b64 s[4:5], s[0:1]
	s_cbranch_execz .LBB20_31
; %bb.30:
	v_add_u32_e32 v12, s2, v5
	v_mov_b32_e32 v13, 0
	v_lshlrev_b64 v[12:13], 1, v[12:13]
	v_mov_b32_e32 v1, s15
	v_add_co_u32_e64 v12, s[0:1], s14, v12
	v_addc_co_u32_e64 v13, s[0:1], v1, v13, s[0:1]
	global_load_ushort v3, v[12:13], off
	v_add_u32_e32 v5, 0x100, v5
.LBB20_31:
	s_or_b64 exec, exec, s[4:5]
	v_cmp_gt_i32_e64 s[0:1], s6, v5
	v_mov_b32_e32 v1, 0
	v_mov_b32_e32 v6, 0
	s_and_saveexec_b64 s[4:5], s[0:1]
	s_cbranch_execnz .LBB20_34
; %bb.32:
	s_or_b64 exec, exec, s[4:5]
	v_cmp_gt_i32_e64 s[0:1], s6, v5
	s_and_saveexec_b64 s[4:5], s[0:1]
	s_cbranch_execnz .LBB20_35
.LBB20_33:
	s_or_b64 exec, exec, s[4:5]
                                        ; implicit-def: $vgpr5
	s_and_saveexec_b64 s[4:5], vcc
	s_cbranch_execnz .LBB20_36
	s_branch .LBB20_39
.LBB20_34:
	v_add_u32_e32 v12, s2, v5
	v_mov_b32_e32 v13, 0
	v_lshlrev_b64 v[12:13], 1, v[12:13]
	v_mov_b32_e32 v6, s15
	v_add_co_u32_e64 v12, s[0:1], s14, v12
	v_addc_co_u32_e64 v13, s[0:1], v6, v13, s[0:1]
	global_load_ushort v6, v[12:13], off
	v_add_u32_e32 v5, 0x100, v5
	s_or_b64 exec, exec, s[4:5]
	v_cmp_gt_i32_e64 s[0:1], s6, v5
	s_and_saveexec_b64 s[4:5], s[0:1]
	s_cbranch_execz .LBB20_33
.LBB20_35:
	v_add_u32_e32 v12, s2, v5
	v_mov_b32_e32 v13, 0
	v_lshlrev_b64 v[12:13], 1, v[12:13]
	v_mov_b32_e32 v1, s15
	v_add_co_u32_e64 v12, s[0:1], s14, v12
	v_addc_co_u32_e64 v13, s[0:1], v1, v13, s[0:1]
	global_load_ushort v1, v[12:13], off
	s_or_b64 exec, exec, s[4:5]
                                        ; implicit-def: $vgpr5
	s_and_saveexec_b64 s[4:5], vcc
	s_cbranch_execz .LBB20_39
.LBB20_36:
	s_waitcnt vmcnt(0)
	v_cvt_f32_f16_e32 v5, v8
	s_mov_b32 s0, 0x7f800000
	v_cmp_nlg_f32_e64 s[14:15], |v5|, s0
	s_and_saveexec_b64 s[0:1], s[14:15]
	s_cbranch_execz .LBB20_38
; %bb.37:
	v_mov_b32_e32 v9, 0
	v_mov_b32_e32 v12, 1.0
	global_store_dword v9, v12, s[8:9]
.LBB20_38:
	s_or_b64 exec, exec, s[0:1]
	v_mov_b32_e32 v9, 0
	global_load_dword v9, v9, s[10:11]
	s_waitcnt vmcnt(0)
	v_fma_mixlo_f16 v5, v9, v5, 0
	v_cmp_eq_f32_e64 s[0:1], 1.0, v9
	v_cndmask_b32_e64 v5, v5, v8, s[0:1]
.LBB20_39:
	s_or_b64 exec, exec, s[4:5]
	v_or_b32_e32 v9, 0x100, v0
	v_cmp_gt_i32_e64 s[0:1], s6, v9
                                        ; implicit-def: $vgpr8
	s_and_saveexec_b64 s[4:5], s[0:1]
	s_cbranch_execz .LBB20_43
; %bb.40:
	s_waitcnt vmcnt(0)
	v_cvt_f32_f16_e32 v8, v7
	s_mov_b32 s0, 0x7f800000
	v_cmp_nlg_f32_e64 s[14:15], |v8|, s0
	s_and_saveexec_b64 s[0:1], s[14:15]
	s_cbranch_execz .LBB20_42
; %bb.41:
	v_mov_b32_e32 v12, 0
	v_mov_b32_e32 v13, 1.0
	global_store_dword v12, v13, s[8:9]
.LBB20_42:
	s_or_b64 exec, exec, s[0:1]
	v_mov_b32_e32 v12, 0
	global_load_dword v12, v12, s[10:11]
	s_waitcnt vmcnt(0)
	v_fma_mixlo_f16 v8, v12, v8, 0
	v_cmp_eq_f32_e64 s[0:1], 1.0, v12
	v_cndmask_b32_e64 v8, v8, v7, s[0:1]
.LBB20_43:
	s_or_b64 exec, exec, s[4:5]
	s_waitcnt vmcnt(0)
	v_or_b32_e32 v7, 0x200, v0
	v_cmp_gt_i32_e64 s[0:1], s6, v7
                                        ; implicit-def: $vgpr7
	s_and_saveexec_b64 s[4:5], s[0:1]
	s_cbranch_execz .LBB20_47
; %bb.44:
	v_cvt_f32_f16_e32 v7, v11
	s_mov_b32 s0, 0x7f800000
	v_cmp_nlg_f32_e64 s[14:15], |v7|, s0
	s_and_saveexec_b64 s[0:1], s[14:15]
	s_cbranch_execz .LBB20_46
; %bb.45:
	v_mov_b32_e32 v12, 0
	v_mov_b32_e32 v13, 1.0
	global_store_dword v12, v13, s[8:9]
.LBB20_46:
	s_or_b64 exec, exec, s[0:1]
	v_mov_b32_e32 v12, 0
	global_load_dword v12, v12, s[10:11]
	s_waitcnt vmcnt(0)
	v_fma_mixlo_f16 v7, v12, v7, 0
	v_cmp_eq_f32_e64 s[0:1], 1.0, v12
	v_cndmask_b32_e64 v7, v7, v11, s[0:1]
.LBB20_47:
	s_or_b64 exec, exec, s[4:5]
	v_or_b32_e32 v11, 0x300, v0
	v_cmp_gt_i32_e64 s[0:1], s6, v11
                                        ; implicit-def: $vgpr11
	s_and_saveexec_b64 s[4:5], s[0:1]
	s_cbranch_execz .LBB20_51
; %bb.48:
	v_cvt_f32_f16_e32 v11, v4
	s_mov_b32 s0, 0x7f800000
	v_cmp_nlg_f32_e64 s[14:15], |v11|, s0
	s_and_saveexec_b64 s[0:1], s[14:15]
	s_cbranch_execz .LBB20_50
; %bb.49:
	v_mov_b32_e32 v12, 0
	v_mov_b32_e32 v13, 1.0
	global_store_dword v12, v13, s[8:9]
.LBB20_50:
	s_or_b64 exec, exec, s[0:1]
	v_mov_b32_e32 v12, 0
	global_load_dword v12, v12, s[10:11]
	s_waitcnt vmcnt(0)
	v_fma_mixlo_f16 v11, v12, v11, 0
	v_cmp_eq_f32_e64 s[0:1], 1.0, v12
	v_cndmask_b32_e64 v11, v11, v4, s[0:1]
.LBB20_51:
	s_or_b64 exec, exec, s[4:5]
	v_or_b32_e32 v4, 0x400, v0
	v_cmp_gt_i32_e64 s[0:1], s6, v4
                                        ; implicit-def: $vgpr4
	s_and_saveexec_b64 s[4:5], s[0:1]
	s_cbranch_execz .LBB20_55
; %bb.52:
	v_cvt_f32_f16_e32 v4, v10
	s_mov_b32 s0, 0x7f800000
	v_cmp_nlg_f32_e64 s[14:15], |v4|, s0
	s_and_saveexec_b64 s[0:1], s[14:15]
	s_cbranch_execz .LBB20_54
; %bb.53:
	v_mov_b32_e32 v12, 0
	v_mov_b32_e32 v13, 1.0
	global_store_dword v12, v13, s[8:9]
.LBB20_54:
	s_or_b64 exec, exec, s[0:1]
	v_mov_b32_e32 v12, 0
	global_load_dword v12, v12, s[10:11]
	s_waitcnt vmcnt(0)
	v_fma_mixlo_f16 v4, v12, v4, 0
	v_cmp_eq_f32_e64 s[0:1], 1.0, v12
	v_cndmask_b32_e64 v4, v4, v10, s[0:1]
.LBB20_55:
	s_or_b64 exec, exec, s[4:5]
	v_or_b32_e32 v10, 0x500, v0
	v_cmp_gt_i32_e64 s[0:1], s6, v10
                                        ; implicit-def: $vgpr10
	s_and_saveexec_b64 s[4:5], s[0:1]
	s_cbranch_execz .LBB20_59
; %bb.56:
	v_cvt_f32_f16_e32 v10, v3
	s_mov_b32 s0, 0x7f800000
	v_cmp_nlg_f32_e64 s[14:15], |v10|, s0
	s_and_saveexec_b64 s[0:1], s[14:15]
	s_cbranch_execz .LBB20_58
; %bb.57:
	v_mov_b32_e32 v12, 0
	v_mov_b32_e32 v13, 1.0
	global_store_dword v12, v13, s[8:9]
.LBB20_58:
	s_or_b64 exec, exec, s[0:1]
	v_mov_b32_e32 v12, 0
	global_load_dword v12, v12, s[10:11]
	s_waitcnt vmcnt(0)
	v_fma_mixlo_f16 v10, v12, v10, 0
	v_cmp_eq_f32_e64 s[0:1], 1.0, v12
	v_cndmask_b32_e64 v10, v10, v3, s[0:1]
.LBB20_59:
	s_or_b64 exec, exec, s[4:5]
	v_or_b32_e32 v3, 0x600, v0
	v_cmp_gt_i32_e64 s[0:1], s6, v3
                                        ; implicit-def: $vgpr12
	s_and_saveexec_b64 s[4:5], s[0:1]
	s_cbranch_execz .LBB20_63
; %bb.60:
	v_cvt_f32_f16_e32 v3, v6
	s_mov_b32 s0, 0x7f800000
	v_cmp_nlg_f32_e64 s[14:15], |v3|, s0
	s_and_saveexec_b64 s[0:1], s[14:15]
	s_cbranch_execz .LBB20_62
; %bb.61:
	v_mov_b32_e32 v12, 0
	v_mov_b32_e32 v13, 1.0
	global_store_dword v12, v13, s[8:9]
.LBB20_62:
	s_or_b64 exec, exec, s[0:1]
	v_mov_b32_e32 v12, 0
	global_load_dword v12, v12, s[10:11]
	s_waitcnt vmcnt(0)
	v_fma_mixlo_f16 v3, v12, v3, 0
	v_cmp_eq_f32_e64 s[0:1], 1.0, v12
	v_cndmask_b32_e64 v12, v3, v6, s[0:1]
.LBB20_63:
	s_or_b64 exec, exec, s[4:5]
	v_or_b32_e32 v3, 0x700, v0
	v_cmp_gt_i32_e64 s[0:1], s6, v3
                                        ; implicit-def: $vgpr6
	s_and_saveexec_b64 s[4:5], s[0:1]
	s_cbranch_execnz .LBB20_74
; %bb.64:
	s_or_b64 exec, exec, s[4:5]
	s_and_saveexec_b64 s[0:1], vcc
	s_xor_b64 s[0:1], exec, s[0:1]
	s_cbranch_execnz .LBB20_77
.LBB20_65:
	s_or_b64 exec, exec, s[0:1]
	v_cmp_gt_i32_e32 vcc, s6, v0
	s_and_saveexec_b64 s[0:1], vcc
	s_cbranch_execnz .LBB20_78
.LBB20_66:
	s_or_b64 exec, exec, s[0:1]
	v_cmp_gt_i32_e32 vcc, s6, v0
	s_and_saveexec_b64 s[0:1], vcc
	s_cbranch_execnz .LBB20_79
.LBB20_67:
	s_or_b64 exec, exec, s[0:1]
	v_cmp_gt_i32_e32 vcc, s6, v0
	s_and_saveexec_b64 s[0:1], vcc
	s_cbranch_execnz .LBB20_80
.LBB20_68:
	s_or_b64 exec, exec, s[0:1]
	v_cmp_gt_i32_e32 vcc, s6, v0
	s_and_saveexec_b64 s[0:1], vcc
	s_cbranch_execnz .LBB20_81
.LBB20_69:
	s_or_b64 exec, exec, s[0:1]
	v_cmp_gt_i32_e32 vcc, s6, v0
	s_and_saveexec_b64 s[0:1], vcc
	s_cbranch_execnz .LBB20_82
.LBB20_70:
	s_or_b64 exec, exec, s[0:1]
	v_cmp_gt_i32_e32 vcc, s6, v0
	s_and_saveexec_b64 s[0:1], vcc
	s_cbranch_execnz .LBB20_83
.LBB20_71:
	s_or_b64 exec, exec, s[0:1]
	v_cmp_gt_i32_e32 vcc, s6, v0
	s_and_saveexec_b64 s[0:1], vcc
	s_cbranch_execz .LBB20_73
.LBB20_72:
	v_add_u32_e32 v0, s2, v0
	v_mov_b32_e32 v1, 0
	v_lshlrev_b64 v[0:1], 1, v[0:1]
	v_mov_b32_e32 v2, s13
	v_add_co_u32_e32 v0, vcc, s12, v0
	v_addc_co_u32_e32 v1, vcc, v2, v1, vcc
	global_store_short v[0:1], v6, off
.LBB20_73:
	s_endpgm
.LBB20_74:
	v_cvt_f32_f16_e32 v3, v1
	s_mov_b32 s0, 0x7f800000
	v_cmp_nlg_f32_e64 s[14:15], |v3|, s0
	s_and_saveexec_b64 s[0:1], s[14:15]
	s_cbranch_execz .LBB20_76
; %bb.75:
	v_mov_b32_e32 v6, 0
	v_mov_b32_e32 v13, 1.0
	global_store_dword v6, v13, s[8:9]
.LBB20_76:
	s_or_b64 exec, exec, s[0:1]
	v_mov_b32_e32 v6, 0
	global_load_dword v6, v6, s[10:11]
	s_waitcnt vmcnt(0)
	v_fma_mixlo_f16 v3, v6, v3, 0
	v_cmp_eq_f32_e64 s[0:1], 1.0, v6
	v_cndmask_b32_e64 v6, v3, v1, s[0:1]
	s_or_b64 exec, exec, s[4:5]
	s_and_saveexec_b64 s[0:1], vcc
	s_xor_b64 s[0:1], exec, s[0:1]
	s_cbranch_execz .LBB20_65
.LBB20_77:
	v_mov_b32_e32 v3, 0
	v_lshlrev_b64 v[0:1], 1, v[2:3]
	v_mov_b32_e32 v2, s13
	v_add_co_u32_e32 v0, vcc, s12, v0
	v_addc_co_u32_e32 v1, vcc, v2, v1, vcc
	global_store_short v[0:1], v5, off
	v_mov_b32_e32 v0, v9
	s_or_b64 exec, exec, s[0:1]
	v_cmp_gt_i32_e32 vcc, s6, v0
	s_and_saveexec_b64 s[0:1], vcc
	s_cbranch_execz .LBB20_66
.LBB20_78:
	v_add_u32_e32 v2, s2, v0
	v_mov_b32_e32 v3, 0
	v_lshlrev_b64 v[2:3], 1, v[2:3]
	v_mov_b32_e32 v1, s13
	v_add_co_u32_e32 v2, vcc, s12, v2
	v_addc_co_u32_e32 v3, vcc, v1, v3, vcc
	v_add_u32_e32 v0, 0x100, v0
	global_store_short v[2:3], v8, off
	s_or_b64 exec, exec, s[0:1]
	v_cmp_gt_i32_e32 vcc, s6, v0
	s_and_saveexec_b64 s[0:1], vcc
	s_cbranch_execz .LBB20_67
.LBB20_79:
	v_add_u32_e32 v2, s2, v0
	v_mov_b32_e32 v3, 0
	v_lshlrev_b64 v[2:3], 1, v[2:3]
	v_mov_b32_e32 v1, s13
	v_add_co_u32_e32 v2, vcc, s12, v2
	v_addc_co_u32_e32 v3, vcc, v1, v3, vcc
	v_add_u32_e32 v0, 0x100, v0
	global_store_short v[2:3], v7, off
	s_or_b64 exec, exec, s[0:1]
	v_cmp_gt_i32_e32 vcc, s6, v0
	s_and_saveexec_b64 s[0:1], vcc
	s_cbranch_execz .LBB20_68
.LBB20_80:
	v_add_u32_e32 v2, s2, v0
	v_mov_b32_e32 v3, 0
	v_lshlrev_b64 v[2:3], 1, v[2:3]
	v_mov_b32_e32 v1, s13
	v_add_co_u32_e32 v2, vcc, s12, v2
	v_addc_co_u32_e32 v3, vcc, v1, v3, vcc
	v_add_u32_e32 v0, 0x100, v0
	global_store_short v[2:3], v11, off
	s_or_b64 exec, exec, s[0:1]
	v_cmp_gt_i32_e32 vcc, s6, v0
	s_and_saveexec_b64 s[0:1], vcc
	s_cbranch_execz .LBB20_69
.LBB20_81:
	v_add_u32_e32 v2, s2, v0
	v_mov_b32_e32 v3, 0
	v_lshlrev_b64 v[2:3], 1, v[2:3]
	v_mov_b32_e32 v1, s13
	v_add_co_u32_e32 v2, vcc, s12, v2
	v_addc_co_u32_e32 v3, vcc, v1, v3, vcc
	v_add_u32_e32 v0, 0x100, v0
	global_store_short v[2:3], v4, off
	s_or_b64 exec, exec, s[0:1]
	v_cmp_gt_i32_e32 vcc, s6, v0
	s_and_saveexec_b64 s[0:1], vcc
	s_cbranch_execz .LBB20_70
.LBB20_82:
	v_add_u32_e32 v2, s2, v0
	v_mov_b32_e32 v3, 0
	v_lshlrev_b64 v[2:3], 1, v[2:3]
	v_mov_b32_e32 v1, s13
	v_add_co_u32_e32 v2, vcc, s12, v2
	v_addc_co_u32_e32 v3, vcc, v1, v3, vcc
	v_add_u32_e32 v0, 0x100, v0
	global_store_short v[2:3], v10, off
	s_or_b64 exec, exec, s[0:1]
	v_cmp_gt_i32_e32 vcc, s6, v0
	s_and_saveexec_b64 s[0:1], vcc
	s_cbranch_execz .LBB20_71
.LBB20_83:
	v_add_u32_e32 v2, s2, v0
	v_mov_b32_e32 v3, 0
	v_lshlrev_b64 v[2:3], 1, v[2:3]
	v_mov_b32_e32 v1, s13
	v_add_co_u32_e32 v2, vcc, s12, v2
	v_addc_co_u32_e32 v3, vcc, v1, v3, vcc
	v_add_u32_e32 v0, 0x100, v0
	global_store_short v[2:3], v12, off
	s_or_b64 exec, exec, s[0:1]
	v_cmp_gt_i32_e32 vcc, s6, v0
	s_and_saveexec_b64 s[0:1], vcc
	s_cbranch_execnz .LBB20_72
	s_branch .LBB20_73
	.section	.rodata,"a",@progbits
	.p2align	6, 0x0
	.amdhsa_kernel _ZN2at6native29vectorized_elementwise_kernelILi2EZZZNS0_12_GLOBAL__N_139_amp_non_finite_check_and_unscale_cuda_ERNS_6TensorES4_RKS3_ENKUlvE_clEvENKUlvE1_clEvEUlN3c104HalfEE_St5arrayIPcLm2EEEEviT0_T1_
		.amdhsa_group_segment_fixed_size 0
		.amdhsa_private_segment_fixed_size 0
		.amdhsa_kernarg_size 40
		.amdhsa_user_sgpr_count 6
		.amdhsa_user_sgpr_private_segment_buffer 1
		.amdhsa_user_sgpr_dispatch_ptr 0
		.amdhsa_user_sgpr_queue_ptr 0
		.amdhsa_user_sgpr_kernarg_segment_ptr 1
		.amdhsa_user_sgpr_dispatch_id 0
		.amdhsa_user_sgpr_flat_scratch_init 0
		.amdhsa_user_sgpr_kernarg_preload_length 0
		.amdhsa_user_sgpr_kernarg_preload_offset 0
		.amdhsa_user_sgpr_private_segment_size 0
		.amdhsa_uses_dynamic_stack 0
		.amdhsa_system_sgpr_private_segment_wavefront_offset 0
		.amdhsa_system_sgpr_workgroup_id_x 1
		.amdhsa_system_sgpr_workgroup_id_y 0
		.amdhsa_system_sgpr_workgroup_id_z 0
		.amdhsa_system_sgpr_workgroup_info 0
		.amdhsa_system_vgpr_workitem_id 0
		.amdhsa_next_free_vgpr 27
		.amdhsa_next_free_sgpr 18
		.amdhsa_accum_offset 28
		.amdhsa_reserve_vcc 1
		.amdhsa_reserve_flat_scratch 0
		.amdhsa_float_round_mode_32 0
		.amdhsa_float_round_mode_16_64 0
		.amdhsa_float_denorm_mode_32 3
		.amdhsa_float_denorm_mode_16_64 3
		.amdhsa_dx10_clamp 1
		.amdhsa_ieee_mode 1
		.amdhsa_fp16_overflow 0
		.amdhsa_tg_split 0
		.amdhsa_exception_fp_ieee_invalid_op 0
		.amdhsa_exception_fp_denorm_src 0
		.amdhsa_exception_fp_ieee_div_zero 0
		.amdhsa_exception_fp_ieee_overflow 0
		.amdhsa_exception_fp_ieee_underflow 0
		.amdhsa_exception_fp_ieee_inexact 0
		.amdhsa_exception_int_div_zero 0
	.end_amdhsa_kernel
	.section	.text._ZN2at6native29vectorized_elementwise_kernelILi2EZZZNS0_12_GLOBAL__N_139_amp_non_finite_check_and_unscale_cuda_ERNS_6TensorES4_RKS3_ENKUlvE_clEvENKUlvE1_clEvEUlN3c104HalfEE_St5arrayIPcLm2EEEEviT0_T1_,"axG",@progbits,_ZN2at6native29vectorized_elementwise_kernelILi2EZZZNS0_12_GLOBAL__N_139_amp_non_finite_check_and_unscale_cuda_ERNS_6TensorES4_RKS3_ENKUlvE_clEvENKUlvE1_clEvEUlN3c104HalfEE_St5arrayIPcLm2EEEEviT0_T1_,comdat
.Lfunc_end20:
	.size	_ZN2at6native29vectorized_elementwise_kernelILi2EZZZNS0_12_GLOBAL__N_139_amp_non_finite_check_and_unscale_cuda_ERNS_6TensorES4_RKS3_ENKUlvE_clEvENKUlvE1_clEvEUlN3c104HalfEE_St5arrayIPcLm2EEEEviT0_T1_, .Lfunc_end20-_ZN2at6native29vectorized_elementwise_kernelILi2EZZZNS0_12_GLOBAL__N_139_amp_non_finite_check_and_unscale_cuda_ERNS_6TensorES4_RKS3_ENKUlvE_clEvENKUlvE1_clEvEUlN3c104HalfEE_St5arrayIPcLm2EEEEviT0_T1_
                                        ; -- End function
	.section	.AMDGPU.csdata,"",@progbits
; Kernel info:
; codeLenInByte = 2948
; NumSgprs: 22
; NumVgprs: 27
; NumAgprs: 0
; TotalNumVgprs: 27
; ScratchSize: 0
; MemoryBound: 0
; FloatMode: 240
; IeeeMode: 1
; LDSByteSize: 0 bytes/workgroup (compile time only)
; SGPRBlocks: 2
; VGPRBlocks: 3
; NumSGPRsForWavesPerEU: 22
; NumVGPRsForWavesPerEU: 27
; AccumOffset: 28
; Occupancy: 8
; WaveLimiterHint : 1
; COMPUTE_PGM_RSRC2:SCRATCH_EN: 0
; COMPUTE_PGM_RSRC2:USER_SGPR: 6
; COMPUTE_PGM_RSRC2:TRAP_HANDLER: 0
; COMPUTE_PGM_RSRC2:TGID_X_EN: 1
; COMPUTE_PGM_RSRC2:TGID_Y_EN: 0
; COMPUTE_PGM_RSRC2:TGID_Z_EN: 0
; COMPUTE_PGM_RSRC2:TIDIG_COMP_CNT: 0
; COMPUTE_PGM_RSRC3_GFX90A:ACCUM_OFFSET: 6
; COMPUTE_PGM_RSRC3_GFX90A:TG_SPLIT: 0
	.section	.text._ZN2at6native27unrolled_elementwise_kernelIZZZNS0_12_GLOBAL__N_139_amp_non_finite_check_and_unscale_cuda_ERNS_6TensorES4_RKS3_ENKUlvE_clEvENKUlvE1_clEvEUlN3c104HalfEE_St5arrayIPcLm2EELi4E23TrivialOffsetCalculatorILi1EjESG_NS0_6memory15LoadWithoutCastENSH_16StoreWithoutCastEEEviT_T0_T2_T3_T4_T5_,"axG",@progbits,_ZN2at6native27unrolled_elementwise_kernelIZZZNS0_12_GLOBAL__N_139_amp_non_finite_check_and_unscale_cuda_ERNS_6TensorES4_RKS3_ENKUlvE_clEvENKUlvE1_clEvEUlN3c104HalfEE_St5arrayIPcLm2EELi4E23TrivialOffsetCalculatorILi1EjESG_NS0_6memory15LoadWithoutCastENSH_16StoreWithoutCastEEEviT_T0_T2_T3_T4_T5_,comdat
	.globl	_ZN2at6native27unrolled_elementwise_kernelIZZZNS0_12_GLOBAL__N_139_amp_non_finite_check_and_unscale_cuda_ERNS_6TensorES4_RKS3_ENKUlvE_clEvENKUlvE1_clEvEUlN3c104HalfEE_St5arrayIPcLm2EELi4E23TrivialOffsetCalculatorILi1EjESG_NS0_6memory15LoadWithoutCastENSH_16StoreWithoutCastEEEviT_T0_T2_T3_T4_T5_ ; -- Begin function _ZN2at6native27unrolled_elementwise_kernelIZZZNS0_12_GLOBAL__N_139_amp_non_finite_check_and_unscale_cuda_ERNS_6TensorES4_RKS3_ENKUlvE_clEvENKUlvE1_clEvEUlN3c104HalfEE_St5arrayIPcLm2EELi4E23TrivialOffsetCalculatorILi1EjESG_NS0_6memory15LoadWithoutCastENSH_16StoreWithoutCastEEEviT_T0_T2_T3_T4_T5_
	.p2align	8
	.type	_ZN2at6native27unrolled_elementwise_kernelIZZZNS0_12_GLOBAL__N_139_amp_non_finite_check_and_unscale_cuda_ERNS_6TensorES4_RKS3_ENKUlvE_clEvENKUlvE1_clEvEUlN3c104HalfEE_St5arrayIPcLm2EELi4E23TrivialOffsetCalculatorILi1EjESG_NS0_6memory15LoadWithoutCastENSH_16StoreWithoutCastEEEviT_T0_T2_T3_T4_T5_,@function
_ZN2at6native27unrolled_elementwise_kernelIZZZNS0_12_GLOBAL__N_139_amp_non_finite_check_and_unscale_cuda_ERNS_6TensorES4_RKS3_ENKUlvE_clEvENKUlvE1_clEvEUlN3c104HalfEE_St5arrayIPcLm2EELi4E23TrivialOffsetCalculatorILi1EjESG_NS0_6memory15LoadWithoutCastENSH_16StoreWithoutCastEEEviT_T0_T2_T3_T4_T5_: ; @_ZN2at6native27unrolled_elementwise_kernelIZZZNS0_12_GLOBAL__N_139_amp_non_finite_check_and_unscale_cuda_ERNS_6TensorES4_RKS3_ENKUlvE_clEvENKUlvE1_clEvEUlN3c104HalfEE_St5arrayIPcLm2EELi4E23TrivialOffsetCalculatorILi1EjESG_NS0_6memory15LoadWithoutCastENSH_16StoreWithoutCastEEEviT_T0_T2_T3_T4_T5_
; %bb.0:
	s_load_dword s0, s[4:5], 0x0
	s_load_dwordx8 s[8:15], s[4:5], 0x8
	s_lshl_b32 s4, s6, 10
	v_mov_b32_e32 v4, 0
	v_or_b32_e32 v2, s4, v0
	s_waitcnt lgkmcnt(0)
	s_sub_i32 s5, s0, s4
	v_cmp_gt_i32_e32 vcc, s5, v0
	v_mov_b32_e32 v6, 0
	v_mov_b32_e32 v5, v0
	s_and_saveexec_b64 s[2:3], vcc
	s_cbranch_execz .LBB21_2
; %bb.1:
	v_mov_b32_e32 v3, 0
	v_lshlrev_b64 v[6:7], 1, v[2:3]
	v_mov_b32_e32 v1, s15
	v_add_co_u32_e64 v6, s[0:1], s14, v6
	v_addc_co_u32_e64 v7, s[0:1], v1, v7, s[0:1]
	global_load_ushort v6, v[6:7], off
	v_or_b32_e32 v5, 0x100, v0
.LBB21_2:
	s_or_b64 exec, exec, s[2:3]
	v_cmp_gt_i32_e64 s[0:1], s5, v5
	s_and_saveexec_b64 s[2:3], s[0:1]
	s_cbranch_execz .LBB21_4
; %bb.3:
	v_add_u32_e32 v8, s4, v5
	v_mov_b32_e32 v9, 0
	v_lshlrev_b64 v[8:9], 1, v[8:9]
	v_mov_b32_e32 v1, s15
	v_add_co_u32_e64 v8, s[0:1], s14, v8
	v_addc_co_u32_e64 v9, s[0:1], v1, v9, s[0:1]
	global_load_ushort v4, v[8:9], off
	v_add_u32_e32 v5, 0x100, v5
.LBB21_4:
	s_or_b64 exec, exec, s[2:3]
	v_cmp_gt_i32_e64 s[0:1], s5, v5
	v_mov_b32_e32 v1, 0
	v_mov_b32_e32 v3, 0
	s_and_saveexec_b64 s[2:3], s[0:1]
	s_cbranch_execnz .LBB21_7
; %bb.5:
	s_or_b64 exec, exec, s[2:3]
	v_cmp_gt_i32_e64 s[0:1], s5, v5
	s_and_saveexec_b64 s[2:3], s[0:1]
	s_cbranch_execnz .LBB21_8
.LBB21_6:
	s_or_b64 exec, exec, s[2:3]
                                        ; implicit-def: $vgpr5
	s_and_saveexec_b64 s[2:3], vcc
	s_cbranch_execnz .LBB21_9
	s_branch .LBB21_12
.LBB21_7:
	v_add_u32_e32 v8, s4, v5
	v_mov_b32_e32 v9, 0
	v_lshlrev_b64 v[8:9], 1, v[8:9]
	v_mov_b32_e32 v3, s15
	v_add_co_u32_e64 v8, s[0:1], s14, v8
	v_addc_co_u32_e64 v9, s[0:1], v3, v9, s[0:1]
	global_load_ushort v3, v[8:9], off
	v_add_u32_e32 v5, 0x100, v5
	s_or_b64 exec, exec, s[2:3]
	v_cmp_gt_i32_e64 s[0:1], s5, v5
	s_and_saveexec_b64 s[2:3], s[0:1]
	s_cbranch_execz .LBB21_6
.LBB21_8:
	v_add_u32_e32 v8, s4, v5
	v_mov_b32_e32 v9, 0
	v_lshlrev_b64 v[8:9], 1, v[8:9]
	v_mov_b32_e32 v1, s15
	v_add_co_u32_e64 v8, s[0:1], s14, v8
	v_addc_co_u32_e64 v9, s[0:1], v1, v9, s[0:1]
	global_load_ushort v1, v[8:9], off
	s_or_b64 exec, exec, s[2:3]
                                        ; implicit-def: $vgpr5
	s_and_saveexec_b64 s[2:3], vcc
	s_cbranch_execz .LBB21_12
.LBB21_9:
	s_waitcnt vmcnt(0)
	v_cvt_f32_f16_e32 v5, v6
	s_mov_b32 s0, 0x7f800000
	v_cmp_nlg_f32_e64 s[6:7], |v5|, s0
	s_and_saveexec_b64 s[0:1], s[6:7]
	s_cbranch_execz .LBB21_11
; %bb.10:
	v_mov_b32_e32 v7, 0
	v_mov_b32_e32 v8, 1.0
	global_store_dword v7, v8, s[8:9]
.LBB21_11:
	s_or_b64 exec, exec, s[0:1]
	v_mov_b32_e32 v7, 0
	global_load_dword v7, v7, s[10:11]
	s_waitcnt vmcnt(0)
	v_fma_mixlo_f16 v5, v7, v5, 0
	v_cmp_eq_f32_e64 s[0:1], 1.0, v7
	v_cndmask_b32_e64 v5, v5, v6, s[0:1]
.LBB21_12:
	s_or_b64 exec, exec, s[2:3]
	v_or_b32_e32 v7, 0x100, v0
	v_cmp_gt_i32_e64 s[0:1], s5, v7
                                        ; implicit-def: $vgpr6
	s_and_saveexec_b64 s[2:3], s[0:1]
	s_cbranch_execz .LBB21_16
; %bb.13:
	s_waitcnt vmcnt(0)
	v_cvt_f32_f16_e32 v6, v4
	s_mov_b32 s0, 0x7f800000
	v_cmp_nlg_f32_e64 s[6:7], |v6|, s0
	s_and_saveexec_b64 s[0:1], s[6:7]
	s_cbranch_execz .LBB21_15
; %bb.14:
	v_mov_b32_e32 v8, 0
	v_mov_b32_e32 v9, 1.0
	global_store_dword v8, v9, s[8:9]
.LBB21_15:
	s_or_b64 exec, exec, s[0:1]
	v_mov_b32_e32 v8, 0
	global_load_dword v8, v8, s[10:11]
	s_waitcnt vmcnt(0)
	v_fma_mixlo_f16 v6, v8, v6, 0
	v_cmp_eq_f32_e64 s[0:1], 1.0, v8
	v_cndmask_b32_e64 v6, v6, v4, s[0:1]
.LBB21_16:
	s_or_b64 exec, exec, s[2:3]
	s_waitcnt vmcnt(0)
	v_or_b32_e32 v4, 0x200, v0
	v_cmp_gt_i32_e64 s[0:1], s5, v4
                                        ; implicit-def: $vgpr4
	s_and_saveexec_b64 s[2:3], s[0:1]
	s_cbranch_execz .LBB21_20
; %bb.17:
	v_cvt_f32_f16_e32 v4, v3
	s_mov_b32 s0, 0x7f800000
	v_cmp_nlg_f32_e64 s[6:7], |v4|, s0
	s_and_saveexec_b64 s[0:1], s[6:7]
	s_cbranch_execz .LBB21_19
; %bb.18:
	v_mov_b32_e32 v8, 0
	v_mov_b32_e32 v9, 1.0
	global_store_dword v8, v9, s[8:9]
.LBB21_19:
	s_or_b64 exec, exec, s[0:1]
	v_mov_b32_e32 v8, 0
	global_load_dword v8, v8, s[10:11]
	s_waitcnt vmcnt(0)
	v_fma_mixlo_f16 v4, v8, v4, 0
	v_cmp_eq_f32_e64 s[0:1], 1.0, v8
	v_cndmask_b32_e64 v4, v4, v3, s[0:1]
.LBB21_20:
	s_or_b64 exec, exec, s[2:3]
	v_or_b32_e32 v3, 0x300, v0
	v_cmp_gt_i32_e64 s[0:1], s5, v3
                                        ; implicit-def: $vgpr8
	s_and_saveexec_b64 s[2:3], s[0:1]
	s_cbranch_execnz .LBB21_26
; %bb.21:
	s_or_b64 exec, exec, s[2:3]
	s_and_saveexec_b64 s[0:1], vcc
	s_xor_b64 s[0:1], exec, s[0:1]
	s_cbranch_execnz .LBB21_29
.LBB21_22:
	s_or_b64 exec, exec, s[0:1]
	v_cmp_gt_i32_e32 vcc, s5, v0
	s_and_saveexec_b64 s[0:1], vcc
	s_cbranch_execnz .LBB21_30
.LBB21_23:
	s_or_b64 exec, exec, s[0:1]
	v_cmp_gt_i32_e32 vcc, s5, v0
	s_and_saveexec_b64 s[0:1], vcc
	s_cbranch_execnz .LBB21_31
.LBB21_24:
	s_or_b64 exec, exec, s[0:1]
	v_cmp_gt_i32_e32 vcc, s5, v0
	s_and_saveexec_b64 s[0:1], vcc
	s_cbranch_execnz .LBB21_32
.LBB21_25:
	s_endpgm
.LBB21_26:
	v_cvt_f32_f16_e32 v3, v1
	s_mov_b32 s0, 0x7f800000
	v_cmp_nlg_f32_e64 s[6:7], |v3|, s0
	s_and_saveexec_b64 s[0:1], s[6:7]
	s_cbranch_execz .LBB21_28
; %bb.27:
	v_mov_b32_e32 v8, 0
	v_mov_b32_e32 v9, 1.0
	global_store_dword v8, v9, s[8:9]
.LBB21_28:
	s_or_b64 exec, exec, s[0:1]
	v_mov_b32_e32 v8, 0
	global_load_dword v8, v8, s[10:11]
	s_waitcnt vmcnt(0)
	v_fma_mixlo_f16 v3, v8, v3, 0
	v_cmp_eq_f32_e64 s[0:1], 1.0, v8
	v_cndmask_b32_e64 v8, v3, v1, s[0:1]
	s_or_b64 exec, exec, s[2:3]
	s_and_saveexec_b64 s[0:1], vcc
	s_xor_b64 s[0:1], exec, s[0:1]
	s_cbranch_execz .LBB21_22
.LBB21_29:
	v_mov_b32_e32 v3, 0
	v_lshlrev_b64 v[0:1], 1, v[2:3]
	v_mov_b32_e32 v2, s13
	v_add_co_u32_e32 v0, vcc, s12, v0
	v_addc_co_u32_e32 v1, vcc, v2, v1, vcc
	global_store_short v[0:1], v5, off
	v_mov_b32_e32 v0, v7
	s_or_b64 exec, exec, s[0:1]
	v_cmp_gt_i32_e32 vcc, s5, v0
	s_and_saveexec_b64 s[0:1], vcc
	s_cbranch_execz .LBB21_23
.LBB21_30:
	v_add_u32_e32 v2, 0x100, v0
	v_add_u32_e32 v0, s4, v0
	v_mov_b32_e32 v1, 0
	v_lshlrev_b64 v[0:1], 1, v[0:1]
	v_mov_b32_e32 v3, s13
	v_add_co_u32_e32 v0, vcc, s12, v0
	v_addc_co_u32_e32 v1, vcc, v3, v1, vcc
	global_store_short v[0:1], v6, off
	v_mov_b32_e32 v0, v2
	s_or_b64 exec, exec, s[0:1]
	v_cmp_gt_i32_e32 vcc, s5, v0
	s_and_saveexec_b64 s[0:1], vcc
	s_cbranch_execz .LBB21_24
.LBB21_31:
	v_add_u32_e32 v2, 0x100, v0
	v_add_u32_e32 v0, s4, v0
	v_mov_b32_e32 v1, 0
	v_lshlrev_b64 v[0:1], 1, v[0:1]
	v_mov_b32_e32 v3, s13
	v_add_co_u32_e32 v0, vcc, s12, v0
	v_addc_co_u32_e32 v1, vcc, v3, v1, vcc
	global_store_short v[0:1], v4, off
	v_mov_b32_e32 v0, v2
	s_or_b64 exec, exec, s[0:1]
	v_cmp_gt_i32_e32 vcc, s5, v0
	s_and_saveexec_b64 s[0:1], vcc
	s_cbranch_execz .LBB21_25
.LBB21_32:
	v_add_u32_e32 v0, s4, v0
	v_mov_b32_e32 v1, 0
	v_lshlrev_b64 v[0:1], 1, v[0:1]
	v_mov_b32_e32 v2, s13
	v_add_co_u32_e32 v0, vcc, s12, v0
	v_addc_co_u32_e32 v1, vcc, v2, v1, vcc
	global_store_short v[0:1], v8, off
	s_endpgm
	.section	.rodata,"a",@progbits
	.p2align	6, 0x0
	.amdhsa_kernel _ZN2at6native27unrolled_elementwise_kernelIZZZNS0_12_GLOBAL__N_139_amp_non_finite_check_and_unscale_cuda_ERNS_6TensorES4_RKS3_ENKUlvE_clEvENKUlvE1_clEvEUlN3c104HalfEE_St5arrayIPcLm2EELi4E23TrivialOffsetCalculatorILi1EjESG_NS0_6memory15LoadWithoutCastENSH_16StoreWithoutCastEEEviT_T0_T2_T3_T4_T5_
		.amdhsa_group_segment_fixed_size 0
		.amdhsa_private_segment_fixed_size 0
		.amdhsa_kernarg_size 44
		.amdhsa_user_sgpr_count 6
		.amdhsa_user_sgpr_private_segment_buffer 1
		.amdhsa_user_sgpr_dispatch_ptr 0
		.amdhsa_user_sgpr_queue_ptr 0
		.amdhsa_user_sgpr_kernarg_segment_ptr 1
		.amdhsa_user_sgpr_dispatch_id 0
		.amdhsa_user_sgpr_flat_scratch_init 0
		.amdhsa_user_sgpr_kernarg_preload_length 0
		.amdhsa_user_sgpr_kernarg_preload_offset 0
		.amdhsa_user_sgpr_private_segment_size 0
		.amdhsa_uses_dynamic_stack 0
		.amdhsa_system_sgpr_private_segment_wavefront_offset 0
		.amdhsa_system_sgpr_workgroup_id_x 1
		.amdhsa_system_sgpr_workgroup_id_y 0
		.amdhsa_system_sgpr_workgroup_id_z 0
		.amdhsa_system_sgpr_workgroup_info 0
		.amdhsa_system_vgpr_workitem_id 0
		.amdhsa_next_free_vgpr 10
		.amdhsa_next_free_sgpr 16
		.amdhsa_accum_offset 12
		.amdhsa_reserve_vcc 1
		.amdhsa_reserve_flat_scratch 0
		.amdhsa_float_round_mode_32 0
		.amdhsa_float_round_mode_16_64 0
		.amdhsa_float_denorm_mode_32 3
		.amdhsa_float_denorm_mode_16_64 3
		.amdhsa_dx10_clamp 1
		.amdhsa_ieee_mode 1
		.amdhsa_fp16_overflow 0
		.amdhsa_tg_split 0
		.amdhsa_exception_fp_ieee_invalid_op 0
		.amdhsa_exception_fp_denorm_src 0
		.amdhsa_exception_fp_ieee_div_zero 0
		.amdhsa_exception_fp_ieee_overflow 0
		.amdhsa_exception_fp_ieee_underflow 0
		.amdhsa_exception_fp_ieee_inexact 0
		.amdhsa_exception_int_div_zero 0
	.end_amdhsa_kernel
	.section	.text._ZN2at6native27unrolled_elementwise_kernelIZZZNS0_12_GLOBAL__N_139_amp_non_finite_check_and_unscale_cuda_ERNS_6TensorES4_RKS3_ENKUlvE_clEvENKUlvE1_clEvEUlN3c104HalfEE_St5arrayIPcLm2EELi4E23TrivialOffsetCalculatorILi1EjESG_NS0_6memory15LoadWithoutCastENSH_16StoreWithoutCastEEEviT_T0_T2_T3_T4_T5_,"axG",@progbits,_ZN2at6native27unrolled_elementwise_kernelIZZZNS0_12_GLOBAL__N_139_amp_non_finite_check_and_unscale_cuda_ERNS_6TensorES4_RKS3_ENKUlvE_clEvENKUlvE1_clEvEUlN3c104HalfEE_St5arrayIPcLm2EELi4E23TrivialOffsetCalculatorILi1EjESG_NS0_6memory15LoadWithoutCastENSH_16StoreWithoutCastEEEviT_T0_T2_T3_T4_T5_,comdat
.Lfunc_end21:
	.size	_ZN2at6native27unrolled_elementwise_kernelIZZZNS0_12_GLOBAL__N_139_amp_non_finite_check_and_unscale_cuda_ERNS_6TensorES4_RKS3_ENKUlvE_clEvENKUlvE1_clEvEUlN3c104HalfEE_St5arrayIPcLm2EELi4E23TrivialOffsetCalculatorILi1EjESG_NS0_6memory15LoadWithoutCastENSH_16StoreWithoutCastEEEviT_T0_T2_T3_T4_T5_, .Lfunc_end21-_ZN2at6native27unrolled_elementwise_kernelIZZZNS0_12_GLOBAL__N_139_amp_non_finite_check_and_unscale_cuda_ERNS_6TensorES4_RKS3_ENKUlvE_clEvENKUlvE1_clEvEUlN3c104HalfEE_St5arrayIPcLm2EELi4E23TrivialOffsetCalculatorILi1EjESG_NS0_6memory15LoadWithoutCastENSH_16StoreWithoutCastEEEviT_T0_T2_T3_T4_T5_
                                        ; -- End function
	.section	.AMDGPU.csdata,"",@progbits
; Kernel info:
; codeLenInByte = 1120
; NumSgprs: 20
; NumVgprs: 10
; NumAgprs: 0
; TotalNumVgprs: 10
; ScratchSize: 0
; MemoryBound: 0
; FloatMode: 240
; IeeeMode: 1
; LDSByteSize: 0 bytes/workgroup (compile time only)
; SGPRBlocks: 2
; VGPRBlocks: 1
; NumSGPRsForWavesPerEU: 20
; NumVGPRsForWavesPerEU: 10
; AccumOffset: 12
; Occupancy: 8
; WaveLimiterHint : 0
; COMPUTE_PGM_RSRC2:SCRATCH_EN: 0
; COMPUTE_PGM_RSRC2:USER_SGPR: 6
; COMPUTE_PGM_RSRC2:TRAP_HANDLER: 0
; COMPUTE_PGM_RSRC2:TGID_X_EN: 1
; COMPUTE_PGM_RSRC2:TGID_Y_EN: 0
; COMPUTE_PGM_RSRC2:TGID_Z_EN: 0
; COMPUTE_PGM_RSRC2:TIDIG_COMP_CNT: 0
; COMPUTE_PGM_RSRC3_GFX90A:ACCUM_OFFSET: 2
; COMPUTE_PGM_RSRC3_GFX90A:TG_SPLIT: 0
	.section	.text._ZN2at6native32elementwise_kernel_manual_unrollILi128ELi8EZNS0_22gpu_kernel_impl_nocastIZZZNS0_12_GLOBAL__N_139_amp_non_finite_check_and_unscale_cuda_ERNS_6TensorES5_RKS4_ENKUlvE_clEvENKUlvE1_clEvEUlN3c104HalfEE_EEvRNS_18TensorIteratorBaseERKT_EUlibE_EEviT1_,"axG",@progbits,_ZN2at6native32elementwise_kernel_manual_unrollILi128ELi8EZNS0_22gpu_kernel_impl_nocastIZZZNS0_12_GLOBAL__N_139_amp_non_finite_check_and_unscale_cuda_ERNS_6TensorES5_RKS4_ENKUlvE_clEvENKUlvE1_clEvEUlN3c104HalfEE_EEvRNS_18TensorIteratorBaseERKT_EUlibE_EEviT1_,comdat
	.globl	_ZN2at6native32elementwise_kernel_manual_unrollILi128ELi8EZNS0_22gpu_kernel_impl_nocastIZZZNS0_12_GLOBAL__N_139_amp_non_finite_check_and_unscale_cuda_ERNS_6TensorES5_RKS4_ENKUlvE_clEvENKUlvE1_clEvEUlN3c104HalfEE_EEvRNS_18TensorIteratorBaseERKT_EUlibE_EEviT1_ ; -- Begin function _ZN2at6native32elementwise_kernel_manual_unrollILi128ELi8EZNS0_22gpu_kernel_impl_nocastIZZZNS0_12_GLOBAL__N_139_amp_non_finite_check_and_unscale_cuda_ERNS_6TensorES5_RKS4_ENKUlvE_clEvENKUlvE1_clEvEUlN3c104HalfEE_EEvRNS_18TensorIteratorBaseERKT_EUlibE_EEviT1_
	.p2align	8
	.type	_ZN2at6native32elementwise_kernel_manual_unrollILi128ELi8EZNS0_22gpu_kernel_impl_nocastIZZZNS0_12_GLOBAL__N_139_amp_non_finite_check_and_unscale_cuda_ERNS_6TensorES5_RKS4_ENKUlvE_clEvENKUlvE1_clEvEUlN3c104HalfEE_EEvRNS_18TensorIteratorBaseERKT_EUlibE_EEviT1_,@function
_ZN2at6native32elementwise_kernel_manual_unrollILi128ELi8EZNS0_22gpu_kernel_impl_nocastIZZZNS0_12_GLOBAL__N_139_amp_non_finite_check_and_unscale_cuda_ERNS_6TensorES5_RKS4_ENKUlvE_clEvENKUlvE1_clEvEUlN3c104HalfEE_EEvRNS_18TensorIteratorBaseERKT_EUlibE_EEviT1_: ; @_ZN2at6native32elementwise_kernel_manual_unrollILi128ELi8EZNS0_22gpu_kernel_impl_nocastIZZZNS0_12_GLOBAL__N_139_amp_non_finite_check_and_unscale_cuda_ERNS_6TensorES5_RKS4_ENKUlvE_clEvENKUlvE1_clEvEUlN3c104HalfEE_EEvRNS_18TensorIteratorBaseERKT_EUlibE_EEviT1_
; %bb.0:
	s_load_dword s61, s[4:5], 0x0
	s_load_dword s33, s[4:5], 0x8
	s_or_b32 s4, s4, 8
	v_lshl_or_b32 v24, s6, 10, v0
	v_or_b32_e32 v31, 0x380, v24
	s_waitcnt lgkmcnt(0)
	v_cmp_le_i32_e32 vcc, s61, v31
	s_add_i32 s60, s33, -1
	s_cmp_gt_u32 s60, 1
	s_cselect_b64 s[6:7], -1, 0
	s_and_saveexec_b64 s[0:1], vcc
	s_xor_b64 s[34:35], exec, s[0:1]
	s_cbranch_execz .LBB22_8
; %bb.1:
	s_load_dwordx4 s[36:39], s[4:5], 0x4
	s_load_dwordx2 s[44:45], s[4:5], 0x14
	s_load_dwordx4 s[0:3], s[4:5], 0xc4
	s_load_dwordx8 s[8:15], s[4:5], 0x148
	s_cmp_lg_u32 s33, 0
	s_cselect_b64 s[50:51], -1, 0
	s_add_u32 s48, s4, 0xc4
	s_addc_u32 s49, s5, 0
	s_min_u32 s62, s60, 15
	s_cmp_gt_u32 s33, 1
	s_cselect_b64 s[46:47], -1, 0
	v_cmp_gt_i32_e32 vcc, s61, v24
	s_and_saveexec_b64 s[52:53], vcc
	s_cbranch_execz .LBB22_16
; %bb.2:
	s_andn2_b64 vcc, exec, s[6:7]
	s_cbranch_vccnz .LBB22_24
; %bb.3:
	s_mov_b32 s54, 0
	s_andn2_b64 vcc, exec, s[50:51]
	v_mov_b32_e32 v2, 0
	v_mov_b32_e32 v0, 0
	s_cbranch_vccnz .LBB22_152
; %bb.4:
	s_add_i32 s63, s62, 1
	s_cmp_eq_u32 s60, 2
	s_cbranch_scc1 .LBB22_147
; %bb.5:
	s_and_b32 s54, s63, 28
	s_mov_b32 s55, 0
	v_mov_b32_e32 v0, 0
	s_mov_b64 s[56:57], s[4:5]
	s_mov_b64 s[58:59], s[48:49]
	v_mov_b32_e32 v3, v24
	v_mov_b32_e32 v2, 0
.LBB22_6:                               ; =>This Inner Loop Header: Depth=1
	s_load_dwordx8 s[24:31], s[56:57], 0x4
	s_load_dwordx4 s[40:43], s[56:57], 0x24
	s_load_dwordx8 s[16:23], s[58:59], 0x0
	s_add_u32 s56, s56, 48
	s_addc_u32 s57, s57, 0
	s_waitcnt lgkmcnt(0)
	v_mul_hi_u32 v1, s25, v3
	v_add_u32_e32 v1, v3, v1
	v_lshrrev_b32_e32 v1, s26, v1
	v_mul_lo_u32 v4, v1, s24
	v_mul_hi_u32 v5, s28, v1
	v_sub_u32_e32 v3, v3, v4
	v_add_u32_e32 v4, v1, v5
	v_lshrrev_b32_e32 v4, s29, v4
	v_mul_lo_u32 v6, v4, s27
	v_mul_hi_u32 v7, s31, v4
	v_sub_u32_e32 v1, v1, v6
	v_add_u32_e32 v6, v4, v7
	v_mul_lo_u32 v5, v3, s17
	v_mul_lo_u32 v3, v3, s16
	;; [unrolled: 1-line block ×4, first 2 shown]
	v_lshrrev_b32_e32 v6, s40, v6
	v_add3_u32 v0, v3, v0, v1
	v_mul_hi_u32 v3, s42, v6
	v_add_u32_e32 v3, v6, v3
	v_lshrrev_b32_e32 v3, s43, v3
	s_add_i32 s55, s55, 4
	v_add3_u32 v1, v5, v2, v7
	v_mul_lo_u32 v2, v6, s30
	v_mul_lo_u32 v5, v3, s41
	s_add_u32 s58, s58, 32
	v_sub_u32_e32 v2, v4, v2
	v_sub_u32_e32 v5, v6, v5
	s_addc_u32 s59, s59, 0
	v_mul_lo_u32 v4, v2, s20
	v_mul_lo_u32 v2, v2, s21
	v_mul_lo_u32 v6, v5, s22
	v_mul_lo_u32 v5, v5, s23
	s_cmp_lg_u32 s54, s55
	v_add3_u32 v2, v2, v1, v5
	v_add3_u32 v0, v4, v0, v6
	s_cbranch_scc1 .LBB22_6
; %bb.7:
	v_mov_b32_e32 v1, v2
	s_branch .LBB22_148
.LBB22_8:
	s_andn2_saveexec_b64 s[0:1], s[34:35]
	s_cbranch_execz .LBB22_255
.LBB22_9:
	v_cndmask_b32_e64 v0, 0, 1, s[6:7]
	v_cmp_ne_u32_e64 s[0:1], 1, v0
	s_andn2_b64 vcc, exec, s[6:7]
	s_cbranch_vccnz .LBB22_23
; %bb.10:
	s_mov_b32 s2, 0
	s_cmp_lg_u32 s33, 0
	v_mov_b32_e32 v2, 0
	v_mov_b32_e32 v0, 0
	s_cbranch_scc0 .LBB22_15
; %bb.11:
	s_min_u32 s30, s60, 15
	s_add_i32 s30, s30, 1
	s_cmp_eq_u32 s60, 2
	s_cbranch_scc1 .LBB22_26
; %bb.12:
	s_add_u32 s6, s4, 0xc4
	s_addc_u32 s7, s5, 0
	s_and_b32 s2, s30, 28
	s_mov_b32 s3, 0
	v_mov_b32_e32 v0, 0
	s_mov_b64 s[28:29], s[4:5]
	v_mov_b32_e32 v3, v24
	v_mov_b32_e32 v2, 0
.LBB22_13:                              ; =>This Inner Loop Header: Depth=1
	s_load_dwordx8 s[16:23], s[28:29], 0x4
	s_load_dwordx4 s[24:27], s[28:29], 0x24
	s_load_dwordx8 s[8:15], s[6:7], 0x0
	s_add_u32 s28, s28, 48
	s_addc_u32 s29, s29, 0
	s_waitcnt lgkmcnt(0)
	v_mul_hi_u32 v1, s17, v3
	v_add_u32_e32 v1, v3, v1
	v_lshrrev_b32_e32 v1, s18, v1
	v_mul_lo_u32 v4, v1, s16
	v_mul_hi_u32 v5, s20, v1
	v_sub_u32_e32 v3, v3, v4
	v_add_u32_e32 v4, v1, v5
	v_lshrrev_b32_e32 v4, s21, v4
	v_mul_lo_u32 v6, v4, s19
	v_mul_hi_u32 v7, s23, v4
	v_sub_u32_e32 v1, v1, v6
	v_add_u32_e32 v6, v4, v7
	v_mul_lo_u32 v5, v3, s9
	v_mul_lo_u32 v3, v3, s8
	;; [unrolled: 1-line block ×4, first 2 shown]
	v_lshrrev_b32_e32 v6, s24, v6
	v_add3_u32 v0, v3, v0, v1
	v_mul_hi_u32 v3, s26, v6
	v_add_u32_e32 v3, v6, v3
	v_lshrrev_b32_e32 v3, s27, v3
	s_add_i32 s3, s3, 4
	v_add3_u32 v1, v5, v2, v7
	v_mul_lo_u32 v2, v6, s22
	v_mul_lo_u32 v5, v3, s25
	s_add_u32 s6, s6, 32
	v_sub_u32_e32 v2, v4, v2
	v_sub_u32_e32 v5, v6, v5
	s_addc_u32 s7, s7, 0
	v_mul_lo_u32 v4, v2, s12
	v_mul_lo_u32 v2, v2, s13
	;; [unrolled: 1-line block ×4, first 2 shown]
	s_cmp_lg_u32 s2, s3
	v_add3_u32 v2, v2, v1, v5
	v_add3_u32 v0, v4, v0, v6
	s_cbranch_scc1 .LBB22_13
; %bb.14:
	v_mov_b32_e32 v1, v2
	s_and_b32 s8, s30, 3
	s_cmp_eq_u32 s8, 0
	s_cbranch_scc0 .LBB22_27
.LBB22_15:
	s_cbranch_execz .LBB22_30
	s_branch .LBB22_32
.LBB22_16:
	s_or_b64 exec, exec, s[52:53]
	v_cmp_gt_i32_e32 vcc, s61, v24
	s_and_saveexec_b64 s[52:53], vcc
	s_cbranch_execz .LBB22_158
.LBB22_17:
	s_andn2_b64 vcc, exec, s[6:7]
	s_cbranch_vccnz .LBB22_25
; %bb.18:
	s_mov_b32 s54, 0
	s_andn2_b64 vcc, exec, s[50:51]
	v_mov_b32_e32 v2, 0
	v_mov_b32_e32 v0, 0
	s_cbranch_vccnz .LBB22_171
; %bb.19:
	s_add_i32 s63, s62, 1
	s_cmp_eq_u32 s60, 2
	s_cbranch_scc1 .LBB22_166
; %bb.20:
	s_and_b32 s54, s63, 28
	s_mov_b32 s55, 0
	v_mov_b32_e32 v0, 0
	s_mov_b64 s[56:57], s[4:5]
	s_mov_b64 s[58:59], s[48:49]
	v_mov_b32_e32 v3, v24
	v_mov_b32_e32 v2, 0
.LBB22_21:                              ; =>This Inner Loop Header: Depth=1
	s_load_dwordx8 s[24:31], s[56:57], 0x4
	s_load_dwordx4 s[40:43], s[56:57], 0x24
	s_load_dwordx8 s[16:23], s[58:59], 0x0
	s_add_u32 s56, s56, 48
	s_addc_u32 s57, s57, 0
	s_waitcnt lgkmcnt(0)
	v_mul_hi_u32 v1, s25, v3
	v_add_u32_e32 v1, v3, v1
	v_lshrrev_b32_e32 v1, s26, v1
	v_mul_lo_u32 v4, v1, s24
	v_mul_hi_u32 v5, s28, v1
	v_sub_u32_e32 v3, v3, v4
	v_add_u32_e32 v4, v1, v5
	v_lshrrev_b32_e32 v4, s29, v4
	v_mul_lo_u32 v6, v4, s27
	v_mul_hi_u32 v7, s31, v4
	v_sub_u32_e32 v1, v1, v6
	v_add_u32_e32 v6, v4, v7
	v_mul_lo_u32 v5, v3, s17
	v_mul_lo_u32 v3, v3, s16
	;; [unrolled: 1-line block ×4, first 2 shown]
	v_lshrrev_b32_e32 v6, s40, v6
	v_add3_u32 v0, v3, v0, v1
	v_mul_hi_u32 v3, s42, v6
	v_add_u32_e32 v3, v6, v3
	v_lshrrev_b32_e32 v3, s43, v3
	s_add_i32 s55, s55, 4
	v_add3_u32 v1, v5, v2, v7
	v_mul_lo_u32 v2, v6, s30
	v_mul_lo_u32 v5, v3, s41
	s_add_u32 s58, s58, 32
	v_sub_u32_e32 v2, v4, v2
	v_sub_u32_e32 v5, v6, v5
	s_addc_u32 s59, s59, 0
	v_mul_lo_u32 v4, v2, s20
	v_mul_lo_u32 v2, v2, s21
	;; [unrolled: 1-line block ×4, first 2 shown]
	s_cmp_eq_u32 s54, s55
	v_add3_u32 v2, v2, v1, v5
	v_add3_u32 v0, v4, v0, v6
	s_cbranch_scc0 .LBB22_21
; %bb.22:
	v_mov_b32_e32 v1, v2
	s_branch .LBB22_167
.LBB22_23:
                                        ; implicit-def: $vgpr2
                                        ; implicit-def: $vgpr0
	s_branch .LBB22_30
.LBB22_24:
                                        ; implicit-def: $vgpr2
                                        ; implicit-def: $vgpr0
	s_branch .LBB22_153
.LBB22_25:
                                        ; implicit-def: $vgpr2
                                        ; implicit-def: $vgpr0
	s_branch .LBB22_172
.LBB22_26:
	s_mov_b32 s3, s2
	v_pk_mov_b32 v[0:1], s[2:3], s[2:3] op_sel:[0,1]
                                        ; implicit-def: $vgpr2
	v_mov_b32_e32 v3, v24
	s_and_b32 s8, s30, 3
	s_cmp_eq_u32 s8, 0
	s_cbranch_scc1 .LBB22_15
.LBB22_27:
	s_lshl_b32 s3, s2, 3
	s_add_u32 s3, s3, s4
	s_addc_u32 s7, 0, s5
	s_add_u32 s6, s3, 0xc4
	s_addc_u32 s7, s7, 0
	s_mul_i32 s2, s2, 12
	s_add_u32 s2, s4, s2
	s_addc_u32 s3, 0, s5
.LBB22_28:                              ; =>This Inner Loop Header: Depth=1
	s_load_dwordx2 s[10:11], s[2:3], 0x4
	s_load_dword s9, s[2:3], 0xc
	s_load_dwordx2 s[12:13], s[6:7], 0x0
	v_mov_b32_e32 v2, v1
	s_add_u32 s2, s2, 12
	s_waitcnt lgkmcnt(0)
	v_mul_hi_u32 v1, s11, v3
	v_add_u32_e32 v1, v3, v1
	v_lshrrev_b32_e32 v1, s9, v1
	s_addc_u32 s3, s3, 0
	v_mul_lo_u32 v4, v1, s10
	s_add_u32 s6, s6, 8
	v_sub_u32_e32 v6, v3, v4
	v_mov_b32_e32 v3, v1
	s_addc_u32 s7, s7, 0
	s_add_i32 s8, s8, -1
	v_mad_u64_u32 v[4:5], s[10:11], v6, s13, v[2:3]
	v_mad_u64_u32 v[0:1], s[10:11], v6, s12, v[0:1]
	s_cmp_lg_u32 s8, 0
	v_mov_b32_e32 v1, v4
	s_cbranch_scc1 .LBB22_28
; %bb.29:
	v_mov_b32_e32 v2, v1
	s_cbranch_execnz .LBB22_32
.LBB22_30:
	s_load_dwordx4 s[8:11], s[4:5], 0x4
	s_load_dwordx2 s[2:3], s[4:5], 0xc4
	s_cmp_lt_u32 s33, 2
	s_waitcnt lgkmcnt(0)
	v_mul_hi_u32 v0, s9, v24
	v_add_u32_e32 v0, v24, v0
	v_lshrrev_b32_e32 v1, s10, v0
	v_mul_lo_u32 v0, v1, s8
	v_sub_u32_e32 v0, v24, v0
	v_mul_lo_u32 v2, v0, s3
	v_mul_lo_u32 v0, v0, s2
	s_cbranch_scc1 .LBB22_32
; %bb.31:
	s_load_dwordx4 s[8:11], s[4:5], 0x10
	s_load_dwordx2 s[2:3], s[4:5], 0xcc
	s_waitcnt lgkmcnt(0)
	v_mul_hi_u32 v3, s9, v1
	v_add_u32_e32 v3, v1, v3
	v_lshrrev_b32_e32 v3, s10, v3
	v_mul_lo_u32 v3, v3, s8
	v_sub_u32_e32 v3, v1, v3
	v_mad_u64_u32 v[0:1], s[6:7], v3, s2, v[0:1]
	v_mad_u64_u32 v[2:3], s[2:3], v3, s3, v[2:3]
.LBB22_32:
	s_and_b64 vcc, exec, s[0:1]
	v_add_u32_e32 v1, 0x80, v24
	s_cbranch_vccnz .LBB22_39
; %bb.33:
	s_mov_b32 s2, 0
	s_cmp_lg_u32 s33, 0
	v_mov_b32_e32 v6, 0
	v_mov_b32_e32 v4, 0
	s_cbranch_scc0 .LBB22_38
; %bb.34:
	s_min_u32 s30, s60, 15
	s_add_i32 s30, s30, 1
	s_cmp_eq_u32 s60, 2
	s_cbranch_scc1 .LBB22_40
; %bb.35:
	s_add_u32 s6, s4, 0xc4
	s_addc_u32 s7, s5, 0
	s_and_b32 s2, s30, 28
	s_mov_b32 s3, 0
	v_mov_b32_e32 v4, 0
	s_mov_b64 s[28:29], s[4:5]
	v_mov_b32_e32 v3, v1
	v_mov_b32_e32 v6, 0
.LBB22_36:                              ; =>This Inner Loop Header: Depth=1
	s_load_dwordx8 s[16:23], s[28:29], 0x4
	s_load_dwordx4 s[24:27], s[28:29], 0x24
	s_load_dwordx8 s[8:15], s[6:7], 0x0
	s_add_u32 s28, s28, 48
	s_addc_u32 s29, s29, 0
	s_waitcnt lgkmcnt(0)
	v_mul_hi_u32 v5, s17, v3
	v_add_u32_e32 v5, v3, v5
	v_lshrrev_b32_e32 v5, s18, v5
	v_mul_lo_u32 v7, v5, s16
	v_mul_hi_u32 v8, s20, v5
	v_sub_u32_e32 v3, v3, v7
	v_add_u32_e32 v7, v5, v8
	v_lshrrev_b32_e32 v7, s21, v7
	v_mul_lo_u32 v9, v7, s19
	v_mul_hi_u32 v10, s23, v7
	v_sub_u32_e32 v5, v5, v9
	v_add_u32_e32 v9, v7, v10
	v_mul_lo_u32 v8, v3, s9
	v_mul_lo_u32 v3, v3, s8
	;; [unrolled: 1-line block ×4, first 2 shown]
	v_lshrrev_b32_e32 v9, s24, v9
	v_add3_u32 v4, v3, v4, v5
	v_add3_u32 v5, v8, v6, v10
	v_mul_lo_u32 v3, v9, s22
	v_mul_hi_u32 v6, s26, v9
	v_sub_u32_e32 v3, v7, v3
	v_add_u32_e32 v6, v9, v6
	v_mul_lo_u32 v7, v3, s12
	v_mul_lo_u32 v8, v3, s13
	v_lshrrev_b32_e32 v3, s27, v6
	s_add_i32 s3, s3, 4
	v_mul_lo_u32 v6, v3, s25
	s_add_u32 s6, s6, 32
	v_sub_u32_e32 v6, v9, v6
	s_addc_u32 s7, s7, 0
	v_mul_lo_u32 v9, v6, s14
	v_mul_lo_u32 v6, v6, s15
	s_cmp_lg_u32 s2, s3
	v_add3_u32 v6, v8, v5, v6
	v_add3_u32 v4, v7, v4, v9
	s_cbranch_scc1 .LBB22_36
; %bb.37:
	v_mov_b32_e32 v5, v6
	s_and_b32 s8, s30, 3
	s_cmp_eq_u32 s8, 0
	s_cbranch_scc0 .LBB22_41
.LBB22_38:
	s_cbranch_execz .LBB22_44
	s_branch .LBB22_46
.LBB22_39:
                                        ; implicit-def: $vgpr6
                                        ; implicit-def: $vgpr4
	s_branch .LBB22_44
.LBB22_40:
	s_mov_b32 s3, s2
	v_pk_mov_b32 v[4:5], s[2:3], s[2:3] op_sel:[0,1]
                                        ; implicit-def: $vgpr6
	v_mov_b32_e32 v3, v1
	s_and_b32 s8, s30, 3
	s_cmp_eq_u32 s8, 0
	s_cbranch_scc1 .LBB22_38
.LBB22_41:
	s_lshl_b32 s3, s2, 3
	s_add_u32 s3, s3, s4
	s_addc_u32 s7, 0, s5
	s_add_u32 s6, s3, 0xc4
	s_addc_u32 s7, s7, 0
	s_mul_i32 s2, s2, 12
	s_add_u32 s2, s4, s2
	s_addc_u32 s3, 0, s5
.LBB22_42:                              ; =>This Inner Loop Header: Depth=1
	s_load_dwordx2 s[10:11], s[2:3], 0x4
	s_load_dword s9, s[2:3], 0xc
	s_load_dwordx2 s[12:13], s[6:7], 0x0
	v_mov_b32_e32 v6, v5
	s_add_u32 s2, s2, 12
	s_waitcnt lgkmcnt(0)
	v_mul_hi_u32 v5, s11, v3
	v_add_u32_e32 v5, v3, v5
	v_lshrrev_b32_e32 v5, s9, v5
	s_addc_u32 s3, s3, 0
	v_mul_lo_u32 v7, v5, s10
	s_add_u32 s6, s6, 8
	v_sub_u32_e32 v8, v3, v7
	s_addc_u32 s7, s7, 0
	s_add_i32 s8, s8, -1
	v_mov_b32_e32 v3, v5
	v_mad_u64_u32 v[6:7], s[10:11], v8, s13, v[6:7]
	v_mad_u64_u32 v[4:5], s[10:11], v8, s12, v[4:5]
	s_cmp_lg_u32 s8, 0
	v_mov_b32_e32 v5, v6
	s_cbranch_scc1 .LBB22_42
; %bb.43:
	v_mov_b32_e32 v6, v5
	s_cbranch_execnz .LBB22_46
.LBB22_44:
	s_load_dwordx4 s[8:11], s[4:5], 0x4
	s_load_dwordx2 s[2:3], s[4:5], 0xc4
	s_cmp_lt_u32 s33, 2
	s_waitcnt lgkmcnt(0)
	v_mul_hi_u32 v3, s9, v1
	v_add_u32_e32 v3, v1, v3
	v_lshrrev_b32_e32 v3, s10, v3
	v_mul_lo_u32 v4, v3, s8
	v_sub_u32_e32 v1, v1, v4
	v_mul_lo_u32 v6, v1, s3
	v_mul_lo_u32 v4, v1, s2
	s_cbranch_scc1 .LBB22_46
; %bb.45:
	s_load_dwordx4 s[8:11], s[4:5], 0x10
	s_load_dwordx2 s[2:3], s[4:5], 0xcc
	s_waitcnt lgkmcnt(0)
	v_mul_hi_u32 v1, s9, v3
	v_add_u32_e32 v1, v3, v1
	v_lshrrev_b32_e32 v1, s10, v1
	v_mul_lo_u32 v1, v1, s8
	v_sub_u32_e32 v1, v3, v1
	v_mad_u64_u32 v[4:5], s[6:7], v1, s2, v[4:5]
	v_mad_u64_u32 v[6:7], s[2:3], v1, s3, v[6:7]
.LBB22_46:
	s_and_b64 vcc, exec, s[0:1]
	v_add_u32_e32 v1, 0x100, v24
	s_cbranch_vccnz .LBB22_53
; %bb.47:
	s_mov_b32 s2, 0
	s_cmp_lg_u32 s33, 0
	v_mov_b32_e32 v10, 0
	v_mov_b32_e32 v8, 0
	s_cbranch_scc0 .LBB22_52
; %bb.48:
	s_min_u32 s30, s60, 15
	s_add_i32 s30, s30, 1
	s_cmp_eq_u32 s60, 2
	s_cbranch_scc1 .LBB22_54
; %bb.49:
	s_add_u32 s6, s4, 0xc4
	s_addc_u32 s7, s5, 0
	s_and_b32 s2, s30, 28
	s_mov_b32 s3, 0
	v_mov_b32_e32 v8, 0
	s_mov_b64 s[28:29], s[4:5]
	v_mov_b32_e32 v3, v1
	v_mov_b32_e32 v10, 0
.LBB22_50:                              ; =>This Inner Loop Header: Depth=1
	s_load_dwordx8 s[16:23], s[28:29], 0x4
	s_load_dwordx4 s[24:27], s[28:29], 0x24
	s_load_dwordx8 s[8:15], s[6:7], 0x0
	s_add_u32 s28, s28, 48
	s_addc_u32 s29, s29, 0
	s_waitcnt lgkmcnt(0)
	v_mul_hi_u32 v5, s17, v3
	v_add_u32_e32 v5, v3, v5
	v_lshrrev_b32_e32 v5, s18, v5
	v_mul_lo_u32 v7, v5, s16
	v_mul_hi_u32 v9, s20, v5
	v_sub_u32_e32 v3, v3, v7
	v_add_u32_e32 v7, v5, v9
	v_lshrrev_b32_e32 v7, s21, v7
	v_mul_lo_u32 v11, v7, s19
	v_mul_hi_u32 v12, s23, v7
	v_sub_u32_e32 v5, v5, v11
	v_add_u32_e32 v11, v7, v12
	v_mul_lo_u32 v9, v3, s9
	v_mul_lo_u32 v3, v3, s8
	;; [unrolled: 1-line block ×4, first 2 shown]
	v_lshrrev_b32_e32 v11, s24, v11
	v_add3_u32 v5, v3, v8, v5
	v_add3_u32 v8, v9, v10, v12
	v_mul_lo_u32 v3, v11, s22
	v_mul_hi_u32 v9, s26, v11
	v_sub_u32_e32 v3, v7, v3
	v_add_u32_e32 v7, v11, v9
	v_mul_lo_u32 v9, v3, s12
	v_mul_lo_u32 v10, v3, s13
	v_lshrrev_b32_e32 v3, s27, v7
	s_add_i32 s3, s3, 4
	v_mul_lo_u32 v7, v3, s25
	s_add_u32 s6, s6, 32
	v_sub_u32_e32 v7, v11, v7
	s_addc_u32 s7, s7, 0
	v_mul_lo_u32 v11, v7, s14
	v_mul_lo_u32 v7, v7, s15
	s_cmp_lg_u32 s2, s3
	v_add3_u32 v10, v10, v8, v7
	v_add3_u32 v8, v9, v5, v11
	s_cbranch_scc1 .LBB22_50
; %bb.51:
	v_mov_b32_e32 v9, v10
	s_and_b32 s8, s30, 3
	s_cmp_eq_u32 s8, 0
	s_cbranch_scc0 .LBB22_55
.LBB22_52:
	s_cbranch_execz .LBB22_58
	s_branch .LBB22_60
.LBB22_53:
                                        ; implicit-def: $vgpr10
                                        ; implicit-def: $vgpr8
	s_branch .LBB22_58
.LBB22_54:
	s_mov_b32 s3, s2
	v_pk_mov_b32 v[8:9], s[2:3], s[2:3] op_sel:[0,1]
                                        ; implicit-def: $vgpr10
	v_mov_b32_e32 v3, v1
	s_and_b32 s8, s30, 3
	s_cmp_eq_u32 s8, 0
	s_cbranch_scc1 .LBB22_52
.LBB22_55:
	s_lshl_b32 s3, s2, 3
	s_add_u32 s3, s3, s4
	s_addc_u32 s7, 0, s5
	s_add_u32 s6, s3, 0xc4
	s_addc_u32 s7, s7, 0
	s_mul_i32 s2, s2, 12
	s_add_u32 s2, s4, s2
	s_addc_u32 s3, 0, s5
.LBB22_56:                              ; =>This Inner Loop Header: Depth=1
	s_load_dwordx2 s[10:11], s[2:3], 0x4
	s_load_dword s9, s[2:3], 0xc
	s_load_dwordx2 s[12:13], s[6:7], 0x0
	s_add_u32 s2, s2, 12
	s_addc_u32 s3, s3, 0
	s_waitcnt lgkmcnt(0)
	v_mul_hi_u32 v5, s11, v3
	v_add_u32_e32 v5, v3, v5
	v_lshrrev_b32_e32 v5, s9, v5
	v_mul_lo_u32 v7, v5, s10
	v_mov_b32_e32 v10, v9
	s_add_u32 s6, s6, 8
	v_sub_u32_e32 v7, v3, v7
	s_addc_u32 s7, s7, 0
	s_add_i32 s8, s8, -1
	v_mad_u64_u32 v[10:11], s[10:11], v7, s13, v[10:11]
	v_mad_u64_u32 v[8:9], s[10:11], v7, s12, v[8:9]
	s_cmp_lg_u32 s8, 0
	v_mov_b32_e32 v3, v5
	v_mov_b32_e32 v9, v10
	s_cbranch_scc1 .LBB22_56
; %bb.57:
	v_mov_b32_e32 v10, v9
	s_cbranch_execnz .LBB22_60
.LBB22_58:
	s_load_dwordx4 s[8:11], s[4:5], 0x4
	s_load_dwordx2 s[2:3], s[4:5], 0xc4
	s_cmp_lt_u32 s33, 2
	s_waitcnt lgkmcnt(0)
	v_mul_hi_u32 v3, s9, v1
	v_add_u32_e32 v3, v1, v3
	v_lshrrev_b32_e32 v3, s10, v3
	v_mul_lo_u32 v5, v3, s8
	v_sub_u32_e32 v1, v1, v5
	v_mul_lo_u32 v10, v1, s3
	v_mul_lo_u32 v8, v1, s2
	s_cbranch_scc1 .LBB22_60
; %bb.59:
	s_load_dwordx4 s[8:11], s[4:5], 0x10
	s_load_dwordx2 s[2:3], s[4:5], 0xcc
	s_waitcnt lgkmcnt(0)
	v_mul_hi_u32 v1, s9, v3
	v_add_u32_e32 v1, v3, v1
	v_lshrrev_b32_e32 v1, s10, v1
	v_mul_lo_u32 v1, v1, s8
	v_sub_u32_e32 v1, v3, v1
	v_mad_u64_u32 v[8:9], s[6:7], v1, s2, v[8:9]
	v_mad_u64_u32 v[10:11], s[2:3], v1, s3, v[10:11]
.LBB22_60:
	s_and_b64 vcc, exec, s[0:1]
	v_add_u32_e32 v1, 0x180, v24
	s_cbranch_vccnz .LBB22_67
; %bb.61:
	s_mov_b32 s2, 0
	s_cmp_lg_u32 s33, 0
	v_mov_b32_e32 v14, 0
	v_mov_b32_e32 v12, 0
	s_cbranch_scc0 .LBB22_66
; %bb.62:
	s_min_u32 s30, s60, 15
	s_add_i32 s30, s30, 1
	s_cmp_eq_u32 s60, 2
	s_cbranch_scc1 .LBB22_68
; %bb.63:
	s_add_u32 s6, s4, 0xc4
	s_addc_u32 s7, s5, 0
	s_and_b32 s2, s30, 28
	s_mov_b32 s3, 0
	v_mov_b32_e32 v12, 0
	s_mov_b64 s[28:29], s[4:5]
	v_mov_b32_e32 v3, v1
	v_mov_b32_e32 v14, 0
.LBB22_64:                              ; =>This Inner Loop Header: Depth=1
	s_load_dwordx8 s[16:23], s[28:29], 0x4
	s_load_dwordx4 s[24:27], s[28:29], 0x24
	s_load_dwordx8 s[8:15], s[6:7], 0x0
	s_add_u32 s28, s28, 48
	s_addc_u32 s29, s29, 0
	s_waitcnt lgkmcnt(0)
	v_mul_hi_u32 v5, s17, v3
	v_add_u32_e32 v5, v3, v5
	v_lshrrev_b32_e32 v5, s18, v5
	v_mul_lo_u32 v7, v5, s16
	v_mul_hi_u32 v9, s20, v5
	v_sub_u32_e32 v3, v3, v7
	v_add_u32_e32 v7, v5, v9
	v_lshrrev_b32_e32 v7, s21, v7
	v_mul_lo_u32 v11, v7, s19
	v_mul_hi_u32 v13, s23, v7
	v_sub_u32_e32 v5, v5, v11
	v_add_u32_e32 v11, v7, v13
	v_mul_lo_u32 v9, v3, s9
	v_mul_lo_u32 v3, v3, s8
	;; [unrolled: 1-line block ×4, first 2 shown]
	v_lshrrev_b32_e32 v11, s24, v11
	v_add3_u32 v5, v3, v12, v5
	v_mul_lo_u32 v3, v11, s22
	v_mul_hi_u32 v12, s26, v11
	v_sub_u32_e32 v3, v7, v3
	v_add_u32_e32 v7, v11, v12
	v_add3_u32 v9, v9, v14, v13
	v_mul_lo_u32 v12, v3, s12
	v_mul_lo_u32 v13, v3, s13
	v_lshrrev_b32_e32 v3, s27, v7
	s_add_i32 s3, s3, 4
	v_mul_lo_u32 v7, v3, s25
	s_add_u32 s6, s6, 32
	v_sub_u32_e32 v7, v11, v7
	s_addc_u32 s7, s7, 0
	v_mul_lo_u32 v11, v7, s14
	v_mul_lo_u32 v7, v7, s15
	s_cmp_lg_u32 s2, s3
	v_add3_u32 v14, v13, v9, v7
	v_add3_u32 v12, v12, v5, v11
	s_cbranch_scc1 .LBB22_64
; %bb.65:
	v_mov_b32_e32 v13, v14
	s_and_b32 s8, s30, 3
	s_cmp_eq_u32 s8, 0
	s_cbranch_scc0 .LBB22_69
.LBB22_66:
	s_cbranch_execz .LBB22_72
	s_branch .LBB22_74
.LBB22_67:
                                        ; implicit-def: $vgpr14
                                        ; implicit-def: $vgpr12
	s_branch .LBB22_72
.LBB22_68:
	s_mov_b32 s3, s2
	v_pk_mov_b32 v[12:13], s[2:3], s[2:3] op_sel:[0,1]
                                        ; implicit-def: $vgpr14
	v_mov_b32_e32 v3, v1
	s_and_b32 s8, s30, 3
	s_cmp_eq_u32 s8, 0
	s_cbranch_scc1 .LBB22_66
.LBB22_69:
	s_lshl_b32 s3, s2, 3
	s_add_u32 s3, s3, s4
	s_addc_u32 s7, 0, s5
	s_add_u32 s6, s3, 0xc4
	s_addc_u32 s7, s7, 0
	s_mul_i32 s2, s2, 12
	s_add_u32 s2, s4, s2
	s_addc_u32 s3, 0, s5
.LBB22_70:                              ; =>This Inner Loop Header: Depth=1
	s_load_dwordx2 s[10:11], s[2:3], 0x4
	s_load_dword s9, s[2:3], 0xc
	s_load_dwordx2 s[12:13], s[6:7], 0x0
	s_add_u32 s2, s2, 12
	s_addc_u32 s3, s3, 0
	s_waitcnt lgkmcnt(0)
	v_mul_hi_u32 v5, s11, v3
	v_add_u32_e32 v5, v3, v5
	v_lshrrev_b32_e32 v5, s9, v5
	v_mul_lo_u32 v7, v5, s10
	v_mov_b32_e32 v14, v13
	s_add_u32 s6, s6, 8
	v_sub_u32_e32 v7, v3, v7
	s_addc_u32 s7, s7, 0
	s_add_i32 s8, s8, -1
	v_mad_u64_u32 v[14:15], s[10:11], v7, s13, v[14:15]
	v_mad_u64_u32 v[12:13], s[10:11], v7, s12, v[12:13]
	s_cmp_lg_u32 s8, 0
	v_mov_b32_e32 v3, v5
	v_mov_b32_e32 v13, v14
	s_cbranch_scc1 .LBB22_70
; %bb.71:
	v_mov_b32_e32 v14, v13
	s_cbranch_execnz .LBB22_74
.LBB22_72:
	s_load_dwordx4 s[8:11], s[4:5], 0x4
	s_load_dwordx2 s[2:3], s[4:5], 0xc4
	s_cmp_lt_u32 s33, 2
	s_waitcnt lgkmcnt(0)
	v_mul_hi_u32 v3, s9, v1
	v_add_u32_e32 v3, v1, v3
	v_lshrrev_b32_e32 v3, s10, v3
	v_mul_lo_u32 v5, v3, s8
	v_sub_u32_e32 v1, v1, v5
	v_mul_lo_u32 v14, v1, s3
	v_mul_lo_u32 v12, v1, s2
	s_cbranch_scc1 .LBB22_74
; %bb.73:
	s_load_dwordx4 s[8:11], s[4:5], 0x10
	s_load_dwordx2 s[2:3], s[4:5], 0xcc
	s_waitcnt lgkmcnt(0)
	v_mul_hi_u32 v1, s9, v3
	v_add_u32_e32 v1, v3, v1
	v_lshrrev_b32_e32 v1, s10, v1
	v_mul_lo_u32 v1, v1, s8
	v_sub_u32_e32 v1, v3, v1
	v_mad_u64_u32 v[12:13], s[6:7], v1, s2, v[12:13]
	v_mad_u64_u32 v[14:15], s[2:3], v1, s3, v[14:15]
.LBB22_74:
	s_and_b64 vcc, exec, s[0:1]
	v_add_u32_e32 v1, 0x200, v24
	s_cbranch_vccnz .LBB22_81
; %bb.75:
	s_mov_b32 s2, 0
	s_cmp_lg_u32 s33, 0
	v_mov_b32_e32 v18, 0
	v_mov_b32_e32 v16, 0
	s_cbranch_scc0 .LBB22_80
; %bb.76:
	s_min_u32 s30, s60, 15
	s_add_i32 s30, s30, 1
	s_cmp_eq_u32 s60, 2
	s_cbranch_scc1 .LBB22_82
; %bb.77:
	s_add_u32 s6, s4, 0xc4
	s_addc_u32 s7, s5, 0
	s_and_b32 s2, s30, 28
	s_mov_b32 s3, 0
	v_mov_b32_e32 v16, 0
	s_mov_b64 s[28:29], s[4:5]
	v_mov_b32_e32 v3, v1
	v_mov_b32_e32 v18, 0
.LBB22_78:                              ; =>This Inner Loop Header: Depth=1
	s_load_dwordx8 s[16:23], s[28:29], 0x4
	s_load_dwordx4 s[24:27], s[28:29], 0x24
	s_load_dwordx8 s[8:15], s[6:7], 0x0
	s_add_u32 s28, s28, 48
	s_addc_u32 s29, s29, 0
	s_waitcnt lgkmcnt(0)
	v_mul_hi_u32 v5, s17, v3
	v_add_u32_e32 v5, v3, v5
	v_lshrrev_b32_e32 v5, s18, v5
	v_mul_lo_u32 v7, v5, s16
	v_mul_hi_u32 v9, s20, v5
	v_sub_u32_e32 v3, v3, v7
	v_add_u32_e32 v7, v5, v9
	v_lshrrev_b32_e32 v7, s21, v7
	v_mul_lo_u32 v11, v7, s19
	v_mul_hi_u32 v13, s23, v7
	v_sub_u32_e32 v5, v5, v11
	v_add_u32_e32 v11, v7, v13
	v_mul_lo_u32 v9, v3, s9
	v_mul_lo_u32 v3, v3, s8
	;; [unrolled: 1-line block ×4, first 2 shown]
	v_lshrrev_b32_e32 v11, s24, v11
	v_add3_u32 v5, v3, v16, v5
	v_add3_u32 v9, v9, v18, v13
	v_mul_lo_u32 v3, v11, s22
	v_mul_hi_u32 v13, s26, v11
	v_sub_u32_e32 v3, v7, v3
	v_add_u32_e32 v7, v11, v13
	v_mul_lo_u32 v13, v3, s12
	v_mul_lo_u32 v15, v3, s13
	v_lshrrev_b32_e32 v3, s27, v7
	s_add_i32 s3, s3, 4
	v_mul_lo_u32 v7, v3, s25
	s_add_u32 s6, s6, 32
	v_sub_u32_e32 v7, v11, v7
	s_addc_u32 s7, s7, 0
	v_mul_lo_u32 v11, v7, s14
	v_mul_lo_u32 v7, v7, s15
	s_cmp_lg_u32 s2, s3
	v_add3_u32 v18, v15, v9, v7
	v_add3_u32 v16, v13, v5, v11
	s_cbranch_scc1 .LBB22_78
; %bb.79:
	v_mov_b32_e32 v17, v18
	s_and_b32 s8, s30, 3
	s_cmp_eq_u32 s8, 0
	s_cbranch_scc0 .LBB22_83
.LBB22_80:
	s_cbranch_execz .LBB22_86
	s_branch .LBB22_88
.LBB22_81:
                                        ; implicit-def: $vgpr18
                                        ; implicit-def: $vgpr16
	s_branch .LBB22_86
.LBB22_82:
	s_mov_b32 s3, s2
	v_pk_mov_b32 v[16:17], s[2:3], s[2:3] op_sel:[0,1]
                                        ; implicit-def: $vgpr18
	v_mov_b32_e32 v3, v1
	s_and_b32 s8, s30, 3
	s_cmp_eq_u32 s8, 0
	s_cbranch_scc1 .LBB22_80
.LBB22_83:
	s_lshl_b32 s3, s2, 3
	s_add_u32 s3, s3, s4
	s_addc_u32 s7, 0, s5
	s_add_u32 s6, s3, 0xc4
	s_addc_u32 s7, s7, 0
	s_mul_i32 s2, s2, 12
	s_add_u32 s2, s4, s2
	s_addc_u32 s3, 0, s5
.LBB22_84:                              ; =>This Inner Loop Header: Depth=1
	s_load_dwordx2 s[10:11], s[2:3], 0x4
	s_load_dword s9, s[2:3], 0xc
	s_load_dwordx2 s[12:13], s[6:7], 0x0
	s_add_u32 s2, s2, 12
	s_addc_u32 s3, s3, 0
	s_waitcnt lgkmcnt(0)
	v_mul_hi_u32 v5, s11, v3
	v_add_u32_e32 v5, v3, v5
	v_lshrrev_b32_e32 v5, s9, v5
	v_mul_lo_u32 v7, v5, s10
	v_mov_b32_e32 v18, v17
	s_add_u32 s6, s6, 8
	v_sub_u32_e32 v7, v3, v7
	s_addc_u32 s7, s7, 0
	s_add_i32 s8, s8, -1
	v_mad_u64_u32 v[18:19], s[10:11], v7, s13, v[18:19]
	v_mad_u64_u32 v[16:17], s[10:11], v7, s12, v[16:17]
	s_cmp_lg_u32 s8, 0
	v_mov_b32_e32 v3, v5
	v_mov_b32_e32 v17, v18
	s_cbranch_scc1 .LBB22_84
; %bb.85:
	v_mov_b32_e32 v18, v17
	s_cbranch_execnz .LBB22_88
.LBB22_86:
	s_load_dwordx4 s[8:11], s[4:5], 0x4
	s_load_dwordx2 s[2:3], s[4:5], 0xc4
	s_cmp_lt_u32 s33, 2
	s_waitcnt lgkmcnt(0)
	v_mul_hi_u32 v3, s9, v1
	v_add_u32_e32 v3, v1, v3
	v_lshrrev_b32_e32 v3, s10, v3
	v_mul_lo_u32 v5, v3, s8
	v_sub_u32_e32 v1, v1, v5
	v_mul_lo_u32 v18, v1, s3
	v_mul_lo_u32 v16, v1, s2
	s_cbranch_scc1 .LBB22_88
; %bb.87:
	s_load_dwordx4 s[8:11], s[4:5], 0x10
	s_load_dwordx2 s[2:3], s[4:5], 0xcc
	s_waitcnt lgkmcnt(0)
	v_mul_hi_u32 v1, s9, v3
	v_add_u32_e32 v1, v3, v1
	v_lshrrev_b32_e32 v1, s10, v1
	v_mul_lo_u32 v1, v1, s8
	v_sub_u32_e32 v1, v3, v1
	v_mad_u64_u32 v[16:17], s[6:7], v1, s2, v[16:17]
	v_mad_u64_u32 v[18:19], s[2:3], v1, s3, v[18:19]
.LBB22_88:
	s_and_b64 vcc, exec, s[0:1]
	v_add_u32_e32 v1, 0x280, v24
	s_cbranch_vccnz .LBB22_95
; %bb.89:
	s_mov_b32 s2, 0
	s_cmp_lg_u32 s33, 0
	v_mov_b32_e32 v22, 0
	v_mov_b32_e32 v20, 0
	s_cbranch_scc0 .LBB22_94
; %bb.90:
	s_min_u32 s30, s60, 15
	s_add_i32 s30, s30, 1
	s_cmp_eq_u32 s60, 2
	s_cbranch_scc1 .LBB22_96
; %bb.91:
	s_add_u32 s6, s4, 0xc4
	s_addc_u32 s7, s5, 0
	s_and_b32 s2, s30, 28
	s_mov_b32 s3, 0
	v_mov_b32_e32 v20, 0
	s_mov_b64 s[28:29], s[4:5]
	v_mov_b32_e32 v3, v1
	v_mov_b32_e32 v22, 0
.LBB22_92:                              ; =>This Inner Loop Header: Depth=1
	s_load_dwordx8 s[16:23], s[28:29], 0x4
	s_load_dwordx4 s[24:27], s[28:29], 0x24
	s_load_dwordx8 s[8:15], s[6:7], 0x0
	s_add_u32 s28, s28, 48
	s_addc_u32 s29, s29, 0
	s_waitcnt lgkmcnt(0)
	v_mul_hi_u32 v5, s17, v3
	v_add_u32_e32 v5, v3, v5
	v_lshrrev_b32_e32 v5, s18, v5
	v_mul_lo_u32 v7, v5, s16
	v_mul_hi_u32 v9, s20, v5
	v_sub_u32_e32 v3, v3, v7
	v_add_u32_e32 v7, v5, v9
	v_lshrrev_b32_e32 v7, s21, v7
	v_mul_lo_u32 v11, v7, s19
	v_mul_hi_u32 v13, s23, v7
	v_sub_u32_e32 v5, v5, v11
	v_add_u32_e32 v11, v7, v13
	v_mul_lo_u32 v9, v3, s9
	v_mul_lo_u32 v3, v3, s8
	;; [unrolled: 1-line block ×4, first 2 shown]
	v_lshrrev_b32_e32 v11, s24, v11
	v_add3_u32 v5, v3, v20, v5
	v_add3_u32 v9, v9, v22, v13
	v_mul_lo_u32 v3, v11, s22
	v_mul_hi_u32 v13, s26, v11
	v_sub_u32_e32 v3, v7, v3
	v_add_u32_e32 v7, v11, v13
	v_mul_lo_u32 v13, v3, s12
	v_mul_lo_u32 v15, v3, s13
	v_lshrrev_b32_e32 v3, s27, v7
	s_add_i32 s3, s3, 4
	v_mul_lo_u32 v7, v3, s25
	s_add_u32 s6, s6, 32
	v_sub_u32_e32 v7, v11, v7
	s_addc_u32 s7, s7, 0
	v_mul_lo_u32 v11, v7, s14
	v_mul_lo_u32 v7, v7, s15
	s_cmp_lg_u32 s2, s3
	v_add3_u32 v22, v15, v9, v7
	v_add3_u32 v20, v13, v5, v11
	s_cbranch_scc1 .LBB22_92
; %bb.93:
	v_mov_b32_e32 v21, v22
	s_and_b32 s8, s30, 3
	s_cmp_eq_u32 s8, 0
	s_cbranch_scc0 .LBB22_97
.LBB22_94:
	s_cbranch_execz .LBB22_100
	s_branch .LBB22_102
.LBB22_95:
                                        ; implicit-def: $vgpr22
                                        ; implicit-def: $vgpr20
	s_branch .LBB22_100
.LBB22_96:
	s_mov_b32 s3, s2
	v_pk_mov_b32 v[20:21], s[2:3], s[2:3] op_sel:[0,1]
                                        ; implicit-def: $vgpr22
	v_mov_b32_e32 v3, v1
	s_and_b32 s8, s30, 3
	s_cmp_eq_u32 s8, 0
	s_cbranch_scc1 .LBB22_94
.LBB22_97:
	s_lshl_b32 s3, s2, 3
	s_add_u32 s3, s3, s4
	s_addc_u32 s7, 0, s5
	s_add_u32 s6, s3, 0xc4
	s_addc_u32 s7, s7, 0
	s_mul_i32 s2, s2, 12
	s_add_u32 s2, s4, s2
	s_addc_u32 s3, 0, s5
.LBB22_98:                              ; =>This Inner Loop Header: Depth=1
	s_load_dwordx2 s[10:11], s[2:3], 0x4
	s_load_dword s9, s[2:3], 0xc
	s_load_dwordx2 s[12:13], s[6:7], 0x0
	s_add_u32 s2, s2, 12
	s_addc_u32 s3, s3, 0
	s_waitcnt lgkmcnt(0)
	v_mul_hi_u32 v5, s11, v3
	v_add_u32_e32 v5, v3, v5
	v_lshrrev_b32_e32 v5, s9, v5
	v_mul_lo_u32 v7, v5, s10
	v_mov_b32_e32 v22, v21
	s_add_u32 s6, s6, 8
	v_sub_u32_e32 v7, v3, v7
	s_addc_u32 s7, s7, 0
	s_add_i32 s8, s8, -1
	v_mad_u64_u32 v[22:23], s[10:11], v7, s13, v[22:23]
	v_mad_u64_u32 v[20:21], s[10:11], v7, s12, v[20:21]
	s_cmp_lg_u32 s8, 0
	v_mov_b32_e32 v3, v5
	v_mov_b32_e32 v21, v22
	s_cbranch_scc1 .LBB22_98
; %bb.99:
	v_mov_b32_e32 v22, v21
	s_cbranch_execnz .LBB22_102
.LBB22_100:
	s_load_dwordx4 s[8:11], s[4:5], 0x4
	s_load_dwordx2 s[2:3], s[4:5], 0xc4
	s_cmp_lt_u32 s33, 2
	s_waitcnt lgkmcnt(0)
	v_mul_hi_u32 v3, s9, v1
	v_add_u32_e32 v3, v1, v3
	v_lshrrev_b32_e32 v3, s10, v3
	v_mul_lo_u32 v5, v3, s8
	v_sub_u32_e32 v1, v1, v5
	v_mul_lo_u32 v22, v1, s3
	v_mul_lo_u32 v20, v1, s2
	s_cbranch_scc1 .LBB22_102
; %bb.101:
	s_load_dwordx4 s[8:11], s[4:5], 0x10
	s_load_dwordx2 s[2:3], s[4:5], 0xcc
	s_waitcnt lgkmcnt(0)
	v_mul_hi_u32 v1, s9, v3
	v_add_u32_e32 v1, v3, v1
	v_lshrrev_b32_e32 v1, s10, v1
	v_mul_lo_u32 v1, v1, s8
	v_sub_u32_e32 v1, v3, v1
	v_mad_u64_u32 v[20:21], s[6:7], v1, s2, v[20:21]
	v_mad_u64_u32 v[22:23], s[2:3], v1, s3, v[22:23]
.LBB22_102:
	s_and_b64 vcc, exec, s[0:1]
	v_add_u32_e32 v1, 0x300, v24
	s_cbranch_vccnz .LBB22_109
; %bb.103:
	s_mov_b32 s2, 0
	s_cmp_lg_u32 s33, 0
	v_mov_b32_e32 v26, 0
	v_mov_b32_e32 v24, 0
	s_cbranch_scc0 .LBB22_108
; %bb.104:
	s_min_u32 s30, s60, 15
	s_add_i32 s30, s30, 1
	s_cmp_eq_u32 s60, 2
	s_cbranch_scc1 .LBB22_110
; %bb.105:
	s_add_u32 s6, s4, 0xc4
	s_addc_u32 s7, s5, 0
	s_and_b32 s2, s30, 28
	s_mov_b32 s3, 0
	v_mov_b32_e32 v24, 0
	s_mov_b64 s[28:29], s[4:5]
	v_mov_b32_e32 v3, v1
	v_mov_b32_e32 v26, 0
.LBB22_106:                             ; =>This Inner Loop Header: Depth=1
	s_load_dwordx8 s[16:23], s[28:29], 0x4
	s_load_dwordx4 s[24:27], s[28:29], 0x24
	s_load_dwordx8 s[8:15], s[6:7], 0x0
	s_add_u32 s28, s28, 48
	s_addc_u32 s29, s29, 0
	s_waitcnt lgkmcnt(0)
	v_mul_hi_u32 v5, s17, v3
	v_add_u32_e32 v5, v3, v5
	v_lshrrev_b32_e32 v5, s18, v5
	v_mul_lo_u32 v7, v5, s16
	v_mul_hi_u32 v9, s20, v5
	v_sub_u32_e32 v3, v3, v7
	v_add_u32_e32 v7, v5, v9
	v_lshrrev_b32_e32 v7, s21, v7
	v_mul_lo_u32 v11, v7, s19
	v_mul_hi_u32 v13, s23, v7
	v_sub_u32_e32 v5, v5, v11
	v_add_u32_e32 v11, v7, v13
	v_mul_lo_u32 v9, v3, s9
	v_mul_lo_u32 v3, v3, s8
	;; [unrolled: 1-line block ×4, first 2 shown]
	v_lshrrev_b32_e32 v11, s24, v11
	v_add3_u32 v5, v3, v24, v5
	v_add3_u32 v9, v9, v26, v13
	v_mul_lo_u32 v3, v11, s22
	v_mul_hi_u32 v13, s26, v11
	v_sub_u32_e32 v3, v7, v3
	v_add_u32_e32 v7, v11, v13
	v_mul_lo_u32 v13, v3, s12
	v_mul_lo_u32 v15, v3, s13
	v_lshrrev_b32_e32 v3, s27, v7
	s_add_i32 s3, s3, 4
	v_mul_lo_u32 v7, v3, s25
	s_add_u32 s6, s6, 32
	v_sub_u32_e32 v7, v11, v7
	s_addc_u32 s7, s7, 0
	v_mul_lo_u32 v11, v7, s14
	v_mul_lo_u32 v7, v7, s15
	s_cmp_lg_u32 s2, s3
	v_add3_u32 v26, v15, v9, v7
	v_add3_u32 v24, v13, v5, v11
	s_cbranch_scc1 .LBB22_106
; %bb.107:
	v_mov_b32_e32 v25, v26
	s_and_b32 s8, s30, 3
	s_cmp_eq_u32 s8, 0
	s_cbranch_scc0 .LBB22_111
.LBB22_108:
	s_cbranch_execz .LBB22_114
	s_branch .LBB22_116
.LBB22_109:
                                        ; implicit-def: $vgpr26
                                        ; implicit-def: $vgpr24
	s_branch .LBB22_114
.LBB22_110:
	s_mov_b32 s3, s2
	v_pk_mov_b32 v[24:25], s[2:3], s[2:3] op_sel:[0,1]
                                        ; implicit-def: $vgpr26
	v_mov_b32_e32 v3, v1
	s_and_b32 s8, s30, 3
	s_cmp_eq_u32 s8, 0
	s_cbranch_scc1 .LBB22_108
.LBB22_111:
	s_lshl_b32 s3, s2, 3
	s_add_u32 s3, s3, s4
	s_addc_u32 s7, 0, s5
	s_add_u32 s6, s3, 0xc4
	s_addc_u32 s7, s7, 0
	s_mul_i32 s2, s2, 12
	s_add_u32 s2, s4, s2
	s_addc_u32 s3, 0, s5
.LBB22_112:                             ; =>This Inner Loop Header: Depth=1
	s_load_dwordx2 s[10:11], s[2:3], 0x4
	s_load_dword s9, s[2:3], 0xc
	s_load_dwordx2 s[12:13], s[6:7], 0x0
	s_add_u32 s2, s2, 12
	s_addc_u32 s3, s3, 0
	s_waitcnt lgkmcnt(0)
	v_mul_hi_u32 v5, s11, v3
	v_add_u32_e32 v5, v3, v5
	v_lshrrev_b32_e32 v5, s9, v5
	v_mul_lo_u32 v7, v5, s10
	v_mov_b32_e32 v26, v25
	s_add_u32 s6, s6, 8
	v_sub_u32_e32 v7, v3, v7
	s_addc_u32 s7, s7, 0
	s_add_i32 s8, s8, -1
	v_mad_u64_u32 v[26:27], s[10:11], v7, s13, v[26:27]
	v_mad_u64_u32 v[24:25], s[10:11], v7, s12, v[24:25]
	s_cmp_lg_u32 s8, 0
	v_mov_b32_e32 v3, v5
	v_mov_b32_e32 v25, v26
	s_cbranch_scc1 .LBB22_112
; %bb.113:
	v_mov_b32_e32 v26, v25
	s_cbranch_execnz .LBB22_116
.LBB22_114:
	s_load_dwordx4 s[8:11], s[4:5], 0x4
	s_load_dwordx2 s[2:3], s[4:5], 0xc4
	s_cmp_lt_u32 s33, 2
	s_waitcnt lgkmcnt(0)
	v_mul_hi_u32 v3, s9, v1
	v_add_u32_e32 v3, v1, v3
	v_lshrrev_b32_e32 v3, s10, v3
	v_mul_lo_u32 v5, v3, s8
	v_sub_u32_e32 v1, v1, v5
	v_mul_lo_u32 v26, v1, s3
	v_mul_lo_u32 v24, v1, s2
	s_cbranch_scc1 .LBB22_116
; %bb.115:
	s_load_dwordx4 s[8:11], s[4:5], 0x10
	s_load_dwordx2 s[2:3], s[4:5], 0xcc
	s_waitcnt lgkmcnt(0)
	v_mul_hi_u32 v1, s9, v3
	v_add_u32_e32 v1, v3, v1
	v_lshrrev_b32_e32 v1, s10, v1
	v_mul_lo_u32 v1, v1, s8
	v_sub_u32_e32 v1, v3, v1
	v_mad_u64_u32 v[24:25], s[6:7], v1, s2, v[24:25]
	v_mad_u64_u32 v[26:27], s[2:3], v1, s3, v[26:27]
.LBB22_116:
	s_and_b64 vcc, exec, s[0:1]
	s_cbranch_vccnz .LBB22_123
; %bb.117:
	s_mov_b32 s6, 0
	s_cmp_lg_u32 s33, 0
	v_mov_b32_e32 v30, 0
	v_mov_b32_e32 v28, 0
	s_cbranch_scc0 .LBB22_122
; %bb.118:
	s_min_u32 s28, s60, 15
	s_add_i32 s28, s28, 1
	s_cmp_eq_u32 s60, 2
	s_cbranch_scc1 .LBB22_124
; %bb.119:
	s_add_u32 s24, s4, 0xc4
	s_addc_u32 s25, s5, 0
	s_and_b32 s6, s28, 28
	s_mov_b32 s7, 0
	v_mov_b32_e32 v28, 0
	s_mov_b64 s[26:27], s[4:5]
	v_mov_b32_e32 v1, v31
	v_mov_b32_e32 v30, 0
.LBB22_120:                             ; =>This Inner Loop Header: Depth=1
	s_load_dwordx8 s[16:23], s[26:27], 0x4
	s_load_dwordx4 s[0:3], s[26:27], 0x24
	s_load_dwordx8 s[8:15], s[24:25], 0x0
	s_add_u32 s26, s26, 48
	s_addc_u32 s27, s27, 0
	s_waitcnt lgkmcnt(0)
	v_mul_hi_u32 v3, s17, v1
	v_add_u32_e32 v3, v1, v3
	v_lshrrev_b32_e32 v3, s18, v3
	v_mul_lo_u32 v5, v3, s16
	v_mul_hi_u32 v7, s20, v3
	v_sub_u32_e32 v1, v1, v5
	v_add_u32_e32 v5, v3, v7
	v_lshrrev_b32_e32 v5, s21, v5
	v_mul_lo_u32 v9, v5, s19
	v_mul_hi_u32 v11, s23, v5
	v_sub_u32_e32 v3, v3, v9
	v_add_u32_e32 v9, v5, v11
	v_mul_lo_u32 v7, v1, s9
	v_mul_lo_u32 v1, v1, s8
	;; [unrolled: 1-line block ×4, first 2 shown]
	v_lshrrev_b32_e32 v9, s0, v9
	v_add3_u32 v3, v1, v28, v3
	v_add3_u32 v7, v7, v30, v11
	v_mul_lo_u32 v1, v9, s22
	v_mul_hi_u32 v11, s2, v9
	v_sub_u32_e32 v1, v5, v1
	v_add_u32_e32 v5, v9, v11
	v_mul_lo_u32 v11, v1, s12
	v_mul_lo_u32 v13, v1, s13
	v_lshrrev_b32_e32 v1, s3, v5
	s_add_i32 s7, s7, 4
	v_mul_lo_u32 v5, v1, s1
	s_add_u32 s24, s24, 32
	v_sub_u32_e32 v5, v9, v5
	s_addc_u32 s25, s25, 0
	v_mul_lo_u32 v9, v5, s14
	v_mul_lo_u32 v5, v5, s15
	s_cmp_lg_u32 s6, s7
	v_add3_u32 v30, v13, v7, v5
	v_add3_u32 v28, v11, v3, v9
	s_cbranch_scc1 .LBB22_120
; %bb.121:
	v_mov_b32_e32 v29, v30
	s_and_b32 s7, s28, 3
	s_cmp_eq_u32 s7, 0
	s_cbranch_scc0 .LBB22_125
.LBB22_122:
	s_cbranch_execz .LBB22_128
	s_branch .LBB22_130
.LBB22_123:
                                        ; implicit-def: $vgpr30
                                        ; implicit-def: $vgpr28
	s_branch .LBB22_128
.LBB22_124:
	s_mov_b32 s7, s6
	v_pk_mov_b32 v[28:29], s[6:7], s[6:7] op_sel:[0,1]
                                        ; implicit-def: $vgpr30
	v_mov_b32_e32 v1, v31
	s_and_b32 s7, s28, 3
	s_cmp_eq_u32 s7, 0
	s_cbranch_scc1 .LBB22_122
.LBB22_125:
	s_lshl_b32 s0, s6, 3
	s_add_u32 s0, s0, s4
	s_addc_u32 s1, 0, s5
	s_add_u32 s0, s0, 0xc4
	s_addc_u32 s1, s1, 0
	s_mul_i32 s2, s6, 12
	s_add_u32 s2, s4, s2
	s_addc_u32 s3, 0, s5
.LBB22_126:                             ; =>This Inner Loop Header: Depth=1
	s_load_dwordx2 s[8:9], s[2:3], 0x4
	s_load_dword s6, s[2:3], 0xc
	s_load_dwordx2 s[10:11], s[0:1], 0x0
	s_add_u32 s2, s2, 12
	s_addc_u32 s3, s3, 0
	s_waitcnt lgkmcnt(0)
	v_mul_hi_u32 v3, s9, v1
	v_add_u32_e32 v3, v1, v3
	v_lshrrev_b32_e32 v3, s6, v3
	v_mul_lo_u32 v5, v3, s8
	v_mov_b32_e32 v30, v29
	s_add_u32 s0, s0, 8
	v_sub_u32_e32 v5, v1, v5
	s_addc_u32 s1, s1, 0
	s_add_i32 s7, s7, -1
	v_mad_u64_u32 v[32:33], s[8:9], v5, s11, v[30:31]
	v_mad_u64_u32 v[28:29], s[8:9], v5, s10, v[28:29]
	s_cmp_lg_u32 s7, 0
	v_mov_b32_e32 v1, v3
	v_mov_b32_e32 v29, v32
	s_cbranch_scc1 .LBB22_126
; %bb.127:
	v_mov_b32_e32 v30, v29
	s_cbranch_execnz .LBB22_130
.LBB22_128:
	s_load_dwordx4 s[0:3], s[4:5], 0x4
	s_load_dwordx2 s[6:7], s[4:5], 0xc4
	s_cmp_lt_u32 s33, 2
	s_waitcnt lgkmcnt(0)
	v_mul_hi_u32 v1, s1, v31
	v_add_u32_e32 v1, v31, v1
	v_lshrrev_b32_e32 v1, s2, v1
	v_mul_lo_u32 v3, v1, s0
	v_sub_u32_e32 v3, v31, v3
	v_mul_lo_u32 v30, v3, s7
	v_mul_lo_u32 v28, v3, s6
	s_cbranch_scc1 .LBB22_130
; %bb.129:
	s_load_dwordx4 s[0:3], s[4:5], 0x10
	s_load_dwordx2 s[6:7], s[4:5], 0xcc
	s_waitcnt lgkmcnt(0)
	v_mul_hi_u32 v3, s1, v1
	v_add_u32_e32 v3, v1, v3
	v_lshrrev_b32_e32 v3, s2, v3
	v_mul_lo_u32 v3, v3, s0
	v_sub_u32_e32 v1, v1, v3
	v_mad_u64_u32 v[28:29], s[0:1], v1, s6, v[28:29]
	v_mad_u64_u32 v[30:31], s[0:1], v1, s7, v[30:31]
.LBB22_130:
	s_load_dwordx4 s[0:3], s[4:5], 0x148
	s_load_dwordx2 s[6:7], s[4:5], 0x160
	s_mov_b32 s10, 0x7f800000
	s_waitcnt lgkmcnt(0)
	global_load_ushort v1, v2, s[2:3]
	s_waitcnt vmcnt(0)
	v_cvt_f32_f16_e32 v2, v1
	v_cmp_nlg_f32_e64 s[12:13], |v2|, s10
	s_and_saveexec_b64 s[8:9], s[12:13]
	s_cbranch_execz .LBB22_132
; %bb.131:
	s_load_dwordx2 s[12:13], s[4:5], 0x158
	v_mov_b32_e32 v3, 0
	v_mov_b32_e32 v5, 1.0
	s_waitcnt lgkmcnt(0)
	global_store_dword v3, v5, s[12:13]
.LBB22_132:
	s_or_b64 exec, exec, s[8:9]
	global_load_ushort v5, v6, s[2:3]
	v_mov_b32_e32 v9, 0
	global_load_dword v3, v9, s[6:7]
	s_waitcnt vmcnt(1)
	v_cvt_f32_f16_e32 v6, v5
	s_waitcnt vmcnt(0)
	v_mov_b32_e32 v7, v3
	v_cmp_nlg_f32_e64 s[10:11], |v6|, s10
	s_and_saveexec_b64 s[8:9], s[10:11]
	s_cbranch_execz .LBB22_134
; %bb.133:
	s_load_dwordx2 s[10:11], s[4:5], 0x158
	v_mov_b32_e32 v7, 1.0
	s_waitcnt lgkmcnt(0)
	global_store_dword v9, v7, s[10:11]
	global_load_dword v7, v9, s[6:7]
.LBB22_134:
	s_or_b64 exec, exec, s[8:9]
	global_load_ushort v9, v10, s[2:3]
	s_mov_b32 s10, 0x7f800000
	s_waitcnt vmcnt(1)
	v_mov_b32_e32 v11, v7
	s_waitcnt vmcnt(0)
	v_cvt_f32_f16_e32 v10, v9
	v_cmp_nlg_f32_e64 s[12:13], |v10|, s10
	s_and_saveexec_b64 s[8:9], s[12:13]
	s_cbranch_execz .LBB22_136
; %bb.135:
	s_load_dwordx2 s[12:13], s[4:5], 0x158
	v_mov_b32_e32 v11, 0
	v_mov_b32_e32 v13, 1.0
	s_waitcnt lgkmcnt(0)
	global_store_dword v11, v13, s[12:13]
	global_load_dword v11, v11, s[6:7]
.LBB22_136:
	s_or_b64 exec, exec, s[8:9]
	global_load_ushort v13, v14, s[2:3]
	s_waitcnt vmcnt(1)
	v_mov_b32_e32 v15, v11
	s_waitcnt vmcnt(0)
	v_cvt_f32_f16_e32 v14, v13
	v_cmp_nlg_f32_e64 s[10:11], |v14|, s10
	s_and_saveexec_b64 s[8:9], s[10:11]
	s_cbranch_execz .LBB22_138
; %bb.137:
	s_load_dwordx2 s[10:11], s[4:5], 0x158
	v_mov_b32_e32 v15, 0
	v_mov_b32_e32 v17, 1.0
	s_waitcnt lgkmcnt(0)
	global_store_dword v15, v17, s[10:11]
	global_load_dword v15, v15, s[6:7]
.LBB22_138:
	s_or_b64 exec, exec, s[8:9]
	global_load_ushort v17, v18, s[2:3]
	s_mov_b32 s10, 0x7f800000
	s_waitcnt vmcnt(1)
	v_mov_b32_e32 v19, v15
	s_waitcnt vmcnt(0)
	v_cvt_f32_f16_e32 v18, v17
	v_cmp_nlg_f32_e64 s[12:13], |v18|, s10
	s_and_saveexec_b64 s[8:9], s[12:13]
	s_cbranch_execz .LBB22_140
; %bb.139:
	s_load_dwordx2 s[12:13], s[4:5], 0x158
	v_mov_b32_e32 v19, 0
	v_mov_b32_e32 v21, 1.0
	s_waitcnt lgkmcnt(0)
	global_store_dword v19, v21, s[12:13]
	global_load_dword v19, v19, s[6:7]
.LBB22_140:
	s_or_b64 exec, exec, s[8:9]
	global_load_ushort v21, v22, s[2:3]
	s_waitcnt vmcnt(1)
	v_mov_b32_e32 v23, v19
	s_waitcnt vmcnt(0)
	v_cvt_f32_f16_e32 v22, v21
	v_cmp_nlg_f32_e64 s[10:11], |v22|, s10
	s_and_saveexec_b64 s[8:9], s[10:11]
	s_cbranch_execz .LBB22_142
; %bb.141:
	s_load_dwordx2 s[10:11], s[4:5], 0x158
	v_mov_b32_e32 v23, 0
	v_mov_b32_e32 v25, 1.0
	s_waitcnt lgkmcnt(0)
	global_store_dword v23, v25, s[10:11]
	global_load_dword v23, v23, s[6:7]
.LBB22_142:
	;; [unrolled: 35-line block ×3, first 2 shown]
	s_or_b64 exec, exec, s[2:3]
	v_fma_mixlo_f16 v30, v32, v31, 0
	v_cmp_eq_f32_e32 vcc, 1.0, v32
	v_cndmask_b32_e32 v29, v30, v29, vcc
	v_fma_mixlo_f16 v22, v23, v22, 0
	v_cmp_eq_f32_e32 vcc, 1.0, v23
	v_cndmask_b32_e32 v21, v22, v21, vcc
	;; [unrolled: 3-line block ×7, first 2 shown]
	s_waitcnt vmcnt(0)
	v_fma_mixlo_f16 v2, v27, v26, 0
	v_cmp_eq_f32_e32 vcc, 1.0, v27
	v_cndmask_b32_e32 v2, v2, v25, vcc
	global_store_short v0, v1, s[0:1]
	global_store_short v4, v5, s[0:1]
	;; [unrolled: 1-line block ×8, first 2 shown]
	s_endpgm
.LBB22_147:
	s_mov_b32 s55, s54
	v_pk_mov_b32 v[0:1], s[54:55], s[54:55] op_sel:[0,1]
                                        ; implicit-def: $vgpr2
	v_mov_b32_e32 v3, v24
.LBB22_148:
	s_and_b32 s20, s63, 3
	s_cmp_eq_u32 s20, 0
	s_cbranch_scc1 .LBB22_152
; %bb.149:
	s_lshl_b32 s16, s54, 3
	s_add_u32 s16, s16, s4
	s_addc_u32 s17, s5, 0
	s_add_u32 s16, s16, 0xc4
	s_addc_u32 s17, s17, 0
	s_mul_i32 s18, s54, 12
	s_add_u32 s18, s4, s18
	s_addc_u32 s19, s5, 0
.LBB22_150:                             ; =>This Inner Loop Header: Depth=1
	s_load_dwordx2 s[22:23], s[18:19], 0x4
	s_load_dword s21, s[18:19], 0xc
	s_load_dwordx2 s[24:25], s[16:17], 0x0
	v_mov_b32_e32 v2, v1
	s_add_u32 s18, s18, 12
	s_waitcnt lgkmcnt(0)
	v_mul_hi_u32 v1, s23, v3
	v_add_u32_e32 v1, v3, v1
	v_lshrrev_b32_e32 v1, s21, v1
	s_addc_u32 s19, s19, 0
	v_mul_lo_u32 v4, v1, s22
	s_add_u32 s16, s16, 8
	v_sub_u32_e32 v6, v3, v4
	v_mov_b32_e32 v3, v1
	s_addc_u32 s17, s17, 0
	s_add_i32 s20, s20, -1
	v_mad_u64_u32 v[4:5], s[22:23], v6, s25, v[2:3]
	v_mad_u64_u32 v[0:1], s[22:23], v6, s24, v[0:1]
	s_cmp_lg_u32 s20, 0
	v_mov_b32_e32 v1, v4
	s_cbranch_scc1 .LBB22_150
; %bb.151:
	v_mov_b32_e32 v2, v1
.LBB22_152:
	s_cbranch_execnz .LBB22_155
.LBB22_153:
	s_waitcnt lgkmcnt(0)
	v_mul_hi_u32 v0, s37, v24
	v_add_u32_e32 v0, v24, v0
	v_lshrrev_b32_e32 v1, s38, v0
	v_mul_lo_u32 v0, v1, s36
	v_sub_u32_e32 v0, v24, v0
	v_mul_lo_u32 v2, v0, s1
	s_andn2_b64 vcc, exec, s[46:47]
	v_mul_lo_u32 v0, v0, s0
	s_cbranch_vccnz .LBB22_155
; %bb.154:
	v_mul_hi_u32 v3, s44, v1
	v_add_u32_e32 v3, v1, v3
	v_lshrrev_b32_e32 v3, s45, v3
	v_mul_lo_u32 v3, v3, s39
	v_sub_u32_e32 v3, v1, v3
	v_mad_u64_u32 v[0:1], s[16:17], v3, s2, v[0:1]
	v_mad_u64_u32 v[2:3], s[16:17], v3, s3, v[2:3]
.LBB22_155:
	s_waitcnt lgkmcnt(0)
	global_load_ushort v1, v2, s[10:11]
	s_mov_b32 s16, 0x7f800000
	s_waitcnt vmcnt(0)
	v_cvt_f32_f16_e32 v2, v1
	v_cmp_nlg_f32_e64 s[18:19], |v2|, s16
	s_and_saveexec_b64 s[16:17], s[18:19]
	s_cbranch_execz .LBB22_157
; %bb.156:
	v_mov_b32_e32 v3, 0
	v_mov_b32_e32 v4, 1.0
	global_store_dword v3, v4, s[12:13]
.LBB22_157:
	s_or_b64 exec, exec, s[16:17]
	v_mov_b32_e32 v3, 0
	global_load_dword v3, v3, s[14:15]
	v_add_u32_e32 v24, 0x80, v24
	s_waitcnt vmcnt(0)
	v_fma_mixlo_f16 v2, v3, v2, 0
	v_cmp_eq_f32_e32 vcc, 1.0, v3
	v_cndmask_b32_e32 v1, v2, v1, vcc
	global_store_short v0, v1, s[8:9]
	s_or_b64 exec, exec, s[52:53]
	v_cmp_gt_i32_e32 vcc, s61, v24
	s_and_saveexec_b64 s[52:53], vcc
	s_cbranch_execnz .LBB22_17
.LBB22_158:
	s_or_b64 exec, exec, s[52:53]
	v_cmp_gt_i32_e32 vcc, s61, v24
	s_and_saveexec_b64 s[52:53], vcc
	s_cbranch_execz .LBB22_177
.LBB22_159:
	s_andn2_b64 vcc, exec, s[6:7]
	s_cbranch_vccnz .LBB22_165
; %bb.160:
	s_mov_b32 s54, 0
	s_andn2_b64 vcc, exec, s[50:51]
	v_mov_b32_e32 v2, 0
	v_mov_b32_e32 v0, 0
	s_cbranch_vccnz .LBB22_190
; %bb.161:
	s_add_i32 s63, s62, 1
	s_cmp_eq_u32 s60, 2
	s_cbranch_scc1 .LBB22_185
; %bb.162:
	s_and_b32 s54, s63, 28
	s_mov_b32 s55, 0
	v_mov_b32_e32 v0, 0
	s_mov_b64 s[56:57], s[4:5]
	s_mov_b64 s[58:59], s[48:49]
	v_mov_b32_e32 v3, v24
	v_mov_b32_e32 v2, 0
.LBB22_163:                             ; =>This Inner Loop Header: Depth=1
	s_load_dwordx8 s[24:31], s[56:57], 0x4
	s_load_dwordx4 s[40:43], s[56:57], 0x24
	s_load_dwordx8 s[16:23], s[58:59], 0x0
	s_add_u32 s56, s56, 48
	s_addc_u32 s57, s57, 0
	s_waitcnt lgkmcnt(0)
	v_mul_hi_u32 v1, s25, v3
	v_add_u32_e32 v1, v3, v1
	v_lshrrev_b32_e32 v1, s26, v1
	v_mul_lo_u32 v4, v1, s24
	v_mul_hi_u32 v5, s28, v1
	v_sub_u32_e32 v3, v3, v4
	v_add_u32_e32 v4, v1, v5
	v_lshrrev_b32_e32 v4, s29, v4
	v_mul_lo_u32 v6, v4, s27
	v_mul_hi_u32 v7, s31, v4
	v_sub_u32_e32 v1, v1, v6
	v_add_u32_e32 v6, v4, v7
	v_mul_lo_u32 v5, v3, s17
	v_mul_lo_u32 v3, v3, s16
	v_mul_lo_u32 v7, v1, s19
	v_mul_lo_u32 v1, v1, s18
	v_lshrrev_b32_e32 v6, s40, v6
	v_add3_u32 v0, v3, v0, v1
	v_mul_hi_u32 v3, s42, v6
	v_add_u32_e32 v3, v6, v3
	v_lshrrev_b32_e32 v3, s43, v3
	s_add_i32 s55, s55, 4
	v_add3_u32 v1, v5, v2, v7
	v_mul_lo_u32 v2, v6, s30
	v_mul_lo_u32 v5, v3, s41
	s_add_u32 s58, s58, 32
	v_sub_u32_e32 v2, v4, v2
	v_sub_u32_e32 v5, v6, v5
	s_addc_u32 s59, s59, 0
	v_mul_lo_u32 v4, v2, s20
	v_mul_lo_u32 v2, v2, s21
	;; [unrolled: 1-line block ×4, first 2 shown]
	s_cmp_eq_u32 s54, s55
	v_add3_u32 v2, v2, v1, v5
	v_add3_u32 v0, v4, v0, v6
	s_cbranch_scc0 .LBB22_163
; %bb.164:
	v_mov_b32_e32 v1, v2
	s_branch .LBB22_186
.LBB22_165:
                                        ; implicit-def: $vgpr2
                                        ; implicit-def: $vgpr0
	s_branch .LBB22_191
.LBB22_166:
	s_mov_b32 s55, s54
	v_pk_mov_b32 v[0:1], s[54:55], s[54:55] op_sel:[0,1]
                                        ; implicit-def: $vgpr2
	v_mov_b32_e32 v3, v24
.LBB22_167:
	s_and_b32 s20, s63, 3
	s_cmp_eq_u32 s20, 0
	s_cbranch_scc1 .LBB22_171
; %bb.168:
	s_lshl_b32 s16, s54, 3
	s_add_u32 s16, s16, s4
	s_addc_u32 s17, s5, 0
	s_add_u32 s16, s16, 0xc4
	s_addc_u32 s17, s17, 0
	s_mul_i32 s18, s54, 12
	s_add_u32 s18, s4, s18
	s_addc_u32 s19, s5, 0
.LBB22_169:                             ; =>This Inner Loop Header: Depth=1
	s_load_dwordx2 s[22:23], s[18:19], 0x4
	s_load_dword s21, s[18:19], 0xc
	s_load_dwordx2 s[24:25], s[16:17], 0x0
	v_mov_b32_e32 v2, v1
	s_add_u32 s18, s18, 12
	s_waitcnt lgkmcnt(0)
	v_mul_hi_u32 v1, s23, v3
	v_add_u32_e32 v1, v3, v1
	v_lshrrev_b32_e32 v1, s21, v1
	s_addc_u32 s19, s19, 0
	v_mul_lo_u32 v4, v1, s22
	s_add_u32 s16, s16, 8
	v_sub_u32_e32 v6, v3, v4
	v_mov_b32_e32 v3, v1
	s_addc_u32 s17, s17, 0
	s_add_i32 s20, s20, -1
	v_mad_u64_u32 v[4:5], s[22:23], v6, s25, v[2:3]
	v_mad_u64_u32 v[0:1], s[22:23], v6, s24, v[0:1]
	s_cmp_lg_u32 s20, 0
	v_mov_b32_e32 v1, v4
	s_cbranch_scc1 .LBB22_169
; %bb.170:
	v_mov_b32_e32 v2, v1
.LBB22_171:
	s_cbranch_execnz .LBB22_174
.LBB22_172:
	s_waitcnt lgkmcnt(0)
	v_mul_hi_u32 v0, s37, v24
	v_add_u32_e32 v0, v24, v0
	v_lshrrev_b32_e32 v1, s38, v0
	v_mul_lo_u32 v0, v1, s36
	v_sub_u32_e32 v0, v24, v0
	v_mul_lo_u32 v2, v0, s1
	s_andn2_b64 vcc, exec, s[46:47]
	v_mul_lo_u32 v0, v0, s0
	s_cbranch_vccnz .LBB22_174
; %bb.173:
	v_mul_hi_u32 v3, s44, v1
	v_add_u32_e32 v3, v1, v3
	v_lshrrev_b32_e32 v3, s45, v3
	v_mul_lo_u32 v3, v3, s39
	v_sub_u32_e32 v3, v1, v3
	v_mad_u64_u32 v[0:1], s[16:17], v3, s2, v[0:1]
	v_mad_u64_u32 v[2:3], s[16:17], v3, s3, v[2:3]
.LBB22_174:
	s_waitcnt lgkmcnt(0)
	global_load_ushort v1, v2, s[10:11]
	s_mov_b32 s16, 0x7f800000
	s_waitcnt vmcnt(0)
	v_cvt_f32_f16_e32 v2, v1
	v_cmp_nlg_f32_e64 s[18:19], |v2|, s16
	s_and_saveexec_b64 s[16:17], s[18:19]
	s_cbranch_execz .LBB22_176
; %bb.175:
	v_mov_b32_e32 v3, 0
	v_mov_b32_e32 v4, 1.0
	global_store_dword v3, v4, s[12:13]
.LBB22_176:
	s_or_b64 exec, exec, s[16:17]
	v_mov_b32_e32 v3, 0
	global_load_dword v3, v3, s[14:15]
	v_add_u32_e32 v24, 0x80, v24
	s_waitcnt vmcnt(0)
	v_fma_mixlo_f16 v2, v3, v2, 0
	v_cmp_eq_f32_e32 vcc, 1.0, v3
	v_cndmask_b32_e32 v1, v2, v1, vcc
	global_store_short v0, v1, s[8:9]
	s_or_b64 exec, exec, s[52:53]
	v_cmp_gt_i32_e32 vcc, s61, v24
	s_and_saveexec_b64 s[52:53], vcc
	s_cbranch_execnz .LBB22_159
.LBB22_177:
	s_or_b64 exec, exec, s[52:53]
	v_cmp_gt_i32_e32 vcc, s61, v24
	s_and_saveexec_b64 s[52:53], vcc
	s_cbranch_execz .LBB22_196
.LBB22_178:
	s_andn2_b64 vcc, exec, s[6:7]
	s_cbranch_vccnz .LBB22_184
; %bb.179:
	s_mov_b32 s54, 0
	s_andn2_b64 vcc, exec, s[50:51]
	v_mov_b32_e32 v2, 0
	v_mov_b32_e32 v0, 0
	s_cbranch_vccnz .LBB22_209
; %bb.180:
	s_add_i32 s63, s62, 1
	s_cmp_eq_u32 s60, 2
	s_cbranch_scc1 .LBB22_204
; %bb.181:
	s_and_b32 s54, s63, 28
	s_mov_b32 s55, 0
	v_mov_b32_e32 v0, 0
	s_mov_b64 s[56:57], s[4:5]
	s_mov_b64 s[58:59], s[48:49]
	v_mov_b32_e32 v3, v24
	v_mov_b32_e32 v2, 0
.LBB22_182:                             ; =>This Inner Loop Header: Depth=1
	s_load_dwordx8 s[24:31], s[56:57], 0x4
	s_load_dwordx4 s[40:43], s[56:57], 0x24
	s_load_dwordx8 s[16:23], s[58:59], 0x0
	s_add_u32 s56, s56, 48
	s_addc_u32 s57, s57, 0
	s_waitcnt lgkmcnt(0)
	v_mul_hi_u32 v1, s25, v3
	v_add_u32_e32 v1, v3, v1
	v_lshrrev_b32_e32 v1, s26, v1
	v_mul_lo_u32 v4, v1, s24
	v_mul_hi_u32 v5, s28, v1
	v_sub_u32_e32 v3, v3, v4
	v_add_u32_e32 v4, v1, v5
	v_lshrrev_b32_e32 v4, s29, v4
	v_mul_lo_u32 v6, v4, s27
	v_mul_hi_u32 v7, s31, v4
	v_sub_u32_e32 v1, v1, v6
	v_add_u32_e32 v6, v4, v7
	v_mul_lo_u32 v5, v3, s17
	v_mul_lo_u32 v3, v3, s16
	;; [unrolled: 1-line block ×4, first 2 shown]
	v_lshrrev_b32_e32 v6, s40, v6
	v_add3_u32 v0, v3, v0, v1
	v_mul_hi_u32 v3, s42, v6
	v_add_u32_e32 v3, v6, v3
	v_lshrrev_b32_e32 v3, s43, v3
	s_add_i32 s55, s55, 4
	v_add3_u32 v1, v5, v2, v7
	v_mul_lo_u32 v2, v6, s30
	v_mul_lo_u32 v5, v3, s41
	s_add_u32 s58, s58, 32
	v_sub_u32_e32 v2, v4, v2
	v_sub_u32_e32 v5, v6, v5
	s_addc_u32 s59, s59, 0
	v_mul_lo_u32 v4, v2, s20
	v_mul_lo_u32 v2, v2, s21
	;; [unrolled: 1-line block ×4, first 2 shown]
	s_cmp_eq_u32 s54, s55
	v_add3_u32 v2, v2, v1, v5
	v_add3_u32 v0, v4, v0, v6
	s_cbranch_scc0 .LBB22_182
; %bb.183:
	v_mov_b32_e32 v1, v2
	s_branch .LBB22_205
.LBB22_184:
                                        ; implicit-def: $vgpr2
                                        ; implicit-def: $vgpr0
	s_branch .LBB22_210
.LBB22_185:
	s_mov_b32 s55, s54
	v_pk_mov_b32 v[0:1], s[54:55], s[54:55] op_sel:[0,1]
                                        ; implicit-def: $vgpr2
	v_mov_b32_e32 v3, v24
.LBB22_186:
	s_and_b32 s20, s63, 3
	s_cmp_eq_u32 s20, 0
	s_cbranch_scc1 .LBB22_190
; %bb.187:
	s_lshl_b32 s16, s54, 3
	s_add_u32 s16, s16, s4
	s_addc_u32 s17, s5, 0
	s_add_u32 s16, s16, 0xc4
	s_addc_u32 s17, s17, 0
	s_mul_i32 s18, s54, 12
	s_add_u32 s18, s4, s18
	s_addc_u32 s19, s5, 0
.LBB22_188:                             ; =>This Inner Loop Header: Depth=1
	s_load_dwordx2 s[22:23], s[18:19], 0x4
	s_load_dword s21, s[18:19], 0xc
	s_load_dwordx2 s[24:25], s[16:17], 0x0
	v_mov_b32_e32 v2, v1
	s_add_u32 s18, s18, 12
	s_waitcnt lgkmcnt(0)
	v_mul_hi_u32 v1, s23, v3
	v_add_u32_e32 v1, v3, v1
	v_lshrrev_b32_e32 v1, s21, v1
	s_addc_u32 s19, s19, 0
	v_mul_lo_u32 v4, v1, s22
	s_add_u32 s16, s16, 8
	v_sub_u32_e32 v6, v3, v4
	v_mov_b32_e32 v3, v1
	s_addc_u32 s17, s17, 0
	s_add_i32 s20, s20, -1
	v_mad_u64_u32 v[4:5], s[22:23], v6, s25, v[2:3]
	v_mad_u64_u32 v[0:1], s[22:23], v6, s24, v[0:1]
	s_cmp_lg_u32 s20, 0
	v_mov_b32_e32 v1, v4
	s_cbranch_scc1 .LBB22_188
; %bb.189:
	v_mov_b32_e32 v2, v1
.LBB22_190:
	s_cbranch_execnz .LBB22_193
.LBB22_191:
	s_waitcnt lgkmcnt(0)
	v_mul_hi_u32 v0, s37, v24
	v_add_u32_e32 v0, v24, v0
	v_lshrrev_b32_e32 v1, s38, v0
	v_mul_lo_u32 v0, v1, s36
	v_sub_u32_e32 v0, v24, v0
	v_mul_lo_u32 v2, v0, s1
	s_andn2_b64 vcc, exec, s[46:47]
	v_mul_lo_u32 v0, v0, s0
	s_cbranch_vccnz .LBB22_193
; %bb.192:
	v_mul_hi_u32 v3, s44, v1
	v_add_u32_e32 v3, v1, v3
	v_lshrrev_b32_e32 v3, s45, v3
	v_mul_lo_u32 v3, v3, s39
	v_sub_u32_e32 v3, v1, v3
	v_mad_u64_u32 v[0:1], s[16:17], v3, s2, v[0:1]
	v_mad_u64_u32 v[2:3], s[16:17], v3, s3, v[2:3]
.LBB22_193:
	s_waitcnt lgkmcnt(0)
	global_load_ushort v1, v2, s[10:11]
	s_mov_b32 s16, 0x7f800000
	s_waitcnt vmcnt(0)
	v_cvt_f32_f16_e32 v2, v1
	v_cmp_nlg_f32_e64 s[18:19], |v2|, s16
	s_and_saveexec_b64 s[16:17], s[18:19]
	s_cbranch_execz .LBB22_195
; %bb.194:
	v_mov_b32_e32 v3, 0
	v_mov_b32_e32 v4, 1.0
	global_store_dword v3, v4, s[12:13]
.LBB22_195:
	s_or_b64 exec, exec, s[16:17]
	v_mov_b32_e32 v3, 0
	global_load_dword v3, v3, s[14:15]
	v_add_u32_e32 v24, 0x80, v24
	s_waitcnt vmcnt(0)
	v_fma_mixlo_f16 v2, v3, v2, 0
	v_cmp_eq_f32_e32 vcc, 1.0, v3
	v_cndmask_b32_e32 v1, v2, v1, vcc
	global_store_short v0, v1, s[8:9]
	s_or_b64 exec, exec, s[52:53]
	v_cmp_gt_i32_e32 vcc, s61, v24
	s_and_saveexec_b64 s[52:53], vcc
	s_cbranch_execnz .LBB22_178
.LBB22_196:
	s_or_b64 exec, exec, s[52:53]
	v_cmp_gt_i32_e32 vcc, s61, v24
	s_and_saveexec_b64 s[52:53], vcc
	s_cbranch_execz .LBB22_215
.LBB22_197:
	s_andn2_b64 vcc, exec, s[6:7]
	s_cbranch_vccnz .LBB22_203
; %bb.198:
	s_mov_b32 s54, 0
	s_andn2_b64 vcc, exec, s[50:51]
	v_mov_b32_e32 v2, 0
	v_mov_b32_e32 v0, 0
	s_cbranch_vccnz .LBB22_228
; %bb.199:
	s_add_i32 s63, s62, 1
	s_cmp_eq_u32 s60, 2
	s_cbranch_scc1 .LBB22_223
; %bb.200:
	s_and_b32 s54, s63, 28
	s_mov_b32 s55, 0
	v_mov_b32_e32 v0, 0
	s_mov_b64 s[56:57], s[4:5]
	s_mov_b64 s[58:59], s[48:49]
	v_mov_b32_e32 v3, v24
	v_mov_b32_e32 v2, 0
.LBB22_201:                             ; =>This Inner Loop Header: Depth=1
	s_load_dwordx8 s[24:31], s[56:57], 0x4
	s_load_dwordx4 s[40:43], s[56:57], 0x24
	s_load_dwordx8 s[16:23], s[58:59], 0x0
	s_add_u32 s56, s56, 48
	s_addc_u32 s57, s57, 0
	s_waitcnt lgkmcnt(0)
	v_mul_hi_u32 v1, s25, v3
	v_add_u32_e32 v1, v3, v1
	v_lshrrev_b32_e32 v1, s26, v1
	v_mul_lo_u32 v4, v1, s24
	v_mul_hi_u32 v5, s28, v1
	v_sub_u32_e32 v3, v3, v4
	v_add_u32_e32 v4, v1, v5
	v_lshrrev_b32_e32 v4, s29, v4
	v_mul_lo_u32 v6, v4, s27
	v_mul_hi_u32 v7, s31, v4
	v_sub_u32_e32 v1, v1, v6
	v_add_u32_e32 v6, v4, v7
	v_mul_lo_u32 v5, v3, s17
	v_mul_lo_u32 v3, v3, s16
	;; [unrolled: 1-line block ×4, first 2 shown]
	v_lshrrev_b32_e32 v6, s40, v6
	v_add3_u32 v0, v3, v0, v1
	v_mul_hi_u32 v3, s42, v6
	v_add_u32_e32 v3, v6, v3
	v_lshrrev_b32_e32 v3, s43, v3
	s_add_i32 s55, s55, 4
	v_add3_u32 v1, v5, v2, v7
	v_mul_lo_u32 v2, v6, s30
	v_mul_lo_u32 v5, v3, s41
	s_add_u32 s58, s58, 32
	v_sub_u32_e32 v2, v4, v2
	v_sub_u32_e32 v5, v6, v5
	s_addc_u32 s59, s59, 0
	v_mul_lo_u32 v4, v2, s20
	v_mul_lo_u32 v2, v2, s21
	;; [unrolled: 1-line block ×4, first 2 shown]
	s_cmp_eq_u32 s54, s55
	v_add3_u32 v2, v2, v1, v5
	v_add3_u32 v0, v4, v0, v6
	s_cbranch_scc0 .LBB22_201
; %bb.202:
	v_mov_b32_e32 v1, v2
	s_branch .LBB22_224
.LBB22_203:
                                        ; implicit-def: $vgpr2
                                        ; implicit-def: $vgpr0
	s_branch .LBB22_229
.LBB22_204:
	s_mov_b32 s55, s54
	v_pk_mov_b32 v[0:1], s[54:55], s[54:55] op_sel:[0,1]
                                        ; implicit-def: $vgpr2
	v_mov_b32_e32 v3, v24
.LBB22_205:
	s_and_b32 s20, s63, 3
	s_cmp_eq_u32 s20, 0
	s_cbranch_scc1 .LBB22_209
; %bb.206:
	s_lshl_b32 s16, s54, 3
	s_add_u32 s16, s16, s4
	s_addc_u32 s17, s5, 0
	s_add_u32 s16, s16, 0xc4
	s_addc_u32 s17, s17, 0
	s_mul_i32 s18, s54, 12
	s_add_u32 s18, s4, s18
	s_addc_u32 s19, s5, 0
.LBB22_207:                             ; =>This Inner Loop Header: Depth=1
	s_load_dwordx2 s[22:23], s[18:19], 0x4
	s_load_dword s21, s[18:19], 0xc
	s_load_dwordx2 s[24:25], s[16:17], 0x0
	v_mov_b32_e32 v2, v1
	s_add_u32 s18, s18, 12
	s_waitcnt lgkmcnt(0)
	v_mul_hi_u32 v1, s23, v3
	v_add_u32_e32 v1, v3, v1
	v_lshrrev_b32_e32 v1, s21, v1
	s_addc_u32 s19, s19, 0
	v_mul_lo_u32 v4, v1, s22
	s_add_u32 s16, s16, 8
	v_sub_u32_e32 v6, v3, v4
	v_mov_b32_e32 v3, v1
	s_addc_u32 s17, s17, 0
	s_add_i32 s20, s20, -1
	v_mad_u64_u32 v[4:5], s[22:23], v6, s25, v[2:3]
	v_mad_u64_u32 v[0:1], s[22:23], v6, s24, v[0:1]
	s_cmp_lg_u32 s20, 0
	v_mov_b32_e32 v1, v4
	s_cbranch_scc1 .LBB22_207
; %bb.208:
	v_mov_b32_e32 v2, v1
.LBB22_209:
	s_cbranch_execnz .LBB22_212
.LBB22_210:
	s_waitcnt lgkmcnt(0)
	v_mul_hi_u32 v0, s37, v24
	v_add_u32_e32 v0, v24, v0
	v_lshrrev_b32_e32 v1, s38, v0
	v_mul_lo_u32 v0, v1, s36
	v_sub_u32_e32 v0, v24, v0
	v_mul_lo_u32 v2, v0, s1
	s_andn2_b64 vcc, exec, s[46:47]
	v_mul_lo_u32 v0, v0, s0
	s_cbranch_vccnz .LBB22_212
; %bb.211:
	v_mul_hi_u32 v3, s44, v1
	v_add_u32_e32 v3, v1, v3
	v_lshrrev_b32_e32 v3, s45, v3
	v_mul_lo_u32 v3, v3, s39
	v_sub_u32_e32 v3, v1, v3
	v_mad_u64_u32 v[0:1], s[16:17], v3, s2, v[0:1]
	v_mad_u64_u32 v[2:3], s[16:17], v3, s3, v[2:3]
.LBB22_212:
	s_waitcnt lgkmcnt(0)
	global_load_ushort v1, v2, s[10:11]
	s_mov_b32 s16, 0x7f800000
	s_waitcnt vmcnt(0)
	v_cvt_f32_f16_e32 v2, v1
	v_cmp_nlg_f32_e64 s[18:19], |v2|, s16
	s_and_saveexec_b64 s[16:17], s[18:19]
	s_cbranch_execz .LBB22_214
; %bb.213:
	v_mov_b32_e32 v3, 0
	v_mov_b32_e32 v4, 1.0
	global_store_dword v3, v4, s[12:13]
.LBB22_214:
	s_or_b64 exec, exec, s[16:17]
	v_mov_b32_e32 v3, 0
	global_load_dword v3, v3, s[14:15]
	v_add_u32_e32 v24, 0x80, v24
	s_waitcnt vmcnt(0)
	v_fma_mixlo_f16 v2, v3, v2, 0
	v_cmp_eq_f32_e32 vcc, 1.0, v3
	v_cndmask_b32_e32 v1, v2, v1, vcc
	global_store_short v0, v1, s[8:9]
	s_or_b64 exec, exec, s[52:53]
	v_cmp_gt_i32_e32 vcc, s61, v24
	s_and_saveexec_b64 s[52:53], vcc
	s_cbranch_execnz .LBB22_197
.LBB22_215:
	s_or_b64 exec, exec, s[52:53]
	v_cmp_gt_i32_e32 vcc, s61, v24
	s_and_saveexec_b64 s[52:53], vcc
	s_cbranch_execz .LBB22_234
.LBB22_216:
	s_andn2_b64 vcc, exec, s[6:7]
	s_cbranch_vccnz .LBB22_222
; %bb.217:
	s_mov_b32 s54, 0
	s_andn2_b64 vcc, exec, s[50:51]
	v_mov_b32_e32 v2, 0
	v_mov_b32_e32 v0, 0
	s_cbranch_vccnz .LBB22_247
; %bb.218:
	s_add_i32 s63, s62, 1
	s_cmp_eq_u32 s60, 2
	s_cbranch_scc1 .LBB22_242
; %bb.219:
	s_and_b32 s54, s63, 28
	s_mov_b32 s55, 0
	v_mov_b32_e32 v0, 0
	s_mov_b64 s[56:57], s[4:5]
	s_mov_b64 s[58:59], s[48:49]
	v_mov_b32_e32 v3, v24
	v_mov_b32_e32 v2, 0
.LBB22_220:                             ; =>This Inner Loop Header: Depth=1
	s_load_dwordx8 s[24:31], s[56:57], 0x4
	s_load_dwordx4 s[40:43], s[56:57], 0x24
	s_load_dwordx8 s[16:23], s[58:59], 0x0
	s_add_u32 s56, s56, 48
	s_addc_u32 s57, s57, 0
	s_waitcnt lgkmcnt(0)
	v_mul_hi_u32 v1, s25, v3
	v_add_u32_e32 v1, v3, v1
	v_lshrrev_b32_e32 v1, s26, v1
	v_mul_lo_u32 v4, v1, s24
	v_mul_hi_u32 v5, s28, v1
	v_sub_u32_e32 v3, v3, v4
	v_add_u32_e32 v4, v1, v5
	v_lshrrev_b32_e32 v4, s29, v4
	v_mul_lo_u32 v6, v4, s27
	v_mul_hi_u32 v7, s31, v4
	v_sub_u32_e32 v1, v1, v6
	v_add_u32_e32 v6, v4, v7
	v_mul_lo_u32 v5, v3, s17
	v_mul_lo_u32 v3, v3, s16
	;; [unrolled: 1-line block ×4, first 2 shown]
	v_lshrrev_b32_e32 v6, s40, v6
	v_add3_u32 v0, v3, v0, v1
	v_mul_hi_u32 v3, s42, v6
	v_add_u32_e32 v3, v6, v3
	v_lshrrev_b32_e32 v3, s43, v3
	s_add_i32 s55, s55, 4
	v_add3_u32 v1, v5, v2, v7
	v_mul_lo_u32 v2, v6, s30
	v_mul_lo_u32 v5, v3, s41
	s_add_u32 s58, s58, 32
	v_sub_u32_e32 v2, v4, v2
	v_sub_u32_e32 v5, v6, v5
	s_addc_u32 s59, s59, 0
	v_mul_lo_u32 v4, v2, s20
	v_mul_lo_u32 v2, v2, s21
	;; [unrolled: 1-line block ×4, first 2 shown]
	s_cmp_eq_u32 s54, s55
	v_add3_u32 v2, v2, v1, v5
	v_add3_u32 v0, v4, v0, v6
	s_cbranch_scc0 .LBB22_220
; %bb.221:
	v_mov_b32_e32 v1, v2
	s_branch .LBB22_243
.LBB22_222:
                                        ; implicit-def: $vgpr2
                                        ; implicit-def: $vgpr0
	s_branch .LBB22_248
.LBB22_223:
	s_mov_b32 s55, s54
	v_pk_mov_b32 v[0:1], s[54:55], s[54:55] op_sel:[0,1]
                                        ; implicit-def: $vgpr2
	v_mov_b32_e32 v3, v24
.LBB22_224:
	s_and_b32 s20, s63, 3
	s_cmp_eq_u32 s20, 0
	s_cbranch_scc1 .LBB22_228
; %bb.225:
	s_lshl_b32 s16, s54, 3
	s_add_u32 s16, s16, s4
	s_addc_u32 s17, s5, 0
	s_add_u32 s16, s16, 0xc4
	s_addc_u32 s17, s17, 0
	s_mul_i32 s18, s54, 12
	s_add_u32 s18, s4, s18
	s_addc_u32 s19, s5, 0
.LBB22_226:                             ; =>This Inner Loop Header: Depth=1
	s_load_dwordx2 s[22:23], s[18:19], 0x4
	s_load_dword s21, s[18:19], 0xc
	s_load_dwordx2 s[24:25], s[16:17], 0x0
	v_mov_b32_e32 v2, v1
	s_add_u32 s18, s18, 12
	s_waitcnt lgkmcnt(0)
	v_mul_hi_u32 v1, s23, v3
	v_add_u32_e32 v1, v3, v1
	v_lshrrev_b32_e32 v1, s21, v1
	s_addc_u32 s19, s19, 0
	v_mul_lo_u32 v4, v1, s22
	s_add_u32 s16, s16, 8
	v_sub_u32_e32 v6, v3, v4
	v_mov_b32_e32 v3, v1
	s_addc_u32 s17, s17, 0
	s_add_i32 s20, s20, -1
	v_mad_u64_u32 v[4:5], s[22:23], v6, s25, v[2:3]
	v_mad_u64_u32 v[0:1], s[22:23], v6, s24, v[0:1]
	s_cmp_lg_u32 s20, 0
	v_mov_b32_e32 v1, v4
	s_cbranch_scc1 .LBB22_226
; %bb.227:
	v_mov_b32_e32 v2, v1
.LBB22_228:
	s_cbranch_execnz .LBB22_231
.LBB22_229:
	s_waitcnt lgkmcnt(0)
	v_mul_hi_u32 v0, s37, v24
	v_add_u32_e32 v0, v24, v0
	v_lshrrev_b32_e32 v1, s38, v0
	v_mul_lo_u32 v0, v1, s36
	v_sub_u32_e32 v0, v24, v0
	v_mul_lo_u32 v2, v0, s1
	s_andn2_b64 vcc, exec, s[46:47]
	v_mul_lo_u32 v0, v0, s0
	s_cbranch_vccnz .LBB22_231
; %bb.230:
	v_mul_hi_u32 v3, s44, v1
	v_add_u32_e32 v3, v1, v3
	v_lshrrev_b32_e32 v3, s45, v3
	v_mul_lo_u32 v3, v3, s39
	v_sub_u32_e32 v3, v1, v3
	v_mad_u64_u32 v[0:1], s[16:17], v3, s2, v[0:1]
	v_mad_u64_u32 v[2:3], s[16:17], v3, s3, v[2:3]
.LBB22_231:
	s_waitcnt lgkmcnt(0)
	global_load_ushort v1, v2, s[10:11]
	s_mov_b32 s16, 0x7f800000
	s_waitcnt vmcnt(0)
	v_cvt_f32_f16_e32 v2, v1
	v_cmp_nlg_f32_e64 s[18:19], |v2|, s16
	s_and_saveexec_b64 s[16:17], s[18:19]
	s_cbranch_execz .LBB22_233
; %bb.232:
	v_mov_b32_e32 v3, 0
	v_mov_b32_e32 v4, 1.0
	global_store_dword v3, v4, s[12:13]
.LBB22_233:
	s_or_b64 exec, exec, s[16:17]
	v_mov_b32_e32 v3, 0
	global_load_dword v3, v3, s[14:15]
	v_add_u32_e32 v24, 0x80, v24
	s_waitcnt vmcnt(0)
	v_fma_mixlo_f16 v2, v3, v2, 0
	v_cmp_eq_f32_e32 vcc, 1.0, v3
	v_cndmask_b32_e32 v1, v2, v1, vcc
	global_store_short v0, v1, s[8:9]
	s_or_b64 exec, exec, s[52:53]
	v_cmp_gt_i32_e32 vcc, s61, v24
	s_and_saveexec_b64 s[52:53], vcc
	s_cbranch_execnz .LBB22_216
.LBB22_234:
	s_or_b64 exec, exec, s[52:53]
	v_cmp_gt_i32_e32 vcc, s61, v24
	s_and_saveexec_b64 s[52:53], vcc
	s_cbranch_execz .LBB22_253
.LBB22_235:
	s_andn2_b64 vcc, exec, s[6:7]
	s_cbranch_vccnz .LBB22_241
; %bb.236:
	s_mov_b32 s54, 0
	s_andn2_b64 vcc, exec, s[50:51]
	v_mov_b32_e32 v2, 0
	v_mov_b32_e32 v0, 0
	s_cbranch_vccnz .LBB22_261
; %bb.237:
	s_add_i32 s63, s62, 1
	s_cmp_eq_u32 s60, 2
	s_cbranch_scc1 .LBB22_256
; %bb.238:
	s_and_b32 s54, s63, 28
	s_mov_b32 s55, 0
	v_mov_b32_e32 v0, 0
	s_mov_b64 s[56:57], s[4:5]
	s_mov_b64 s[58:59], s[48:49]
	v_mov_b32_e32 v3, v24
	v_mov_b32_e32 v2, 0
.LBB22_239:                             ; =>This Inner Loop Header: Depth=1
	s_load_dwordx8 s[24:31], s[56:57], 0x4
	s_load_dwordx4 s[40:43], s[56:57], 0x24
	s_load_dwordx8 s[16:23], s[58:59], 0x0
	s_add_u32 s56, s56, 48
	s_addc_u32 s57, s57, 0
	s_waitcnt lgkmcnt(0)
	v_mul_hi_u32 v1, s25, v3
	v_add_u32_e32 v1, v3, v1
	v_lshrrev_b32_e32 v1, s26, v1
	v_mul_lo_u32 v4, v1, s24
	v_mul_hi_u32 v5, s28, v1
	v_sub_u32_e32 v3, v3, v4
	v_add_u32_e32 v4, v1, v5
	v_lshrrev_b32_e32 v4, s29, v4
	v_mul_lo_u32 v6, v4, s27
	v_mul_hi_u32 v7, s31, v4
	v_sub_u32_e32 v1, v1, v6
	v_add_u32_e32 v6, v4, v7
	v_mul_lo_u32 v5, v3, s17
	v_mul_lo_u32 v3, v3, s16
	;; [unrolled: 1-line block ×4, first 2 shown]
	v_lshrrev_b32_e32 v6, s40, v6
	v_add3_u32 v0, v3, v0, v1
	v_mul_hi_u32 v3, s42, v6
	v_add_u32_e32 v3, v6, v3
	v_lshrrev_b32_e32 v3, s43, v3
	s_add_i32 s55, s55, 4
	v_add3_u32 v1, v5, v2, v7
	v_mul_lo_u32 v2, v6, s30
	v_mul_lo_u32 v5, v3, s41
	s_add_u32 s58, s58, 32
	v_sub_u32_e32 v2, v4, v2
	v_sub_u32_e32 v5, v6, v5
	s_addc_u32 s59, s59, 0
	v_mul_lo_u32 v4, v2, s20
	v_mul_lo_u32 v2, v2, s21
	v_mul_lo_u32 v6, v5, s22
	v_mul_lo_u32 v5, v5, s23
	s_cmp_eq_u32 s54, s55
	v_add3_u32 v2, v2, v1, v5
	v_add3_u32 v0, v4, v0, v6
	s_cbranch_scc0 .LBB22_239
; %bb.240:
	v_mov_b32_e32 v1, v2
	s_branch .LBB22_257
.LBB22_241:
                                        ; implicit-def: $vgpr2
                                        ; implicit-def: $vgpr0
	s_branch .LBB22_262
.LBB22_242:
	s_mov_b32 s55, s54
	v_pk_mov_b32 v[0:1], s[54:55], s[54:55] op_sel:[0,1]
                                        ; implicit-def: $vgpr2
	v_mov_b32_e32 v3, v24
.LBB22_243:
	s_and_b32 s20, s63, 3
	s_cmp_eq_u32 s20, 0
	s_cbranch_scc1 .LBB22_247
; %bb.244:
	s_lshl_b32 s16, s54, 3
	s_add_u32 s16, s16, s4
	s_addc_u32 s17, s5, 0
	s_add_u32 s16, s16, 0xc4
	s_addc_u32 s17, s17, 0
	s_mul_i32 s18, s54, 12
	s_add_u32 s18, s4, s18
	s_addc_u32 s19, s5, 0
.LBB22_245:                             ; =>This Inner Loop Header: Depth=1
	s_load_dwordx2 s[22:23], s[18:19], 0x4
	s_load_dword s21, s[18:19], 0xc
	s_load_dwordx2 s[24:25], s[16:17], 0x0
	v_mov_b32_e32 v2, v1
	s_add_u32 s18, s18, 12
	s_waitcnt lgkmcnt(0)
	v_mul_hi_u32 v1, s23, v3
	v_add_u32_e32 v1, v3, v1
	v_lshrrev_b32_e32 v1, s21, v1
	s_addc_u32 s19, s19, 0
	v_mul_lo_u32 v4, v1, s22
	s_add_u32 s16, s16, 8
	v_sub_u32_e32 v6, v3, v4
	v_mov_b32_e32 v3, v1
	s_addc_u32 s17, s17, 0
	s_add_i32 s20, s20, -1
	v_mad_u64_u32 v[4:5], s[22:23], v6, s25, v[2:3]
	v_mad_u64_u32 v[0:1], s[22:23], v6, s24, v[0:1]
	s_cmp_lg_u32 s20, 0
	v_mov_b32_e32 v1, v4
	s_cbranch_scc1 .LBB22_245
; %bb.246:
	v_mov_b32_e32 v2, v1
.LBB22_247:
	s_cbranch_execnz .LBB22_250
.LBB22_248:
	s_waitcnt lgkmcnt(0)
	v_mul_hi_u32 v0, s37, v24
	v_add_u32_e32 v0, v24, v0
	v_lshrrev_b32_e32 v1, s38, v0
	v_mul_lo_u32 v0, v1, s36
	v_sub_u32_e32 v0, v24, v0
	v_mul_lo_u32 v2, v0, s1
	s_andn2_b64 vcc, exec, s[46:47]
	v_mul_lo_u32 v0, v0, s0
	s_cbranch_vccnz .LBB22_250
; %bb.249:
	v_mul_hi_u32 v3, s44, v1
	v_add_u32_e32 v3, v1, v3
	v_lshrrev_b32_e32 v3, s45, v3
	v_mul_lo_u32 v3, v3, s39
	v_sub_u32_e32 v3, v1, v3
	v_mad_u64_u32 v[0:1], s[16:17], v3, s2, v[0:1]
	v_mad_u64_u32 v[2:3], s[16:17], v3, s3, v[2:3]
.LBB22_250:
	s_waitcnt lgkmcnt(0)
	global_load_ushort v1, v2, s[10:11]
	s_mov_b32 s16, 0x7f800000
	s_waitcnt vmcnt(0)
	v_cvt_f32_f16_e32 v2, v1
	v_cmp_nlg_f32_e64 s[18:19], |v2|, s16
	s_and_saveexec_b64 s[16:17], s[18:19]
	s_cbranch_execz .LBB22_252
; %bb.251:
	v_mov_b32_e32 v3, 0
	v_mov_b32_e32 v4, 1.0
	global_store_dword v3, v4, s[12:13]
.LBB22_252:
	s_or_b64 exec, exec, s[16:17]
	v_mov_b32_e32 v3, 0
	global_load_dword v3, v3, s[14:15]
	v_add_u32_e32 v24, 0x80, v24
	s_waitcnt vmcnt(0)
	v_fma_mixlo_f16 v2, v3, v2, 0
	v_cmp_eq_f32_e32 vcc, 1.0, v3
	v_cndmask_b32_e32 v1, v2, v1, vcc
	global_store_short v0, v1, s[8:9]
	s_or_b64 exec, exec, s[52:53]
	v_cmp_gt_i32_e32 vcc, s61, v24
	s_and_saveexec_b64 s[52:53], vcc
	s_cbranch_execnz .LBB22_235
.LBB22_253:
	s_or_b64 exec, exec, s[52:53]
	v_cmp_gt_i32_e32 vcc, s61, v24
	s_and_saveexec_b64 s[52:53], vcc
	s_cbranch_execnz .LBB22_267
.LBB22_254:
	s_or_b64 exec, exec, s[52:53]
                                        ; implicit-def: $vgpr31
                                        ; implicit-def: $vgpr24
	s_waitcnt lgkmcnt(0)
	s_andn2_saveexec_b64 s[0:1], s[34:35]
	s_cbranch_execnz .LBB22_9
.LBB22_255:
	s_endpgm
.LBB22_256:
	s_mov_b32 s55, s54
	v_pk_mov_b32 v[0:1], s[54:55], s[54:55] op_sel:[0,1]
                                        ; implicit-def: $vgpr2
	v_mov_b32_e32 v3, v24
.LBB22_257:
	s_and_b32 s20, s63, 3
	s_cmp_eq_u32 s20, 0
	s_cbranch_scc1 .LBB22_261
; %bb.258:
	s_lshl_b32 s16, s54, 3
	s_add_u32 s16, s16, s4
	s_addc_u32 s17, s5, 0
	s_add_u32 s16, s16, 0xc4
	s_addc_u32 s17, s17, 0
	s_mul_i32 s18, s54, 12
	s_add_u32 s18, s4, s18
	s_addc_u32 s19, s5, 0
.LBB22_259:                             ; =>This Inner Loop Header: Depth=1
	s_load_dwordx2 s[22:23], s[18:19], 0x4
	s_load_dword s21, s[18:19], 0xc
	s_load_dwordx2 s[24:25], s[16:17], 0x0
	v_mov_b32_e32 v2, v1
	s_add_u32 s18, s18, 12
	s_waitcnt lgkmcnt(0)
	v_mul_hi_u32 v1, s23, v3
	v_add_u32_e32 v1, v3, v1
	v_lshrrev_b32_e32 v1, s21, v1
	s_addc_u32 s19, s19, 0
	v_mul_lo_u32 v4, v1, s22
	s_add_u32 s16, s16, 8
	v_sub_u32_e32 v6, v3, v4
	v_mov_b32_e32 v3, v1
	s_addc_u32 s17, s17, 0
	s_add_i32 s20, s20, -1
	v_mad_u64_u32 v[4:5], s[22:23], v6, s25, v[2:3]
	v_mad_u64_u32 v[0:1], s[22:23], v6, s24, v[0:1]
	s_cmp_lg_u32 s20, 0
	v_mov_b32_e32 v1, v4
	s_cbranch_scc1 .LBB22_259
; %bb.260:
	v_mov_b32_e32 v2, v1
.LBB22_261:
	s_cbranch_execnz .LBB22_264
.LBB22_262:
	s_waitcnt lgkmcnt(0)
	v_mul_hi_u32 v0, s37, v24
	v_add_u32_e32 v0, v24, v0
	v_lshrrev_b32_e32 v1, s38, v0
	v_mul_lo_u32 v0, v1, s36
	v_sub_u32_e32 v0, v24, v0
	v_mul_lo_u32 v2, v0, s1
	s_andn2_b64 vcc, exec, s[46:47]
	v_mul_lo_u32 v0, v0, s0
	s_cbranch_vccnz .LBB22_264
; %bb.263:
	v_mul_hi_u32 v3, s44, v1
	v_add_u32_e32 v3, v1, v3
	v_lshrrev_b32_e32 v3, s45, v3
	v_mul_lo_u32 v3, v3, s39
	v_sub_u32_e32 v3, v1, v3
	v_mad_u64_u32 v[0:1], s[16:17], v3, s2, v[0:1]
	v_mad_u64_u32 v[2:3], s[16:17], v3, s3, v[2:3]
.LBB22_264:
	s_waitcnt lgkmcnt(0)
	global_load_ushort v1, v2, s[10:11]
	s_mov_b32 s16, 0x7f800000
	s_waitcnt vmcnt(0)
	v_cvt_f32_f16_e32 v2, v1
	v_cmp_nlg_f32_e64 s[18:19], |v2|, s16
	s_and_saveexec_b64 s[16:17], s[18:19]
	s_cbranch_execz .LBB22_266
; %bb.265:
	v_mov_b32_e32 v3, 0
	v_mov_b32_e32 v4, 1.0
	global_store_dword v3, v4, s[12:13]
.LBB22_266:
	s_or_b64 exec, exec, s[16:17]
	v_mov_b32_e32 v3, 0
	global_load_dword v3, v3, s[14:15]
	v_add_u32_e32 v24, 0x80, v24
	s_waitcnt vmcnt(0)
	v_fma_mixlo_f16 v2, v3, v2, 0
	v_cmp_eq_f32_e32 vcc, 1.0, v3
	v_cndmask_b32_e32 v1, v2, v1, vcc
	global_store_short v0, v1, s[8:9]
	s_or_b64 exec, exec, s[52:53]
	v_cmp_gt_i32_e32 vcc, s61, v24
	s_and_saveexec_b64 s[52:53], vcc
	s_cbranch_execz .LBB22_254
.LBB22_267:
	s_andn2_b64 vcc, exec, s[6:7]
	s_cbranch_vccnz .LBB22_273
; %bb.268:
	s_mov_b32 s54, 0
	s_andn2_b64 vcc, exec, s[50:51]
	v_mov_b32_e32 v2, 0
	v_mov_b32_e32 v0, 0
	s_cbranch_vccnz .LBB22_279
; %bb.269:
	s_add_i32 s62, s62, 1
	s_cmp_eq_u32 s60, 2
	s_cbranch_scc1 .LBB22_274
; %bb.270:
	s_and_b32 s54, s62, 28
	s_mov_b32 s55, 0
	v_mov_b32_e32 v0, 0
	s_mov_b64 s[50:51], s[4:5]
	v_mov_b32_e32 v3, v24
	v_mov_b32_e32 v2, 0
.LBB22_271:                             ; =>This Inner Loop Header: Depth=1
	s_load_dwordx8 s[24:31], s[50:51], 0x4
	s_load_dwordx4 s[40:43], s[50:51], 0x24
	s_load_dwordx8 s[16:23], s[48:49], 0x0
	s_add_u32 s50, s50, 48
	s_addc_u32 s51, s51, 0
	s_waitcnt lgkmcnt(0)
	v_mul_hi_u32 v1, s25, v3
	v_add_u32_e32 v1, v3, v1
	v_lshrrev_b32_e32 v1, s26, v1
	v_mul_lo_u32 v4, v1, s24
	v_mul_hi_u32 v5, s28, v1
	v_sub_u32_e32 v3, v3, v4
	v_add_u32_e32 v4, v1, v5
	v_lshrrev_b32_e32 v4, s29, v4
	v_mul_lo_u32 v6, v4, s27
	v_mul_hi_u32 v7, s31, v4
	v_sub_u32_e32 v1, v1, v6
	v_add_u32_e32 v6, v4, v7
	v_mul_lo_u32 v5, v3, s17
	v_mul_lo_u32 v3, v3, s16
	;; [unrolled: 1-line block ×4, first 2 shown]
	v_lshrrev_b32_e32 v6, s40, v6
	v_add3_u32 v0, v3, v0, v1
	v_mul_hi_u32 v3, s42, v6
	v_add_u32_e32 v3, v6, v3
	v_lshrrev_b32_e32 v3, s43, v3
	s_add_i32 s55, s55, 4
	v_add3_u32 v1, v5, v2, v7
	v_mul_lo_u32 v2, v6, s30
	v_mul_lo_u32 v5, v3, s41
	s_add_u32 s48, s48, 32
	v_sub_u32_e32 v2, v4, v2
	v_sub_u32_e32 v5, v6, v5
	s_addc_u32 s49, s49, 0
	v_mul_lo_u32 v4, v2, s20
	v_mul_lo_u32 v2, v2, s21
	;; [unrolled: 1-line block ×4, first 2 shown]
	s_cmp_eq_u32 s54, s55
	v_add3_u32 v2, v2, v1, v5
	v_add3_u32 v0, v4, v0, v6
	s_cbranch_scc0 .LBB22_271
; %bb.272:
	v_mov_b32_e32 v1, v2
	s_branch .LBB22_275
.LBB22_273:
                                        ; implicit-def: $vgpr2
                                        ; implicit-def: $vgpr0
	s_branch .LBB22_280
.LBB22_274:
	s_mov_b32 s55, s54
	v_pk_mov_b32 v[0:1], s[54:55], s[54:55] op_sel:[0,1]
                                        ; implicit-def: $vgpr2
	v_mov_b32_e32 v3, v24
.LBB22_275:
	s_and_b32 s20, s62, 3
	s_cmp_eq_u32 s20, 0
	s_cbranch_scc1 .LBB22_279
; %bb.276:
	s_lshl_b32 s16, s54, 3
	s_add_u32 s16, s16, s4
	s_addc_u32 s17, s5, 0
	s_add_u32 s16, s16, 0xc4
	s_addc_u32 s17, s17, 0
	s_mul_i32 s18, s54, 12
	s_add_u32 s18, s4, s18
	s_addc_u32 s19, s5, 0
.LBB22_277:                             ; =>This Inner Loop Header: Depth=1
	s_load_dwordx2 s[22:23], s[18:19], 0x4
	s_load_dword s21, s[18:19], 0xc
	s_load_dwordx2 s[24:25], s[16:17], 0x0
	v_mov_b32_e32 v2, v1
	s_add_u32 s18, s18, 12
	s_waitcnt lgkmcnt(0)
	v_mul_hi_u32 v1, s23, v3
	v_add_u32_e32 v1, v3, v1
	v_lshrrev_b32_e32 v1, s21, v1
	s_addc_u32 s19, s19, 0
	v_mul_lo_u32 v4, v1, s22
	s_add_u32 s16, s16, 8
	v_sub_u32_e32 v6, v3, v4
	v_mov_b32_e32 v3, v1
	s_addc_u32 s17, s17, 0
	s_add_i32 s20, s20, -1
	v_mad_u64_u32 v[4:5], s[22:23], v6, s25, v[2:3]
	v_mad_u64_u32 v[0:1], s[22:23], v6, s24, v[0:1]
	s_cmp_lg_u32 s20, 0
	v_mov_b32_e32 v1, v4
	s_cbranch_scc1 .LBB22_277
; %bb.278:
	v_mov_b32_e32 v2, v1
.LBB22_279:
	s_cbranch_execnz .LBB22_282
.LBB22_280:
	s_waitcnt lgkmcnt(0)
	v_mul_hi_u32 v0, s37, v24
	v_add_u32_e32 v0, v24, v0
	v_lshrrev_b32_e32 v1, s38, v0
	v_mul_lo_u32 v0, v1, s36
	v_sub_u32_e32 v0, v24, v0
	v_mul_lo_u32 v2, v0, s1
	s_andn2_b64 vcc, exec, s[46:47]
	v_mul_lo_u32 v0, v0, s0
	s_cbranch_vccnz .LBB22_282
; %bb.281:
	v_mul_hi_u32 v3, s44, v1
	v_add_u32_e32 v3, v1, v3
	v_lshrrev_b32_e32 v3, s45, v3
	v_mul_lo_u32 v3, v3, s39
	v_sub_u32_e32 v3, v1, v3
	v_mad_u64_u32 v[0:1], s[0:1], v3, s2, v[0:1]
	v_mad_u64_u32 v[2:3], s[0:1], v3, s3, v[2:3]
.LBB22_282:
	s_waitcnt lgkmcnt(0)
	global_load_ushort v1, v2, s[10:11]
	s_mov_b32 s0, 0x7f800000
	s_waitcnt vmcnt(0)
	v_cvt_f32_f16_e32 v2, v1
	v_cmp_nlg_f32_e64 s[2:3], |v2|, s0
	s_and_saveexec_b64 s[0:1], s[2:3]
	s_cbranch_execz .LBB22_284
; %bb.283:
	v_mov_b32_e32 v3, 0
	v_mov_b32_e32 v4, 1.0
	global_store_dword v3, v4, s[12:13]
.LBB22_284:
	s_or_b64 exec, exec, s[0:1]
	v_mov_b32_e32 v3, 0
	global_load_dword v3, v3, s[14:15]
	s_waitcnt vmcnt(0)
	v_fma_mixlo_f16 v2, v3, v2, 0
	v_cmp_eq_f32_e32 vcc, 1.0, v3
	v_cndmask_b32_e32 v1, v2, v1, vcc
	global_store_short v0, v1, s[8:9]
	s_or_b64 exec, exec, s[52:53]
                                        ; implicit-def: $vgpr31
                                        ; implicit-def: $vgpr24
	s_andn2_saveexec_b64 s[0:1], s[34:35]
	s_cbranch_execz .LBB22_255
	s_branch .LBB22_9
	.section	.rodata,"a",@progbits
	.p2align	6, 0x0
	.amdhsa_kernel _ZN2at6native32elementwise_kernel_manual_unrollILi128ELi8EZNS0_22gpu_kernel_impl_nocastIZZZNS0_12_GLOBAL__N_139_amp_non_finite_check_and_unscale_cuda_ERNS_6TensorES5_RKS4_ENKUlvE_clEvENKUlvE1_clEvEUlN3c104HalfEE_EEvRNS_18TensorIteratorBaseERKT_EUlibE_EEviT1_
		.amdhsa_group_segment_fixed_size 0
		.amdhsa_private_segment_fixed_size 0
		.amdhsa_kernarg_size 368
		.amdhsa_user_sgpr_count 6
		.amdhsa_user_sgpr_private_segment_buffer 1
		.amdhsa_user_sgpr_dispatch_ptr 0
		.amdhsa_user_sgpr_queue_ptr 0
		.amdhsa_user_sgpr_kernarg_segment_ptr 1
		.amdhsa_user_sgpr_dispatch_id 0
		.amdhsa_user_sgpr_flat_scratch_init 0
		.amdhsa_user_sgpr_kernarg_preload_length 0
		.amdhsa_user_sgpr_kernarg_preload_offset 0
		.amdhsa_user_sgpr_private_segment_size 0
		.amdhsa_uses_dynamic_stack 0
		.amdhsa_system_sgpr_private_segment_wavefront_offset 0
		.amdhsa_system_sgpr_workgroup_id_x 1
		.amdhsa_system_sgpr_workgroup_id_y 0
		.amdhsa_system_sgpr_workgroup_id_z 0
		.amdhsa_system_sgpr_workgroup_info 0
		.amdhsa_system_vgpr_workitem_id 0
		.amdhsa_next_free_vgpr 34
		.amdhsa_next_free_sgpr 64
		.amdhsa_accum_offset 36
		.amdhsa_reserve_vcc 1
		.amdhsa_reserve_flat_scratch 0
		.amdhsa_float_round_mode_32 0
		.amdhsa_float_round_mode_16_64 0
		.amdhsa_float_denorm_mode_32 3
		.amdhsa_float_denorm_mode_16_64 3
		.amdhsa_dx10_clamp 1
		.amdhsa_ieee_mode 1
		.amdhsa_fp16_overflow 0
		.amdhsa_tg_split 0
		.amdhsa_exception_fp_ieee_invalid_op 0
		.amdhsa_exception_fp_denorm_src 0
		.amdhsa_exception_fp_ieee_div_zero 0
		.amdhsa_exception_fp_ieee_overflow 0
		.amdhsa_exception_fp_ieee_underflow 0
		.amdhsa_exception_fp_ieee_inexact 0
		.amdhsa_exception_int_div_zero 0
	.end_amdhsa_kernel
	.section	.text._ZN2at6native32elementwise_kernel_manual_unrollILi128ELi8EZNS0_22gpu_kernel_impl_nocastIZZZNS0_12_GLOBAL__N_139_amp_non_finite_check_and_unscale_cuda_ERNS_6TensorES5_RKS4_ENKUlvE_clEvENKUlvE1_clEvEUlN3c104HalfEE_EEvRNS_18TensorIteratorBaseERKT_EUlibE_EEviT1_,"axG",@progbits,_ZN2at6native32elementwise_kernel_manual_unrollILi128ELi8EZNS0_22gpu_kernel_impl_nocastIZZZNS0_12_GLOBAL__N_139_amp_non_finite_check_and_unscale_cuda_ERNS_6TensorES5_RKS4_ENKUlvE_clEvENKUlvE1_clEvEUlN3c104HalfEE_EEvRNS_18TensorIteratorBaseERKT_EUlibE_EEviT1_,comdat
.Lfunc_end22:
	.size	_ZN2at6native32elementwise_kernel_manual_unrollILi128ELi8EZNS0_22gpu_kernel_impl_nocastIZZZNS0_12_GLOBAL__N_139_amp_non_finite_check_and_unscale_cuda_ERNS_6TensorES5_RKS4_ENKUlvE_clEvENKUlvE1_clEvEUlN3c104HalfEE_EEvRNS_18TensorIteratorBaseERKT_EUlibE_EEviT1_, .Lfunc_end22-_ZN2at6native32elementwise_kernel_manual_unrollILi128ELi8EZNS0_22gpu_kernel_impl_nocastIZZZNS0_12_GLOBAL__N_139_amp_non_finite_check_and_unscale_cuda_ERNS_6TensorES5_RKS4_ENKUlvE_clEvENKUlvE1_clEvEUlN3c104HalfEE_EEvRNS_18TensorIteratorBaseERKT_EUlibE_EEviT1_
                                        ; -- End function
	.section	.AMDGPU.csdata,"",@progbits
; Kernel info:
; codeLenInByte = 12804
; NumSgprs: 68
; NumVgprs: 34
; NumAgprs: 0
; TotalNumVgprs: 34
; ScratchSize: 0
; MemoryBound: 0
; FloatMode: 240
; IeeeMode: 1
; LDSByteSize: 0 bytes/workgroup (compile time only)
; SGPRBlocks: 8
; VGPRBlocks: 4
; NumSGPRsForWavesPerEU: 68
; NumVGPRsForWavesPerEU: 34
; AccumOffset: 36
; Occupancy: 8
; WaveLimiterHint : 1
; COMPUTE_PGM_RSRC2:SCRATCH_EN: 0
; COMPUTE_PGM_RSRC2:USER_SGPR: 6
; COMPUTE_PGM_RSRC2:TRAP_HANDLER: 0
; COMPUTE_PGM_RSRC2:TGID_X_EN: 1
; COMPUTE_PGM_RSRC2:TGID_Y_EN: 0
; COMPUTE_PGM_RSRC2:TGID_Z_EN: 0
; COMPUTE_PGM_RSRC2:TIDIG_COMP_CNT: 0
; COMPUTE_PGM_RSRC3_GFX90A:ACCUM_OFFSET: 8
; COMPUTE_PGM_RSRC3_GFX90A:TG_SPLIT: 0
	.section	.text._ZN2at6native32elementwise_kernel_manual_unrollILi128ELi4EZNS0_15gpu_kernel_implIZZZNS0_12_GLOBAL__N_139_amp_non_finite_check_and_unscale_cuda_ERNS_6TensorES5_RKS4_ENKUlvE_clEvENKUlvE1_clEvEUlN3c104HalfEE_EEvRNS_18TensorIteratorBaseERKT_EUlibE_EEviT1_,"axG",@progbits,_ZN2at6native32elementwise_kernel_manual_unrollILi128ELi4EZNS0_15gpu_kernel_implIZZZNS0_12_GLOBAL__N_139_amp_non_finite_check_and_unscale_cuda_ERNS_6TensorES5_RKS4_ENKUlvE_clEvENKUlvE1_clEvEUlN3c104HalfEE_EEvRNS_18TensorIteratorBaseERKT_EUlibE_EEviT1_,comdat
	.globl	_ZN2at6native32elementwise_kernel_manual_unrollILi128ELi4EZNS0_15gpu_kernel_implIZZZNS0_12_GLOBAL__N_139_amp_non_finite_check_and_unscale_cuda_ERNS_6TensorES5_RKS4_ENKUlvE_clEvENKUlvE1_clEvEUlN3c104HalfEE_EEvRNS_18TensorIteratorBaseERKT_EUlibE_EEviT1_ ; -- Begin function _ZN2at6native32elementwise_kernel_manual_unrollILi128ELi4EZNS0_15gpu_kernel_implIZZZNS0_12_GLOBAL__N_139_amp_non_finite_check_and_unscale_cuda_ERNS_6TensorES5_RKS4_ENKUlvE_clEvENKUlvE1_clEvEUlN3c104HalfEE_EEvRNS_18TensorIteratorBaseERKT_EUlibE_EEviT1_
	.p2align	8
	.type	_ZN2at6native32elementwise_kernel_manual_unrollILi128ELi4EZNS0_15gpu_kernel_implIZZZNS0_12_GLOBAL__N_139_amp_non_finite_check_and_unscale_cuda_ERNS_6TensorES5_RKS4_ENKUlvE_clEvENKUlvE1_clEvEUlN3c104HalfEE_EEvRNS_18TensorIteratorBaseERKT_EUlibE_EEviT1_,@function
_ZN2at6native32elementwise_kernel_manual_unrollILi128ELi4EZNS0_15gpu_kernel_implIZZZNS0_12_GLOBAL__N_139_amp_non_finite_check_and_unscale_cuda_ERNS_6TensorES5_RKS4_ENKUlvE_clEvENKUlvE1_clEvEUlN3c104HalfEE_EEvRNS_18TensorIteratorBaseERKT_EUlibE_EEviT1_: ; @_ZN2at6native32elementwise_kernel_manual_unrollILi128ELi4EZNS0_15gpu_kernel_implIZZZNS0_12_GLOBAL__N_139_amp_non_finite_check_and_unscale_cuda_ERNS_6TensorES5_RKS4_ENKUlvE_clEvENKUlvE1_clEvEUlN3c104HalfEE_EEvRNS_18TensorIteratorBaseERKT_EUlibE_EEviT1_
; %bb.0:
	s_load_dword s33, s[4:5], 0x30
	s_load_dword s42, s[4:5], 0x0
	s_load_dwordx4 s[8:11], s[4:5], 0x8
	s_load_dwordx2 s[2:3], s[4:5], 0x18
	s_load_dwordx4 s[12:15], s[4:5], 0x20
	v_lshl_or_b32 v2, s6, 9, v0
	v_or_b32_e32 v0, 0x180, v2
	s_waitcnt lgkmcnt(0)
	v_lshrrev_b16_e64 v3, 8, s33
	v_cmp_le_i32_e32 vcc, s42, v0
	s_mov_b64 s[4:5], 0
	s_mov_b64 s[16:17], 0
	s_and_saveexec_b64 s[0:1], vcc
	s_xor_b64 s[6:7], exec, s[0:1]
	s_cbranch_execz .LBB23_1035
; %bb.1:
	v_cmp_gt_i32_e32 vcc, s42, v2
	s_mov_b64 s[22:23], -1
	s_mov_b64 s[24:25], 0
	s_mov_b64 s[18:19], 0
	s_and_saveexec_b64 s[20:21], vcc
	s_cbranch_execz .LBB23_254
; %bb.2:
	v_mul_lo_u32 v0, v2, s3
	v_ashrrev_i32_e32 v1, 31, v0
	v_mov_b32_e32 v4, s11
	v_add_co_u32_e32 v0, vcc, s10, v0
	v_addc_co_u32_e32 v1, vcc, v4, v1, vcc
	v_cmp_gt_i16_e32 vcc, 11, v3
	s_cbranch_vccnz .LBB23_9
; %bb.3:
	v_cmp_lt_i16_e32 vcc, 25, v3
	s_cbranch_vccz .LBB23_20
; %bb.4:
	v_cmp_lt_i16_e32 vcc, 28, v3
	s_cbranch_vccz .LBB23_24
	;; [unrolled: 3-line block ×4, first 2 shown]
; %bb.7:
	v_cmp_eq_u16_e32 vcc, 46, v3
	s_cbranch_vccz .LBB23_30
; %bb.8:
	global_load_dword v4, v[0:1], off
	s_mov_b64 s[0:1], -1
	s_waitcnt vmcnt(0)
	v_lshlrev_b32_e32 v4, 16, v4
	v_cvt_f16_f32_e32 v4, v4
	s_branch .LBB23_32
.LBB23_9:
                                        ; implicit-def: $vgpr4
	s_mov_b64 s[0:1], 0
	s_cbranch_execnz .LBB23_205
.LBB23_10:
	s_andn2_b64 vcc, exec, s[0:1]
	s_cbranch_vccnz .LBB23_252
.LBB23_11:
	s_waitcnt vmcnt(0)
	v_cvt_f32_f16_e32 v5, v4
	s_mov_b32 s0, 0x7f800000
	v_cmp_nlg_f32_e64 s[16:17], |v5|, s0
	s_and_saveexec_b64 s[0:1], s[16:17]
	s_cbranch_execz .LBB23_13
; %bb.12:
	v_mov_b32_e32 v0, 0
	v_mov_b32_e32 v1, 1.0
	global_store_dword v0, v1, s[12:13]
.LBB23_13:
	s_or_b64 exec, exec, s[0:1]
	v_mov_b32_e32 v0, 0
	global_load_dword v6, v0, s[14:15]
	v_mul_lo_u32 v0, v2, s2
	v_mov_b32_e32 v1, s9
	v_mov_b32_e32 v7, 11
	v_ashrrev_i32_e32 v8, 31, v0
	v_add_co_u32_e32 v0, vcc, s8, v0
	v_cmp_lt_i16_sdwa s[0:1], s33, v7 src0_sel:BYTE_0 src1_sel:DWORD
	v_addc_co_u32_e32 v1, vcc, v1, v8, vcc
	s_and_b64 vcc, exec, s[0:1]
	s_waitcnt vmcnt(0)
	v_fma_mixlo_f16 v5, v6, v5, 0
	v_cmp_eq_f32_e64 s[0:1], 1.0, v6
	v_cndmask_b32_e64 v4, v5, v4, s[0:1]
	s_cbranch_vccnz .LBB23_21
; %bb.14:
	v_mov_b32_e32 v5, 25
	v_cmp_gt_i16_sdwa s[0:1], s33, v5 src0_sel:BYTE_0 src1_sel:DWORD
	s_and_b64 vcc, exec, s[0:1]
	s_cbranch_vccz .LBB23_25
; %bb.15:
	v_mov_b32_e32 v5, 28
	v_cmp_gt_i16_sdwa s[0:1], s33, v5 src0_sel:BYTE_0 src1_sel:DWORD
	s_and_b64 vcc, exec, s[0:1]
	s_cbranch_vccz .LBB23_27
	;; [unrolled: 5-line block ×4, first 2 shown]
; %bb.18:
	v_mov_b32_e32 v5, 46
	v_cmp_eq_u16_sdwa s[16:17], s33, v5 src0_sel:BYTE_0 src1_sel:DWORD
	s_mov_b64 s[22:23], 0
	s_mov_b64 s[0:1], -1
	s_and_b64 vcc, exec, s[16:17]
	s_mov_b64 s[16:17], 0
	s_cbranch_vccz .LBB23_36
; %bb.19:
	v_cvt_f32_f16_e32 v5, v4
	s_movk_i32 s0, 0x7fff
	v_mov_b32_e32 v6, 0x7fc0
	v_cmp_o_f16_e32 vcc, v4, v4
	v_bfe_u32 v7, v5, 16, 1
	v_add3_u32 v5, v5, v7, s0
	v_lshrrev_b32_e32 v5, 16, v5
	v_cndmask_b32_e32 v5, v6, v5, vcc
	global_store_dword v[0:1], v5, off
	s_mov_b64 s[16:17], -1
	s_mov_b64 s[0:1], 0
	s_branch .LBB23_36
.LBB23_20:
	s_mov_b64 s[0:1], 0
                                        ; implicit-def: $vgpr4
	s_cbranch_execnz .LBB23_170
	s_branch .LBB23_204
.LBB23_21:
	s_mov_b64 s[0:1], 0
	s_mov_b64 s[16:17], 0
	s_cbranch_execnz .LBB23_105
.LBB23_22:
	s_andn2_b64 vcc, exec, s[16:17]
	s_cbranch_vccnz .LBB23_143
.LBB23_23:
	v_add_u32_e32 v2, 0x80, v2
	s_mov_b64 s[22:23], -1
	s_branch .LBB23_253
.LBB23_24:
	s_mov_b64 s[16:17], -1
	s_mov_b64 s[0:1], 0
                                        ; implicit-def: $vgpr4
	s_branch .LBB23_151
.LBB23_25:
	s_mov_b64 s[22:23], -1
	s_mov_b64 s[0:1], 0
	s_mov_b64 s[16:17], 0
	s_branch .LBB23_63
.LBB23_26:
	s_mov_b64 s[16:17], -1
	s_mov_b64 s[0:1], 0
                                        ; implicit-def: $vgpr4
	s_branch .LBB23_146
.LBB23_27:
	s_mov_b64 s[22:23], -1
	s_mov_b64 s[0:1], 0
	s_mov_b64 s[16:17], 0
	s_branch .LBB23_46
.LBB23_28:
	s_mov_b64 s[16:17], -1
	s_branch .LBB23_31
.LBB23_29:
	s_mov_b64 s[22:23], -1
	s_mov_b64 s[0:1], 0
	s_mov_b64 s[16:17], 0
	s_branch .LBB23_42
.LBB23_30:
	s_mov_b64 s[18:19], -1
.LBB23_31:
	s_mov_b64 s[0:1], 0
                                        ; implicit-def: $vgpr4
.LBB23_32:
	s_and_b64 vcc, exec, s[16:17]
	s_cbranch_vccz .LBB23_145
; %bb.33:
	v_cmp_eq_u16_e32 vcc, 44, v3
	s_cbranch_vccz .LBB23_144
; %bb.34:
	global_load_ubyte v4, v[0:1], off
	s_movk_i32 s16, 0xff
	v_mov_b32_e32 v6, 0x7e00
	s_mov_b64 s[0:1], -1
	s_mov_b64 s[18:19], 0
	s_waitcnt vmcnt(0)
	v_lshlrev_b32_e32 v5, 23, v4
	v_cvt_f16_f32_e32 v5, v5
	v_cmp_ne_u32_e32 vcc, s16, v4
	v_cndmask_b32_e32 v5, v6, v5, vcc
	v_cmp_ne_u32_e32 vcc, 0, v4
	v_cndmask_b32_e32 v4, 0, v5, vcc
	s_branch .LBB23_145
.LBB23_35:
	s_mov_b64 s[22:23], -1
	s_mov_b64 s[0:1], 0
	s_mov_b64 s[16:17], 0
.LBB23_36:
	s_and_b64 vcc, exec, s[22:23]
	s_cbranch_vccz .LBB23_41
; %bb.37:
	v_mov_b32_e32 v5, 44
	v_cmp_eq_u16_sdwa s[22:23], s33, v5 src0_sel:BYTE_0 src1_sel:DWORD
	s_mov_b64 s[0:1], -1
	s_and_b64 vcc, exec, s[22:23]
	s_cbranch_vccz .LBB23_41
; %bb.38:
	v_cvt_f32_f16_e32 v5, v4
	s_movk_i32 s0, 0xff
	v_mov_b32_e32 v7, 0xff
	v_bfe_u32 v6, v5, 23, 8
	v_cmp_ne_u32_e32 vcc, s0, v6
	s_and_saveexec_b64 s[16:17], vcc
; %bb.39:
	s_mov_b32 s0, 0x3fffff
	v_lshrrev_b32_e32 v7, 23, v5
	v_and_b32_e32 v8, 0x400000, v5
	v_and_or_b32 v5, v5, s0, v6
	v_cmp_ne_u32_e32 vcc, 0, v8
	v_cmp_ne_u32_e64 s[0:1], 0, v5
	s_and_b64 s[0:1], vcc, s[0:1]
	v_cndmask_b32_e64 v5, 0, 1, s[0:1]
	v_add_u32_e32 v7, v7, v5
; %bb.40:
	s_or_b64 exec, exec, s[16:17]
	s_mov_b64 s[16:17], -1
	s_mov_b64 s[0:1], 0
	global_store_byte v[0:1], v7, off
.LBB23_41:
	s_mov_b64 s[22:23], 0
.LBB23_42:
	s_and_b64 vcc, exec, s[22:23]
	s_cbranch_vccz .LBB23_45
; %bb.43:
	v_mov_b32_e32 v5, 29
	v_cmp_eq_u16_sdwa s[22:23], s33, v5 src0_sel:BYTE_0 src1_sel:DWORD
	s_mov_b64 s[0:1], -1
	s_and_b64 vcc, exec, s[22:23]
	s_cbranch_vccz .LBB23_45
; %bb.44:
	v_cvt_f32_f16_e32 v5, v4
	v_mov_b32_e32 v7, 0
	s_mov_b64 s[16:17], -1
	s_mov_b64 s[0:1], 0
	v_cvt_u32_f32_e32 v6, v5
	s_mov_b64 s[22:23], 0
	global_store_dwordx2 v[0:1], v[6:7], off
	s_branch .LBB23_46
.LBB23_45:
	s_mov_b64 s[22:23], 0
.LBB23_46:
	s_and_b64 vcc, exec, s[22:23]
	s_cbranch_vccz .LBB23_62
; %bb.47:
	v_mov_b32_e32 v5, 27
	v_cmp_lt_i16_sdwa s[22:23], s33, v5 src0_sel:BYTE_0 src1_sel:DWORD
	s_mov_b64 s[16:17], -1
	s_and_b64 vcc, exec, s[22:23]
	s_cbranch_vccnz .LBB23_53
; %bb.48:
	v_cmp_gt_i16_sdwa s[22:23], s33, v5 src0_sel:BYTE_0 src1_sel:DWORD
	s_and_b64 vcc, exec, s[22:23]
	s_cbranch_vccz .LBB23_50
; %bb.49:
	v_cvt_f32_f16_e32 v5, v4
	s_mov_b64 s[16:17], 0
	v_cvt_u32_f32_e32 v5, v5
	global_store_dword v[0:1], v5, off
.LBB23_50:
	s_andn2_b64 vcc, exec, s[16:17]
	s_cbranch_vccnz .LBB23_52
; %bb.51:
	v_cvt_u16_f16_e32 v5, v4
	global_store_short v[0:1], v5, off
.LBB23_52:
	s_mov_b64 s[16:17], 0
.LBB23_53:
	s_andn2_b64 vcc, exec, s[16:17]
	s_cbranch_vccnz .LBB23_61
; %bb.54:
	v_cvt_f32_f16_e32 v5, v4
	s_mov_b32 s16, 0x43800000
	v_mov_b32_e32 v7, 0x80
	v_and_b32_e32 v6, 0x7fffffff, v5
	v_cmp_gt_u32_e32 vcc, s16, v6
	s_and_saveexec_b64 s[16:17], vcc
	s_cbranch_execz .LBB23_60
; %bb.55:
	s_mov_b32 s22, 0x3bffffff
	v_cmp_lt_u32_e32 vcc, s22, v6
	s_mov_b64 s[22:23], 0
                                        ; implicit-def: $vgpr6
	s_and_saveexec_b64 s[26:27], vcc
	s_xor_b64 s[26:27], exec, s[26:27]
	s_cbranch_execz .LBB23_283
; %bb.56:
	v_bfe_u32 v6, v5, 20, 1
	s_mov_b32 s28, 0x487ffff
	v_add3_u32 v6, v5, v6, s28
	s_mov_b64 s[22:23], exec
	v_lshrrev_b32_e32 v6, 20, v6
	s_or_saveexec_b64 s[26:27], s[26:27]
                                        ; implicit-def: $sgpr28
	s_xor_b64 exec, exec, s[26:27]
	s_cbranch_execnz .LBB23_284
.LBB23_57:
	s_or_b64 exec, exec, s[26:27]
	v_mov_b32_e32 v7, s28
	s_and_saveexec_b64 s[26:27], s[22:23]
.LBB23_58:
	v_lshrrev_b32_e32 v5, 24, v5
	s_movk_i32 s22, 0x80
	v_and_or_b32 v7, v5, s22, v6
.LBB23_59:
	s_or_b64 exec, exec, s[26:27]
.LBB23_60:
	s_or_b64 exec, exec, s[16:17]
	global_store_byte v[0:1], v7, off
.LBB23_61:
	s_mov_b64 s[16:17], -1
.LBB23_62:
	s_mov_b64 s[22:23], 0
.LBB23_63:
	s_and_b64 vcc, exec, s[22:23]
	s_cbranch_vccz .LBB23_104
; %bb.64:
	v_mov_b32_e32 v5, 22
	v_cmp_gt_i16_sdwa s[26:27], s33, v5 src0_sel:BYTE_0 src1_sel:DWORD
	s_mov_b64 s[22:23], -1
	s_and_b64 vcc, exec, s[26:27]
	s_cbranch_vccz .LBB23_96
; %bb.65:
	v_mov_b32_e32 v5, 24
	v_cmp_lt_i16_sdwa s[22:23], s33, v5 src0_sel:BYTE_0 src1_sel:DWORD
	s_mov_b64 s[16:17], -1
	s_and_b64 vcc, exec, s[22:23]
	s_cbranch_vccnz .LBB23_85
; %bb.66:
	v_cmp_gt_i16_sdwa s[22:23], s33, v5 src0_sel:BYTE_0 src1_sel:DWORD
	s_and_b64 vcc, exec, s[22:23]
	s_cbranch_vccz .LBB23_74
; %bb.67:
	v_cvt_f32_f16_e32 v5, v4
	s_mov_b32 s16, 0x47800000
	v_mov_b32_e32 v7, 0x80
	v_and_b32_e32 v6, 0x7fffffff, v5
	v_cmp_gt_u32_e32 vcc, s16, v6
	s_and_saveexec_b64 s[16:17], vcc
	s_cbranch_execz .LBB23_73
; %bb.68:
	s_mov_b32 s22, 0x37ffffff
	v_cmp_lt_u32_e32 vcc, s22, v6
	s_mov_b64 s[22:23], 0
                                        ; implicit-def: $vgpr6
	s_and_saveexec_b64 s[26:27], vcc
	s_xor_b64 s[26:27], exec, s[26:27]
	s_cbranch_execz .LBB23_287
; %bb.69:
	v_bfe_u32 v6, v5, 21, 1
	s_mov_b32 s28, 0x88fffff
	v_add3_u32 v6, v5, v6, s28
	s_mov_b64 s[22:23], exec
	v_lshrrev_b32_e32 v6, 21, v6
	s_or_saveexec_b64 s[26:27], s[26:27]
                                        ; implicit-def: $sgpr28
	s_xor_b64 exec, exec, s[26:27]
	s_cbranch_execnz .LBB23_288
.LBB23_70:
	s_or_b64 exec, exec, s[26:27]
	v_mov_b32_e32 v7, s28
	s_and_saveexec_b64 s[26:27], s[22:23]
.LBB23_71:
	v_lshrrev_b32_e32 v5, 24, v5
	s_movk_i32 s22, 0x80
	v_and_or_b32 v7, v5, s22, v6
.LBB23_72:
	s_or_b64 exec, exec, s[26:27]
.LBB23_73:
	s_or_b64 exec, exec, s[16:17]
	s_mov_b64 s[16:17], 0
	global_store_byte v[0:1], v7, off
.LBB23_74:
	s_and_b64 vcc, exec, s[16:17]
	s_cbranch_vccz .LBB23_84
; %bb.75:
	v_cvt_f32_f16_e32 v5, v4
	s_mov_b32 s16, 0x43f00000
                                        ; implicit-def: $vgpr6
	v_and_b32_e32 v7, 0x7fffffff, v5
	v_cmp_gt_u32_e32 vcc, s16, v7
	s_and_saveexec_b64 s[16:17], vcc
	s_xor_b64 s[16:17], exec, s[16:17]
	s_cbranch_execz .LBB23_81
; %bb.76:
	s_mov_b32 s22, 0x3c7fffff
	v_cmp_lt_u32_e32 vcc, s22, v7
                                        ; implicit-def: $vgpr6
	s_and_saveexec_b64 s[22:23], vcc
	s_xor_b64 s[22:23], exec, s[22:23]
; %bb.77:
	v_bfe_u32 v6, v5, 20, 1
	s_mov_b32 s26, 0x407ffff
	v_add3_u32 v6, v5, v6, s26
	v_lshrrev_b32_e32 v7, 20, v6
	v_and_b32_e32 v6, 0xff00000, v6
	s_mov_b32 s26, 0x7f00000
	v_mov_b32_e32 v8, 0x7e
	v_cmp_ne_u32_e32 vcc, s26, v6
	v_cndmask_b32_e32 v6, v8, v7, vcc
; %bb.78:
	s_andn2_saveexec_b64 s[22:23], s[22:23]
; %bb.79:
	s_mov_b32 s26, 0x46800000
	v_add_f32_e64 v6, |v5|, s26
; %bb.80:
	s_or_b64 exec, exec, s[22:23]
                                        ; implicit-def: $vgpr7
.LBB23_81:
	s_andn2_saveexec_b64 s[16:17], s[16:17]
; %bb.82:
	s_mov_b32 s22, 0x7f800000
	v_mov_b32_e32 v6, 0x7e
	v_mov_b32_e32 v8, 0x7f
	v_cmp_lt_u32_e32 vcc, s22, v7
	v_cndmask_b32_e32 v6, v6, v8, vcc
; %bb.83:
	s_or_b64 exec, exec, s[16:17]
	v_lshrrev_b32_e32 v5, 24, v5
	s_movk_i32 s16, 0x80
	v_and_or_b32 v5, v5, s16, v6
	global_store_byte v[0:1], v5, off
.LBB23_84:
	s_mov_b64 s[16:17], 0
.LBB23_85:
	s_andn2_b64 vcc, exec, s[16:17]
	s_cbranch_vccnz .LBB23_95
; %bb.86:
	v_cvt_f32_f16_e32 v5, v4
	s_mov_b32 s16, 0x47800000
                                        ; implicit-def: $vgpr6
	v_and_b32_e32 v7, 0x7fffffff, v5
	v_cmp_gt_u32_e32 vcc, s16, v7
	s_and_saveexec_b64 s[16:17], vcc
	s_xor_b64 s[16:17], exec, s[16:17]
	s_cbranch_execz .LBB23_92
; %bb.87:
	s_mov_b32 s22, 0x387fffff
	v_cmp_lt_u32_e32 vcc, s22, v7
                                        ; implicit-def: $vgpr6
	s_and_saveexec_b64 s[22:23], vcc
	s_xor_b64 s[22:23], exec, s[22:23]
; %bb.88:
	v_bfe_u32 v6, v5, 21, 1
	s_mov_b32 s26, 0x80fffff
	v_add3_u32 v6, v5, v6, s26
	v_lshrrev_b32_e32 v6, 21, v6
; %bb.89:
	s_andn2_saveexec_b64 s[22:23], s[22:23]
; %bb.90:
	s_mov_b32 s26, 0x43000000
	v_add_f32_e64 v6, |v5|, s26
; %bb.91:
	s_or_b64 exec, exec, s[22:23]
                                        ; implicit-def: $vgpr7
.LBB23_92:
	s_andn2_saveexec_b64 s[16:17], s[16:17]
; %bb.93:
	s_mov_b32 s22, 0x7f800000
	v_mov_b32_e32 v6, 0x7c
	v_mov_b32_e32 v8, 0x7f
	v_cmp_lt_u32_e32 vcc, s22, v7
	v_cndmask_b32_e32 v6, v6, v8, vcc
; %bb.94:
	s_or_b64 exec, exec, s[16:17]
	v_lshrrev_b32_e32 v5, 24, v5
	s_movk_i32 s16, 0x80
	v_and_or_b32 v5, v5, s16, v6
	global_store_byte v[0:1], v5, off
.LBB23_95:
	s_mov_b64 s[22:23], 0
	s_mov_b64 s[16:17], -1
.LBB23_96:
	s_andn2_b64 vcc, exec, s[22:23]
	s_cbranch_vccnz .LBB23_104
; %bb.97:
	v_mov_b32_e32 v5, 14
	v_cmp_gt_i16_sdwa s[26:27], s33, v5 src0_sel:BYTE_0 src1_sel:DWORD
	s_mov_b64 s[22:23], -1
	s_and_b64 vcc, exec, s[26:27]
	s_cbranch_vccz .LBB23_101
; %bb.98:
	v_mov_b32_e32 v5, 15
	v_cmp_eq_u16_sdwa s[22:23], s33, v5 src0_sel:BYTE_0 src1_sel:DWORD
	s_mov_b64 s[0:1], -1
	s_and_b64 vcc, exec, s[22:23]
	s_cbranch_vccz .LBB23_100
; %bb.99:
	v_cvt_f32_f16_e32 v5, v4
	s_movk_i32 s0, 0x7fff
	v_mov_b32_e32 v6, 0x7fc0
	v_cmp_o_f16_e32 vcc, v4, v4
	v_bfe_u32 v7, v5, 16, 1
	v_add3_u32 v5, v5, v7, s0
	v_lshrrev_b32_e32 v5, 16, v5
	v_cndmask_b32_e32 v5, v6, v5, vcc
	global_store_short v[0:1], v5, off
	s_mov_b64 s[16:17], -1
	s_mov_b64 s[0:1], 0
.LBB23_100:
	s_mov_b64 s[22:23], 0
.LBB23_101:
	s_and_b64 vcc, exec, s[22:23]
	s_cbranch_vccz .LBB23_104
; %bb.102:
	v_mov_b32_e32 v5, 11
	v_cmp_eq_u16_sdwa s[22:23], s33, v5 src0_sel:BYTE_0 src1_sel:DWORD
	s_mov_b64 s[0:1], -1
	s_and_b64 vcc, exec, s[22:23]
	s_cbranch_vccz .LBB23_104
; %bb.103:
	v_cmp_neq_f16_e32 vcc, 0, v4
	v_cndmask_b32_e64 v5, 0, 1, vcc
	s_mov_b64 s[16:17], -1
	s_mov_b64 s[0:1], 0
	global_store_byte v[0:1], v5, off
.LBB23_104:
	s_branch .LBB23_22
.LBB23_105:
	v_mov_b32_e32 v5, 5
	v_cmp_lt_i16_sdwa s[22:23], s33, v5 src0_sel:BYTE_0 src1_sel:DWORD
	s_mov_b64 s[16:17], -1
	s_and_b64 vcc, exec, s[22:23]
	s_cbranch_vccnz .LBB23_126
; %bb.106:
	v_mov_b32_e32 v5, 8
	v_cmp_lt_i16_sdwa s[22:23], s33, v5 src0_sel:BYTE_0 src1_sel:DWORD
	s_and_b64 vcc, exec, s[22:23]
	s_cbranch_vccnz .LBB23_116
; %bb.107:
	v_mov_b32_e32 v5, 9
	v_cmp_lt_i16_sdwa s[22:23], s33, v5 src0_sel:BYTE_0 src1_sel:DWORD
	s_and_b64 vcc, exec, s[22:23]
	s_cbranch_vccnz .LBB23_113
; %bb.108:
	v_cmp_gt_i16_sdwa s[22:23], s33, v5 src0_sel:BYTE_0 src1_sel:DWORD
	s_and_b64 vcc, exec, s[22:23]
	s_cbranch_vccz .LBB23_110
; %bb.109:
	v_cvt_f32_f16_e32 v5, v4
	v_mov_b32_e32 v8, 0
	v_mov_b32_e32 v9, v8
	s_mov_b64 s[16:17], 0
	v_cvt_f64_f32_e32 v[6:7], v5
	global_store_dwordx4 v[0:1], v[6:9], off
.LBB23_110:
	s_andn2_b64 vcc, exec, s[16:17]
	s_cbranch_vccnz .LBB23_112
; %bb.111:
	v_cvt_f32_f16_e32 v6, v4
	v_mov_b32_e32 v7, 0
	global_store_dwordx2 v[0:1], v[6:7], off
.LBB23_112:
	s_mov_b64 s[16:17], 0
.LBB23_113:
	s_andn2_b64 vcc, exec, s[16:17]
	s_cbranch_vccnz .LBB23_115
; %bb.114:
	v_and_b32_e32 v5, 0xffff, v4
	global_store_dword v[0:1], v5, off
.LBB23_115:
	s_mov_b64 s[16:17], 0
.LBB23_116:
	s_andn2_b64 vcc, exec, s[16:17]
	s_cbranch_vccnz .LBB23_125
; %bb.117:
	v_mov_b32_e32 v5, 6
	v_cmp_lt_i16_sdwa s[22:23], s33, v5 src0_sel:BYTE_0 src1_sel:DWORD
	s_mov_b64 s[16:17], -1
	s_and_b64 vcc, exec, s[22:23]
	s_cbranch_vccnz .LBB23_123
; %bb.118:
	v_cmp_gt_i16_sdwa s[22:23], s33, v5 src0_sel:BYTE_0 src1_sel:DWORD
	s_and_b64 vcc, exec, s[22:23]
	s_cbranch_vccz .LBB23_120
; %bb.119:
	v_cvt_f32_f16_e32 v5, v4
	s_mov_b64 s[16:17], 0
	v_cvt_f64_f32_e32 v[6:7], v5
	global_store_dwordx2 v[0:1], v[6:7], off
.LBB23_120:
	s_andn2_b64 vcc, exec, s[16:17]
	s_cbranch_vccnz .LBB23_122
; %bb.121:
	v_cvt_f32_f16_e32 v5, v4
	global_store_dword v[0:1], v5, off
.LBB23_122:
	s_mov_b64 s[16:17], 0
.LBB23_123:
	s_andn2_b64 vcc, exec, s[16:17]
	s_cbranch_vccnz .LBB23_125
; %bb.124:
	global_store_short v[0:1], v4, off
.LBB23_125:
	s_mov_b64 s[16:17], 0
.LBB23_126:
	s_andn2_b64 vcc, exec, s[16:17]
	s_cbranch_vccnz .LBB23_142
; %bb.127:
	v_mov_b32_e32 v5, 2
	v_cmp_lt_i16_sdwa s[22:23], s33, v5 src0_sel:BYTE_0 src1_sel:DWORD
	s_mov_b64 s[16:17], -1
	s_and_b64 vcc, exec, s[22:23]
	s_cbranch_vccnz .LBB23_137
; %bb.128:
	v_mov_b32_e32 v5, 3
	v_cmp_lt_i16_sdwa s[22:23], s33, v5 src0_sel:BYTE_0 src1_sel:DWORD
	s_and_b64 vcc, exec, s[22:23]
	s_cbranch_vccnz .LBB23_134
; %bb.129:
	v_cmp_gt_i16_sdwa s[22:23], s33, v5 src0_sel:BYTE_0 src1_sel:DWORD
	s_and_b64 vcc, exec, s[22:23]
	s_cbranch_vccz .LBB23_131
; %bb.130:
	v_cvt_f32_f16_e32 v5, v4
	s_mov_b64 s[16:17], 0
	v_cvt_i32_f32_e32 v6, v5
	v_ashrrev_i32_e32 v7, 31, v6
	global_store_dwordx2 v[0:1], v[6:7], off
.LBB23_131:
	s_andn2_b64 vcc, exec, s[16:17]
	s_cbranch_vccnz .LBB23_133
; %bb.132:
	v_cvt_f32_f16_e32 v5, v4
	v_cvt_i32_f32_e32 v5, v5
	global_store_dword v[0:1], v5, off
.LBB23_133:
	s_mov_b64 s[16:17], 0
.LBB23_134:
	s_andn2_b64 vcc, exec, s[16:17]
	s_cbranch_vccnz .LBB23_136
; %bb.135:
	v_cvt_i16_f16_e32 v5, v4
	global_store_short v[0:1], v5, off
.LBB23_136:
	s_mov_b64 s[16:17], 0
.LBB23_137:
	s_andn2_b64 vcc, exec, s[16:17]
	s_cbranch_vccnz .LBB23_142
; %bb.138:
	v_mov_b32_e32 v5, 0
	v_cmp_gt_i16_sdwa s[22:23], s33, v5 src0_sel:BYTE_0 src1_sel:DWORD
	s_mov_b64 s[16:17], -1
	s_and_b64 vcc, exec, s[22:23]
	s_cbranch_vccz .LBB23_140
; %bb.139:
	v_cvt_i16_f16_e32 v5, v4
	global_store_byte v[0:1], v5, off
	s_mov_b64 s[16:17], 0
.LBB23_140:
	s_andn2_b64 vcc, exec, s[16:17]
	s_cbranch_vccnz .LBB23_142
; %bb.141:
	v_cvt_f32_f16_e32 v4, v4
	v_cvt_i32_f32_e32 v4, v4
	global_store_byte v[0:1], v4, off
.LBB23_142:
	s_branch .LBB23_23
.LBB23_143:
	s_mov_b64 s[22:23], 0
                                        ; implicit-def: $vgpr2
	s_branch .LBB23_253
.LBB23_144:
	s_mov_b64 s[18:19], -1
                                        ; implicit-def: $vgpr4
.LBB23_145:
	s_mov_b64 s[16:17], 0
.LBB23_146:
	s_and_b64 vcc, exec, s[16:17]
	s_cbranch_vccz .LBB23_150
; %bb.147:
	v_cmp_eq_u16_e32 vcc, 29, v3
	s_cbranch_vccz .LBB23_149
; %bb.148:
	global_load_dwordx2 v[4:5], v[0:1], off
	s_mov_b64 s[0:1], -1
	s_mov_b64 s[18:19], 0
	s_mov_b64 s[16:17], 0
	s_waitcnt vmcnt(0)
	v_ffbh_u32_e32 v6, v5
	v_min_u32_e32 v6, 32, v6
	v_lshlrev_b64 v[4:5], v6, v[4:5]
	v_min_u32_e32 v4, 1, v4
	v_or_b32_e32 v4, v5, v4
	v_cvt_f32_u32_e32 v4, v4
	v_sub_u32_e32 v5, 32, v6
	v_ldexp_f32 v4, v4, v5
	v_cvt_f16_f32_e32 v4, v4
	s_branch .LBB23_151
.LBB23_149:
	s_mov_b64 s[18:19], -1
                                        ; implicit-def: $vgpr4
.LBB23_150:
	s_mov_b64 s[16:17], 0
.LBB23_151:
	s_and_b64 vcc, exec, s[16:17]
	s_cbranch_vccz .LBB23_169
; %bb.152:
	v_cmp_gt_i16_e32 vcc, 27, v3
	s_cbranch_vccnz .LBB23_155
; %bb.153:
	v_cmp_lt_i16_e32 vcc, 27, v3
	s_cbranch_vccz .LBB23_156
; %bb.154:
	global_load_dword v4, v[0:1], off
	s_mov_b64 s[0:1], 0
	s_waitcnt vmcnt(0)
	v_cvt_f32_u32_e32 v4, v4
	v_cvt_f16_f32_e32 v4, v4
	s_branch .LBB23_157
.LBB23_155:
	s_mov_b64 s[0:1], -1
                                        ; implicit-def: $vgpr4
	s_branch .LBB23_160
.LBB23_156:
	s_mov_b64 s[0:1], -1
                                        ; implicit-def: $vgpr4
.LBB23_157:
	s_andn2_b64 vcc, exec, s[0:1]
	s_cbranch_vccnz .LBB23_159
; %bb.158:
	global_load_ushort v4, v[0:1], off
	s_waitcnt vmcnt(0)
	v_cvt_f16_u16_e32 v4, v4
.LBB23_159:
	s_mov_b64 s[0:1], 0
.LBB23_160:
	s_andn2_b64 vcc, exec, s[0:1]
	s_cbranch_vccnz .LBB23_168
; %bb.161:
	global_load_ubyte v5, v[0:1], off
	s_movk_i32 s0, 0x7f
                                        ; implicit-def: $sgpr26
	s_waitcnt vmcnt(0)
	v_cmp_lt_i16_e32 vcc, s0, v5
	s_mov_b64 s[0:1], 0
	s_and_saveexec_b64 s[16:17], vcc
	s_xor_b64 s[16:17], exec, s[16:17]
	s_cbranch_execz .LBB23_181
; %bb.162:
	s_movk_i32 s0, 0x80
	v_cmp_eq_u16_e32 vcc, s0, v5
	s_mov_b64 s[0:1], -1
                                        ; implicit-def: $sgpr26
	s_and_saveexec_b64 s[22:23], vcc
; %bb.163:
	s_movk_i32 s26, 0x7e00
	s_xor_b64 s[0:1], exec, -1
; %bb.164:
	s_or_b64 exec, exec, s[22:23]
	s_and_b64 s[0:1], s[0:1], exec
	s_or_saveexec_b64 s[16:17], s[16:17]
	v_mov_b32_e32 v4, s26
	s_xor_b64 exec, exec, s[16:17]
	s_cbranch_execnz .LBB23_182
.LBB23_165:
	s_or_b64 exec, exec, s[16:17]
	s_and_saveexec_b64 s[16:17], s[0:1]
	s_cbranch_execz .LBB23_167
.LBB23_166:
	v_lshlrev_b32_e32 v4, 24, v5
	v_and_b32_e32 v5, 0xffff, v5
	v_and_b32_e32 v6, 7, v5
	v_ffbh_u32_e32 v8, v6
	v_min_u32_e32 v8, 32, v8
	v_subrev_u32_e32 v9, 28, v8
	v_bfe_u32 v7, v5, 3, 4
	v_lshlrev_b32_e32 v5, v9, v5
	v_sub_u32_e32 v8, 29, v8
	v_and_b32_e32 v5, 7, v5
	v_cmp_eq_u32_e32 vcc, 0, v7
	v_cndmask_b32_e32 v7, v7, v8, vcc
	v_cndmask_b32_e32 v5, v6, v5, vcc
	v_mov_b32_e32 v6, 0x3b800000
	v_lshlrev_b32_e32 v5, 20, v5
	v_and_b32_e32 v4, 0x80000000, v4
	v_lshl_add_u32 v6, v7, 23, v6
	v_or3_b32 v4, v4, v6, v5
	v_cvt_f16_f32_e32 v4, v4
.LBB23_167:
	s_or_b64 exec, exec, s[16:17]
.LBB23_168:
	s_mov_b64 s[0:1], -1
.LBB23_169:
	s_branch .LBB23_204
.LBB23_170:
	v_cmp_lt_i16_e32 vcc, 22, v3
	s_cbranch_vccz .LBB23_180
; %bb.171:
	v_cmp_gt_i16_e32 vcc, 24, v3
	s_cbranch_vccnz .LBB23_183
; %bb.172:
	v_cmp_lt_i16_e32 vcc, 24, v3
	s_cbranch_vccz .LBB23_184
; %bb.173:
	global_load_ubyte v5, v[0:1], off
	s_movk_i32 s0, 0x7f
                                        ; implicit-def: $sgpr26
	s_waitcnt vmcnt(0)
	v_cmp_lt_i16_e32 vcc, s0, v5
	s_mov_b64 s[0:1], 0
	s_and_saveexec_b64 s[16:17], vcc
	s_xor_b64 s[16:17], exec, s[16:17]
	s_cbranch_execz .LBB23_196
; %bb.174:
	s_movk_i32 s0, 0x80
	v_cmp_eq_u16_e32 vcc, s0, v5
	s_mov_b64 s[0:1], -1
                                        ; implicit-def: $sgpr26
	s_and_saveexec_b64 s[22:23], vcc
; %bb.175:
	s_movk_i32 s26, 0x7e00
	s_xor_b64 s[0:1], exec, -1
; %bb.176:
	s_or_b64 exec, exec, s[22:23]
	s_and_b64 s[0:1], s[0:1], exec
	s_or_saveexec_b64 s[16:17], s[16:17]
	v_mov_b32_e32 v4, s26
	s_xor_b64 exec, exec, s[16:17]
	s_cbranch_execnz .LBB23_197
.LBB23_177:
	s_or_b64 exec, exec, s[16:17]
	s_and_saveexec_b64 s[16:17], s[0:1]
	s_cbranch_execz .LBB23_179
.LBB23_178:
	v_lshlrev_b32_e32 v4, 24, v5
	v_and_b32_e32 v5, 0xffff, v5
	v_and_b32_e32 v6, 3, v5
	v_ffbh_u32_e32 v8, v6
	v_min_u32_e32 v8, 32, v8
	v_subrev_u32_e32 v9, 29, v8
	v_bfe_u32 v7, v5, 2, 5
	v_lshlrev_b32_e32 v5, v9, v5
	v_sub_u32_e32 v8, 30, v8
	v_and_b32_e32 v5, 3, v5
	v_cmp_eq_u32_e32 vcc, 0, v7
	v_cndmask_b32_e32 v7, v7, v8, vcc
	v_cndmask_b32_e32 v5, v6, v5, vcc
	v_mov_b32_e32 v6, 0x37800000
	v_lshlrev_b32_e32 v5, 21, v5
	v_and_b32_e32 v4, 0x80000000, v4
	v_lshl_add_u32 v6, v7, 23, v6
	v_or3_b32 v4, v4, v6, v5
	v_cvt_f16_f32_e32 v4, v4
.LBB23_179:
	s_or_b64 exec, exec, s[16:17]
	s_mov_b64 s[0:1], 0
	s_branch .LBB23_185
.LBB23_180:
	s_mov_b64 s[16:17], -1
                                        ; implicit-def: $vgpr4
	s_branch .LBB23_191
.LBB23_181:
	s_or_saveexec_b64 s[16:17], s[16:17]
	v_mov_b32_e32 v4, s26
	s_xor_b64 exec, exec, s[16:17]
	s_cbranch_execz .LBB23_165
.LBB23_182:
	v_cmp_ne_u16_e32 vcc, 0, v5
	s_andn2_b64 s[0:1], s[0:1], exec
	s_and_b64 s[22:23], vcc, exec
	s_or_b64 s[0:1], s[0:1], s[22:23]
	v_mov_b32_e32 v4, v5
	s_or_b64 exec, exec, s[16:17]
	s_and_saveexec_b64 s[16:17], s[0:1]
	s_cbranch_execnz .LBB23_166
	s_branch .LBB23_167
.LBB23_183:
	s_mov_b64 s[0:1], -1
                                        ; implicit-def: $vgpr4
	s_branch .LBB23_188
.LBB23_184:
	s_mov_b64 s[0:1], -1
                                        ; implicit-def: $vgpr4
.LBB23_185:
	s_and_b64 vcc, exec, s[0:1]
	s_cbranch_vccz .LBB23_187
; %bb.186:
	global_load_ubyte v4, v[0:1], off
	s_mov_b32 s0, 0x7f800000
	s_waitcnt vmcnt(0)
	v_lshlrev_b32_e32 v4, 24, v4
	v_and_b32_e32 v5, 0x7f000000, v4
	v_ffbh_u32_e32 v6, v5
	v_min_u32_e32 v6, 32, v6
	v_sub_u32_e64 v6, v6, 4 clamp
	v_lshlrev_b32_e32 v8, v6, v5
	v_lshlrev_b32_e32 v6, 23, v6
	v_lshrrev_b32_e32 v8, 4, v8
	v_add_u32_e32 v7, 0x1000000, v5
	v_sub_u32_e32 v6, v8, v6
	v_ashrrev_i32_e32 v7, 8, v7
	v_add_u32_e32 v6, 0x3c000000, v6
	v_and_or_b32 v6, v7, s0, v6
	v_cmp_ne_u32_e32 vcc, 0, v5
	v_cndmask_b32_e32 v5, 0, v6, vcc
	s_brev_b32 s0, 1
	v_and_or_b32 v4, v4, s0, v5
	v_cvt_f16_f32_e32 v4, v4
.LBB23_187:
	s_mov_b64 s[0:1], 0
.LBB23_188:
	s_andn2_b64 vcc, exec, s[0:1]
	s_cbranch_vccnz .LBB23_190
; %bb.189:
	global_load_ubyte v4, v[0:1], off
	s_movk_i32 s0, 0x7f00
	s_brev_b32 s1, 16
	s_waitcnt vmcnt(0)
	v_lshlrev_b16_e32 v5, 8, v4
	v_lshlrev_b32_e32 v4, 25, v4
	v_lshrrev_b32_e32 v6, 4, v4
	v_and_or_b32 v7, v5, s0, 0.5
	v_or_b32_e32 v6, 0x70000000, v6
	v_add_f32_e32 v7, -0.5, v7
	v_mul_f32_e32 v6, 0x7800000, v6
	v_cmp_gt_u32_e32 vcc, s1, v4
	v_bfe_i32 v5, v5, 0, 16
	v_cndmask_b32_e32 v4, v6, v7, vcc
	s_brev_b32 s0, 1
	v_and_or_b32 v4, v5, s0, v4
	v_cvt_f16_f32_e32 v4, v4
.LBB23_190:
	s_mov_b64 s[16:17], 0
	s_mov_b64 s[0:1], -1
.LBB23_191:
	s_andn2_b64 vcc, exec, s[16:17]
	s_cbranch_vccnz .LBB23_204
; %bb.192:
	v_cmp_lt_i16_e32 vcc, 14, v3
	s_cbranch_vccz .LBB23_195
; %bb.193:
	v_cmp_eq_u16_e32 vcc, 15, v3
	s_cbranch_vccz .LBB23_198
; %bb.194:
	global_load_ushort v4, v[0:1], off
	s_mov_b64 s[0:1], -1
	s_mov_b64 s[18:19], 0
	s_waitcnt vmcnt(0)
	v_lshlrev_b32_e32 v4, 16, v4
	v_cvt_f16_f32_e32 v4, v4
	s_branch .LBB23_199
.LBB23_195:
	s_mov_b64 s[16:17], -1
                                        ; implicit-def: $vgpr4
	s_branch .LBB23_200
.LBB23_196:
	s_or_saveexec_b64 s[16:17], s[16:17]
	v_mov_b32_e32 v4, s26
	s_xor_b64 exec, exec, s[16:17]
	s_cbranch_execz .LBB23_177
.LBB23_197:
	v_cmp_ne_u16_e32 vcc, 0, v5
	s_andn2_b64 s[0:1], s[0:1], exec
	s_and_b64 s[22:23], vcc, exec
	s_or_b64 s[0:1], s[0:1], s[22:23]
	v_mov_b32_e32 v4, v5
	s_or_b64 exec, exec, s[16:17]
	s_and_saveexec_b64 s[16:17], s[0:1]
	s_cbranch_execnz .LBB23_178
	s_branch .LBB23_179
.LBB23_198:
	s_mov_b64 s[18:19], -1
                                        ; implicit-def: $vgpr4
.LBB23_199:
	s_mov_b64 s[16:17], 0
.LBB23_200:
	s_and_b64 vcc, exec, s[16:17]
	s_cbranch_vccz .LBB23_204
; %bb.201:
	v_cmp_eq_u16_e32 vcc, 11, v3
	s_cbranch_vccz .LBB23_203
; %bb.202:
	global_load_ubyte v4, v[0:1], off
	v_mov_b32_e32 v5, 0x3c00
	s_mov_b64 s[0:1], -1
	s_mov_b64 s[18:19], 0
	s_waitcnt vmcnt(0)
	v_cmp_ne_u16_e32 vcc, 0, v4
	v_cndmask_b32_e32 v4, 0, v5, vcc
	s_branch .LBB23_204
.LBB23_203:
	s_mov_b64 s[18:19], -1
                                        ; implicit-def: $vgpr4
.LBB23_204:
	s_branch .LBB23_10
.LBB23_205:
	v_cmp_gt_i16_e32 vcc, 5, v3
	s_cbranch_vccnz .LBB23_210
; %bb.206:
	v_cmp_gt_i16_e32 vcc, 8, v3
	s_cbranch_vccnz .LBB23_211
; %bb.207:
	;; [unrolled: 3-line block ×3, first 2 shown]
	v_cmp_lt_i16_e32 vcc, 9, v3
	s_cbranch_vccz .LBB23_213
; %bb.209:
	global_load_dwordx2 v[4:5], v[0:1], off
	s_mov_b64 s[0:1], 0
	s_waitcnt vmcnt(0)
	v_cvt_f32_f64_e32 v4, v[4:5]
	v_cvt_f16_f32_e32 v4, v4
	s_branch .LBB23_214
.LBB23_210:
                                        ; implicit-def: $vgpr4
	s_branch .LBB23_232
.LBB23_211:
	s_mov_b64 s[0:1], -1
                                        ; implicit-def: $vgpr4
	s_branch .LBB23_220
.LBB23_212:
	s_mov_b64 s[0:1], -1
                                        ; implicit-def: $vgpr4
	s_branch .LBB23_217
.LBB23_213:
	s_mov_b64 s[0:1], -1
                                        ; implicit-def: $vgpr4
.LBB23_214:
	s_andn2_b64 vcc, exec, s[0:1]
	s_cbranch_vccnz .LBB23_216
; %bb.215:
	global_load_dword v4, v[0:1], off
	s_waitcnt vmcnt(0)
	v_cvt_f16_f32_e32 v4, v4
.LBB23_216:
	s_mov_b64 s[0:1], 0
.LBB23_217:
	s_andn2_b64 vcc, exec, s[0:1]
	s_cbranch_vccnz .LBB23_219
; %bb.218:
	global_load_dword v4, v[0:1], off
.LBB23_219:
	s_mov_b64 s[0:1], 0
.LBB23_220:
	s_andn2_b64 vcc, exec, s[0:1]
	s_cbranch_vccnz .LBB23_231
; %bb.221:
	v_cmp_gt_i16_e32 vcc, 6, v3
	s_cbranch_vccnz .LBB23_224
; %bb.222:
	v_cmp_lt_i16_e32 vcc, 6, v3
	s_cbranch_vccz .LBB23_225
; %bb.223:
	global_load_dwordx2 v[4:5], v[0:1], off
	s_mov_b64 s[0:1], 0
	s_waitcnt vmcnt(0)
	v_cvt_f32_f64_e32 v4, v[4:5]
	v_cvt_f16_f32_e32 v4, v4
	s_branch .LBB23_226
.LBB23_224:
	s_mov_b64 s[0:1], -1
                                        ; implicit-def: $vgpr4
	s_branch .LBB23_229
.LBB23_225:
	s_mov_b64 s[0:1], -1
                                        ; implicit-def: $vgpr4
.LBB23_226:
	s_andn2_b64 vcc, exec, s[0:1]
	s_cbranch_vccnz .LBB23_228
; %bb.227:
	global_load_dword v4, v[0:1], off
	s_waitcnt vmcnt(0)
	v_cvt_f16_f32_e32 v4, v4
.LBB23_228:
	s_mov_b64 s[0:1], 0
.LBB23_229:
	s_andn2_b64 vcc, exec, s[0:1]
	s_cbranch_vccnz .LBB23_231
; %bb.230:
	global_load_ushort v4, v[0:1], off
.LBB23_231:
	s_cbranch_execnz .LBB23_251
.LBB23_232:
	v_cmp_gt_i16_e32 vcc, 2, v3
	s_cbranch_vccnz .LBB23_236
; %bb.233:
	v_cmp_gt_i16_e32 vcc, 3, v3
	s_cbranch_vccnz .LBB23_237
; %bb.234:
	v_cmp_lt_i16_e32 vcc, 3, v3
	s_cbranch_vccz .LBB23_238
; %bb.235:
	global_load_dwordx2 v[4:5], v[0:1], off
	s_mov_b64 s[0:1], 0
	s_waitcnt vmcnt(0)
	v_xor_b32_e32 v7, v4, v5
	v_ffbh_i32_e32 v6, v5
	v_ashrrev_i32_e32 v7, 31, v7
	v_add_u32_e32 v6, -1, v6
	v_add_u32_e32 v7, 32, v7
	v_min_u32_e32 v6, v6, v7
	v_lshlrev_b64 v[4:5], v6, v[4:5]
	v_min_u32_e32 v4, 1, v4
	v_or_b32_e32 v4, v5, v4
	v_cvt_f32_i32_e32 v4, v4
	v_sub_u32_e32 v5, 32, v6
	v_ldexp_f32 v4, v4, v5
	v_cvt_f16_f32_e32 v4, v4
	s_branch .LBB23_239
.LBB23_236:
	s_mov_b64 s[0:1], -1
                                        ; implicit-def: $vgpr4
	s_branch .LBB23_245
.LBB23_237:
	s_mov_b64 s[0:1], -1
                                        ; implicit-def: $vgpr4
	s_branch .LBB23_242
.LBB23_238:
	s_mov_b64 s[0:1], -1
                                        ; implicit-def: $vgpr4
.LBB23_239:
	s_andn2_b64 vcc, exec, s[0:1]
	s_cbranch_vccnz .LBB23_241
; %bb.240:
	global_load_dword v4, v[0:1], off
	s_waitcnt vmcnt(0)
	v_cvt_f32_i32_e32 v4, v4
	v_cvt_f16_f32_e32 v4, v4
.LBB23_241:
	s_mov_b64 s[0:1], 0
.LBB23_242:
	s_andn2_b64 vcc, exec, s[0:1]
	s_cbranch_vccnz .LBB23_244
; %bb.243:
	global_load_ushort v4, v[0:1], off
	s_waitcnt vmcnt(0)
	v_cvt_f16_i16_e32 v4, v4
.LBB23_244:
	s_mov_b64 s[0:1], 0
.LBB23_245:
	s_andn2_b64 vcc, exec, s[0:1]
	s_cbranch_vccnz .LBB23_251
; %bb.246:
	v_cmp_lt_i16_e32 vcc, 0, v3
	s_cbranch_vccz .LBB23_248
; %bb.247:
	global_load_sbyte v4, v[0:1], off
	s_mov_b64 s[0:1], 0
	s_waitcnt vmcnt(0)
	v_cvt_f16_i16_e32 v4, v4
	s_branch .LBB23_249
.LBB23_248:
	s_mov_b64 s[0:1], -1
                                        ; implicit-def: $vgpr4
.LBB23_249:
	s_andn2_b64 vcc, exec, s[0:1]
	s_cbranch_vccnz .LBB23_251
; %bb.250:
	global_load_ubyte v0, v[0:1], off
	s_waitcnt vmcnt(0)
	v_cvt_f16_u16_e32 v4, v0
.LBB23_251:
	s_branch .LBB23_11
.LBB23_252:
	s_mov_b64 s[0:1], 0
                                        ; implicit-def: $vgpr2
	s_mov_b64 s[22:23], 0
.LBB23_253:
	s_and_b64 s[16:17], s[0:1], exec
	s_and_b64 s[18:19], s[18:19], exec
	s_orn2_b64 s[22:23], s[22:23], exec
.LBB23_254:
	s_or_b64 exec, exec, s[20:21]
	s_mov_b64 s[26:27], 0
	s_mov_b64 s[0:1], 0
                                        ; implicit-def: $vgpr0_vgpr1
                                        ; implicit-def: $vgpr5
	s_and_saveexec_b64 s[20:21], s[22:23]
	s_cbranch_execz .LBB23_263
; %bb.255:
	v_cmp_gt_i32_e32 vcc, s42, v2
	s_mov_b64 s[0:1], -1
	s_mov_b64 s[22:23], s[18:19]
	s_mov_b64 s[24:25], s[16:17]
	s_and_saveexec_b64 s[26:27], vcc
	s_cbranch_execz .LBB23_517
; %bb.256:
	v_mul_lo_u32 v0, v2, s3
	v_ashrrev_i32_e32 v1, 31, v0
	s_waitcnt vmcnt(0)
	v_mov_b32_e32 v4, s11
	v_add_co_u32_e32 v0, vcc, s10, v0
	v_addc_co_u32_e32 v1, vcc, v4, v1, vcc
	v_cmp_gt_i16_e32 vcc, 11, v3
	s_cbranch_vccnz .LBB23_266
; %bb.257:
	v_cmp_lt_i16_e32 vcc, 25, v3
	s_cbranch_vccz .LBB23_277
; %bb.258:
	v_cmp_lt_i16_e32 vcc, 28, v3
	s_cbranch_vccz .LBB23_279
	;; [unrolled: 3-line block ×4, first 2 shown]
; %bb.261:
	v_cmp_eq_u16_e32 vcc, 46, v3
	s_mov_b64 s[24:25], 0
	s_cbranch_vccz .LBB23_289
; %bb.262:
	global_load_dword v4, v[0:1], off
	s_mov_b64 s[22:23], 0
	s_waitcnt vmcnt(0)
	v_lshlrev_b32_e32 v4, 16, v4
	v_cvt_f16_f32_e32 v4, v4
	s_branch .LBB23_290
.LBB23_263:
	s_or_b64 exec, exec, s[20:21]
	s_mov_b64 s[20:21], 0
	s_and_saveexec_b64 s[22:23], s[18:19]
	s_cbranch_execnz .LBB23_865
.LBB23_264:
	s_or_b64 exec, exec, s[22:23]
	s_and_saveexec_b64 s[18:19], s[24:25]
	s_xor_b64 s[18:19], exec, s[18:19]
	s_cbranch_execz .LBB23_866
.LBB23_265:
	global_load_ubyte v4, v[0:1], off
	v_mov_b32_e32 v5, 0x3c00
	s_or_b64 s[0:1], s[0:1], exec
	s_waitcnt vmcnt(0)
	v_cmp_ne_u16_e32 vcc, 0, v4
	v_cndmask_b32_e32 v5, 0, v5, vcc
	s_or_b64 exec, exec, s[18:19]
	s_and_saveexec_b64 s[18:19], s[26:27]
	s_cbranch_execz .LBB23_912
	s_branch .LBB23_867
.LBB23_266:
	s_mov_b64 s[0:1], 0
                                        ; implicit-def: $vgpr4
	s_mov_b64 s[22:23], s[18:19]
	s_cbranch_execnz .LBB23_467
.LBB23_267:
	s_andn2_b64 vcc, exec, s[0:1]
	s_cbranch_vccnz .LBB23_515
.LBB23_268:
	s_waitcnt vmcnt(0)
	v_cvt_f32_f16_e32 v5, v4
	s_mov_b32 s0, 0x7f800000
	v_cmp_nlg_f32_e64 s[24:25], |v5|, s0
	s_and_saveexec_b64 s[0:1], s[24:25]
	s_cbranch_execz .LBB23_270
; %bb.269:
	v_mov_b32_e32 v0, 0
	v_mov_b32_e32 v1, 1.0
	global_store_dword v0, v1, s[12:13]
.LBB23_270:
	s_or_b64 exec, exec, s[0:1]
	v_mov_b32_e32 v0, 0
	global_load_dword v6, v0, s[14:15]
	v_mul_lo_u32 v0, v2, s2
	v_mov_b32_e32 v1, s9
	v_mov_b32_e32 v7, 11
	v_ashrrev_i32_e32 v8, 31, v0
	v_add_co_u32_e32 v0, vcc, s8, v0
	v_cmp_lt_i16_sdwa s[0:1], s33, v7 src0_sel:BYTE_0 src1_sel:DWORD
	v_addc_co_u32_e32 v1, vcc, v1, v8, vcc
	s_and_b64 vcc, exec, s[0:1]
	s_waitcnt vmcnt(0)
	v_fma_mixlo_f16 v5, v6, v5, 0
	v_cmp_eq_f32_e64 s[0:1], 1.0, v6
	v_cndmask_b32_e64 v4, v5, v4, s[0:1]
	s_cbranch_vccnz .LBB23_278
; %bb.271:
	v_mov_b32_e32 v5, 25
	v_cmp_gt_i16_sdwa s[0:1], s33, v5 src0_sel:BYTE_0 src1_sel:DWORD
	s_and_b64 vcc, exec, s[0:1]
	s_cbranch_vccz .LBB23_280
; %bb.272:
	v_mov_b32_e32 v5, 28
	v_cmp_gt_i16_sdwa s[0:1], s33, v5 src0_sel:BYTE_0 src1_sel:DWORD
	s_and_b64 vcc, exec, s[0:1]
	s_cbranch_vccz .LBB23_282
; %bb.273:
	v_mov_b32_e32 v5, 43
	v_cmp_gt_i16_sdwa s[0:1], s33, v5 src0_sel:BYTE_0 src1_sel:DWORD
	s_and_b64 vcc, exec, s[0:1]
	s_cbranch_vccz .LBB23_286
; %bb.274:
	v_mov_b32_e32 v5, 45
	v_cmp_gt_i16_sdwa s[0:1], s33, v5 src0_sel:BYTE_0 src1_sel:DWORD
	s_and_b64 vcc, exec, s[0:1]
	s_cbranch_vccz .LBB23_293
; %bb.275:
	v_mov_b32_e32 v5, 46
	v_cmp_eq_u16_sdwa s[24:25], s33, v5 src0_sel:BYTE_0 src1_sel:DWORD
	s_mov_b64 s[28:29], 0
	s_mov_b64 s[0:1], -1
	s_and_b64 vcc, exec, s[24:25]
	s_mov_b64 s[24:25], 0
	s_cbranch_vccz .LBB23_294
; %bb.276:
	v_cvt_f32_f16_e32 v5, v4
	s_movk_i32 s0, 0x7fff
	v_mov_b32_e32 v6, 0x7fc0
	v_cmp_o_f16_e32 vcc, v4, v4
	v_bfe_u32 v7, v5, 16, 1
	v_add3_u32 v5, v5, v7, s0
	v_lshrrev_b32_e32 v5, 16, v5
	v_cndmask_b32_e32 v5, v6, v5, vcc
	global_store_dword v[0:1], v5, off
	s_mov_b64 s[24:25], -1
	s_mov_b64 s[0:1], 0
	s_branch .LBB23_294
.LBB23_277:
	s_mov_b64 s[24:25], -1
	s_mov_b64 s[0:1], 0
	s_mov_b64 s[22:23], s[18:19]
                                        ; implicit-def: $vgpr4
	s_branch .LBB23_431
.LBB23_278:
	s_mov_b64 s[28:29], -1
	s_mov_b64 s[24:25], 0
	s_mov_b64 s[0:1], s[16:17]
	s_branch .LBB23_363
.LBB23_279:
	s_mov_b64 s[24:25], -1
	s_mov_b64 s[0:1], 0
	s_mov_b64 s[22:23], s[18:19]
                                        ; implicit-def: $vgpr4
	s_branch .LBB23_412
.LBB23_280:
	s_mov_b64 s[28:29], -1
	s_mov_b64 s[24:25], 0
	s_mov_b64 s[0:1], s[16:17]
	s_branch .LBB23_321
.LBB23_281:
	s_mov_b64 s[24:25], -1
	s_mov_b64 s[0:1], 0
	s_mov_b64 s[22:23], s[18:19]
                                        ; implicit-def: $vgpr4
	s_branch .LBB23_407
.LBB23_282:
	s_mov_b64 s[28:29], -1
	s_mov_b64 s[24:25], 0
	s_mov_b64 s[0:1], s[16:17]
	s_branch .LBB23_304
.LBB23_283:
	s_or_saveexec_b64 s[26:27], s[26:27]
                                        ; implicit-def: $sgpr28
	s_xor_b64 exec, exec, s[26:27]
	s_cbranch_execz .LBB23_57
.LBB23_284:
	s_mov_b32 s28, 0x46000000
	v_add_f32_e64 v6, |v5|, s28
	v_and_b32_e32 v6, 0xff, v6
	v_cmp_ne_u32_e32 vcc, 0, v6
	s_andn2_b64 s[22:23], s[22:23], exec
	s_and_b64 s[30:31], vcc, exec
	s_mov_b32 s28, 0
	s_or_b64 s[22:23], s[22:23], s[30:31]
	s_or_b64 exec, exec, s[26:27]
	v_mov_b32_e32 v7, s28
	s_and_saveexec_b64 s[26:27], s[22:23]
	s_cbranch_execnz .LBB23_58
	s_branch .LBB23_59
.LBB23_285:
	s_mov_b64 s[24:25], -1
	s_mov_b64 s[0:1], 0
	s_mov_b64 s[22:23], s[18:19]
                                        ; implicit-def: $vgpr4
	s_branch .LBB23_290
.LBB23_286:
	s_mov_b64 s[28:29], -1
	s_mov_b64 s[24:25], 0
	s_mov_b64 s[0:1], s[16:17]
	s_branch .LBB23_300
.LBB23_287:
	s_or_saveexec_b64 s[26:27], s[26:27]
                                        ; implicit-def: $sgpr28
	s_xor_b64 exec, exec, s[26:27]
	s_cbranch_execz .LBB23_70
.LBB23_288:
	s_mov_b32 s28, 0x42800000
	v_add_f32_e64 v6, |v5|, s28
	v_and_b32_e32 v6, 0xff, v6
	v_cmp_ne_u32_e32 vcc, 0, v6
	s_andn2_b64 s[22:23], s[22:23], exec
	s_and_b64 s[30:31], vcc, exec
	s_mov_b32 s28, 0
	s_or_b64 s[22:23], s[22:23], s[30:31]
	s_or_b64 exec, exec, s[26:27]
	v_mov_b32_e32 v7, s28
	s_and_saveexec_b64 s[26:27], s[22:23]
	s_cbranch_execnz .LBB23_71
	s_branch .LBB23_72
.LBB23_289:
	s_mov_b64 s[22:23], -1
                                        ; implicit-def: $vgpr4
	s_mov_b64 s[0:1], 0
.LBB23_290:
	s_and_b64 vcc, exec, s[24:25]
	s_cbranch_vccz .LBB23_406
; %bb.291:
	v_cmp_eq_u16_e32 vcc, 44, v3
	s_cbranch_vccz .LBB23_405
; %bb.292:
	global_load_ubyte v4, v[0:1], off
	s_movk_i32 s22, 0xff
	v_mov_b32_e32 v6, 0x7e00
	s_mov_b64 s[0:1], -1
	s_waitcnt vmcnt(0)
	v_lshlrev_b32_e32 v5, 23, v4
	v_cvt_f16_f32_e32 v5, v5
	v_cmp_ne_u32_e32 vcc, s22, v4
	s_mov_b64 s[22:23], 0
	v_cndmask_b32_e32 v5, v6, v5, vcc
	v_cmp_ne_u32_e32 vcc, 0, v4
	v_cndmask_b32_e32 v4, 0, v5, vcc
	s_branch .LBB23_406
.LBB23_293:
	s_mov_b64 s[28:29], -1
	s_mov_b64 s[24:25], 0
	s_mov_b64 s[0:1], s[16:17]
.LBB23_294:
	s_and_b64 vcc, exec, s[28:29]
	s_cbranch_vccz .LBB23_299
; %bb.295:
	v_mov_b32_e32 v5, 44
	v_cmp_eq_u16_sdwa s[28:29], s33, v5 src0_sel:BYTE_0 src1_sel:DWORD
	s_mov_b64 s[0:1], -1
	s_and_b64 vcc, exec, s[28:29]
	s_cbranch_vccz .LBB23_299
; %bb.296:
	v_cvt_f32_f16_e32 v5, v4
	s_movk_i32 s0, 0xff
	v_mov_b32_e32 v7, 0xff
	v_bfe_u32 v6, v5, 23, 8
	v_cmp_ne_u32_e32 vcc, s0, v6
	s_and_saveexec_b64 s[24:25], vcc
; %bb.297:
	s_mov_b32 s0, 0x3fffff
	v_lshrrev_b32_e32 v7, 23, v5
	v_and_b32_e32 v8, 0x400000, v5
	v_and_or_b32 v5, v5, s0, v6
	v_cmp_ne_u32_e32 vcc, 0, v8
	v_cmp_ne_u32_e64 s[0:1], 0, v5
	s_and_b64 s[0:1], vcc, s[0:1]
	v_cndmask_b32_e64 v5, 0, 1, s[0:1]
	v_add_u32_e32 v7, v7, v5
; %bb.298:
	s_or_b64 exec, exec, s[24:25]
	s_mov_b64 s[24:25], -1
	s_mov_b64 s[0:1], 0
	global_store_byte v[0:1], v7, off
.LBB23_299:
	s_mov_b64 s[28:29], 0
.LBB23_300:
	s_and_b64 vcc, exec, s[28:29]
	s_cbranch_vccz .LBB23_303
; %bb.301:
	v_mov_b32_e32 v5, 29
	v_cmp_eq_u16_sdwa s[28:29], s33, v5 src0_sel:BYTE_0 src1_sel:DWORD
	s_mov_b64 s[0:1], -1
	s_and_b64 vcc, exec, s[28:29]
	s_cbranch_vccz .LBB23_303
; %bb.302:
	v_cvt_f32_f16_e32 v5, v4
	v_mov_b32_e32 v7, 0
	s_mov_b64 s[24:25], -1
	s_mov_b64 s[0:1], 0
	v_cvt_u32_f32_e32 v6, v5
	s_mov_b64 s[28:29], 0
	global_store_dwordx2 v[0:1], v[6:7], off
	s_branch .LBB23_304
.LBB23_303:
	s_mov_b64 s[28:29], 0
.LBB23_304:
	s_and_b64 vcc, exec, s[28:29]
	s_cbranch_vccz .LBB23_320
; %bb.305:
	v_mov_b32_e32 v5, 27
	v_cmp_lt_i16_sdwa s[28:29], s33, v5 src0_sel:BYTE_0 src1_sel:DWORD
	s_mov_b64 s[24:25], -1
	s_and_b64 vcc, exec, s[28:29]
	s_cbranch_vccnz .LBB23_311
; %bb.306:
	v_cmp_gt_i16_sdwa s[28:29], s33, v5 src0_sel:BYTE_0 src1_sel:DWORD
	s_and_b64 vcc, exec, s[28:29]
	s_cbranch_vccz .LBB23_308
; %bb.307:
	v_cvt_f32_f16_e32 v5, v4
	s_mov_b64 s[24:25], 0
	v_cvt_u32_f32_e32 v5, v5
	global_store_dword v[0:1], v5, off
.LBB23_308:
	s_andn2_b64 vcc, exec, s[24:25]
	s_cbranch_vccnz .LBB23_310
; %bb.309:
	v_cvt_u16_f16_e32 v5, v4
	global_store_short v[0:1], v5, off
.LBB23_310:
	s_mov_b64 s[24:25], 0
.LBB23_311:
	s_andn2_b64 vcc, exec, s[24:25]
	s_cbranch_vccnz .LBB23_319
; %bb.312:
	v_cvt_f32_f16_e32 v5, v4
	s_mov_b32 s24, 0x43800000
	v_mov_b32_e32 v7, 0x80
	v_and_b32_e32 v6, 0x7fffffff, v5
	v_cmp_gt_u32_e32 vcc, s24, v6
	s_and_saveexec_b64 s[24:25], vcc
	s_cbranch_execz .LBB23_318
; %bb.313:
	s_mov_b32 s28, 0x3bffffff
	v_cmp_lt_u32_e32 vcc, s28, v6
	s_mov_b64 s[28:29], 0
                                        ; implicit-def: $vgpr6
	s_and_saveexec_b64 s[30:31], vcc
	s_xor_b64 s[30:31], exec, s[30:31]
	s_cbranch_execz .LBB23_530
; %bb.314:
	v_bfe_u32 v6, v5, 20, 1
	s_mov_b32 s34, 0x487ffff
	v_add3_u32 v6, v5, v6, s34
	s_mov_b64 s[28:29], exec
	v_lshrrev_b32_e32 v6, 20, v6
	s_or_saveexec_b64 s[30:31], s[30:31]
                                        ; implicit-def: $sgpr34
	s_xor_b64 exec, exec, s[30:31]
	s_cbranch_execnz .LBB23_531
.LBB23_315:
	s_or_b64 exec, exec, s[30:31]
	v_mov_b32_e32 v7, s34
	s_and_saveexec_b64 s[30:31], s[28:29]
.LBB23_316:
	v_lshrrev_b32_e32 v5, 24, v5
	s_movk_i32 s28, 0x80
	v_and_or_b32 v7, v5, s28, v6
.LBB23_317:
	s_or_b64 exec, exec, s[30:31]
.LBB23_318:
	s_or_b64 exec, exec, s[24:25]
	global_store_byte v[0:1], v7, off
.LBB23_319:
	s_mov_b64 s[24:25], -1
.LBB23_320:
	s_mov_b64 s[28:29], 0
.LBB23_321:
	s_and_b64 vcc, exec, s[28:29]
	s_cbranch_vccz .LBB23_362
; %bb.322:
	v_mov_b32_e32 v5, 22
	v_cmp_gt_i16_sdwa s[30:31], s33, v5 src0_sel:BYTE_0 src1_sel:DWORD
	s_mov_b64 s[28:29], -1
	s_and_b64 vcc, exec, s[30:31]
	s_cbranch_vccz .LBB23_354
; %bb.323:
	v_mov_b32_e32 v5, 24
	v_cmp_lt_i16_sdwa s[28:29], s33, v5 src0_sel:BYTE_0 src1_sel:DWORD
	s_mov_b64 s[24:25], -1
	s_and_b64 vcc, exec, s[28:29]
	s_cbranch_vccnz .LBB23_343
; %bb.324:
	v_cmp_gt_i16_sdwa s[28:29], s33, v5 src0_sel:BYTE_0 src1_sel:DWORD
	s_and_b64 vcc, exec, s[28:29]
	s_cbranch_vccz .LBB23_332
; %bb.325:
	v_cvt_f32_f16_e32 v5, v4
	s_mov_b32 s24, 0x47800000
	v_mov_b32_e32 v7, 0x80
	v_and_b32_e32 v6, 0x7fffffff, v5
	v_cmp_gt_u32_e32 vcc, s24, v6
	s_and_saveexec_b64 s[24:25], vcc
	s_cbranch_execz .LBB23_331
; %bb.326:
	s_mov_b32 s28, 0x37ffffff
	v_cmp_lt_u32_e32 vcc, s28, v6
	s_mov_b64 s[28:29], 0
                                        ; implicit-def: $vgpr6
	s_and_saveexec_b64 s[30:31], vcc
	s_xor_b64 s[30:31], exec, s[30:31]
	s_cbranch_execz .LBB23_533
; %bb.327:
	v_bfe_u32 v6, v5, 21, 1
	s_mov_b32 s34, 0x88fffff
	v_add3_u32 v6, v5, v6, s34
	s_mov_b64 s[28:29], exec
	v_lshrrev_b32_e32 v6, 21, v6
	s_or_saveexec_b64 s[30:31], s[30:31]
                                        ; implicit-def: $sgpr34
	s_xor_b64 exec, exec, s[30:31]
	s_cbranch_execnz .LBB23_534
.LBB23_328:
	s_or_b64 exec, exec, s[30:31]
	v_mov_b32_e32 v7, s34
	s_and_saveexec_b64 s[30:31], s[28:29]
.LBB23_329:
	v_lshrrev_b32_e32 v5, 24, v5
	s_movk_i32 s28, 0x80
	v_and_or_b32 v7, v5, s28, v6
.LBB23_330:
	s_or_b64 exec, exec, s[30:31]
.LBB23_331:
	s_or_b64 exec, exec, s[24:25]
	s_mov_b64 s[24:25], 0
	global_store_byte v[0:1], v7, off
.LBB23_332:
	s_and_b64 vcc, exec, s[24:25]
	s_cbranch_vccz .LBB23_342
; %bb.333:
	v_cvt_f32_f16_e32 v5, v4
	s_mov_b32 s24, 0x43f00000
                                        ; implicit-def: $vgpr6
	v_and_b32_e32 v7, 0x7fffffff, v5
	v_cmp_gt_u32_e32 vcc, s24, v7
	s_and_saveexec_b64 s[24:25], vcc
	s_xor_b64 s[24:25], exec, s[24:25]
	s_cbranch_execz .LBB23_339
; %bb.334:
	s_mov_b32 s28, 0x3c7fffff
	v_cmp_lt_u32_e32 vcc, s28, v7
                                        ; implicit-def: $vgpr6
	s_and_saveexec_b64 s[28:29], vcc
	s_xor_b64 s[28:29], exec, s[28:29]
; %bb.335:
	v_bfe_u32 v6, v5, 20, 1
	s_mov_b32 s30, 0x407ffff
	v_add3_u32 v6, v5, v6, s30
	v_lshrrev_b32_e32 v7, 20, v6
	v_and_b32_e32 v6, 0xff00000, v6
	s_mov_b32 s30, 0x7f00000
	v_mov_b32_e32 v8, 0x7e
	v_cmp_ne_u32_e32 vcc, s30, v6
	v_cndmask_b32_e32 v6, v8, v7, vcc
; %bb.336:
	s_andn2_saveexec_b64 s[28:29], s[28:29]
; %bb.337:
	s_mov_b32 s30, 0x46800000
	v_add_f32_e64 v6, |v5|, s30
; %bb.338:
	s_or_b64 exec, exec, s[28:29]
                                        ; implicit-def: $vgpr7
.LBB23_339:
	s_andn2_saveexec_b64 s[24:25], s[24:25]
; %bb.340:
	s_mov_b32 s28, 0x7f800000
	v_mov_b32_e32 v6, 0x7e
	v_mov_b32_e32 v8, 0x7f
	v_cmp_lt_u32_e32 vcc, s28, v7
	v_cndmask_b32_e32 v6, v6, v8, vcc
; %bb.341:
	s_or_b64 exec, exec, s[24:25]
	v_lshrrev_b32_e32 v5, 24, v5
	s_movk_i32 s24, 0x80
	v_and_or_b32 v5, v5, s24, v6
	global_store_byte v[0:1], v5, off
.LBB23_342:
	s_mov_b64 s[24:25], 0
.LBB23_343:
	s_andn2_b64 vcc, exec, s[24:25]
	s_cbranch_vccnz .LBB23_353
; %bb.344:
	v_cvt_f32_f16_e32 v5, v4
	s_mov_b32 s24, 0x47800000
                                        ; implicit-def: $vgpr6
	v_and_b32_e32 v7, 0x7fffffff, v5
	v_cmp_gt_u32_e32 vcc, s24, v7
	s_and_saveexec_b64 s[24:25], vcc
	s_xor_b64 s[24:25], exec, s[24:25]
	s_cbranch_execz .LBB23_350
; %bb.345:
	s_mov_b32 s28, 0x387fffff
	v_cmp_lt_u32_e32 vcc, s28, v7
                                        ; implicit-def: $vgpr6
	s_and_saveexec_b64 s[28:29], vcc
	s_xor_b64 s[28:29], exec, s[28:29]
; %bb.346:
	v_bfe_u32 v6, v5, 21, 1
	s_mov_b32 s30, 0x80fffff
	v_add3_u32 v6, v5, v6, s30
	v_lshrrev_b32_e32 v6, 21, v6
; %bb.347:
	s_andn2_saveexec_b64 s[28:29], s[28:29]
; %bb.348:
	s_mov_b32 s30, 0x43000000
	v_add_f32_e64 v6, |v5|, s30
; %bb.349:
	s_or_b64 exec, exec, s[28:29]
                                        ; implicit-def: $vgpr7
.LBB23_350:
	s_andn2_saveexec_b64 s[24:25], s[24:25]
; %bb.351:
	s_mov_b32 s28, 0x7f800000
	v_mov_b32_e32 v6, 0x7c
	v_mov_b32_e32 v8, 0x7f
	v_cmp_lt_u32_e32 vcc, s28, v7
	v_cndmask_b32_e32 v6, v6, v8, vcc
; %bb.352:
	s_or_b64 exec, exec, s[24:25]
	v_lshrrev_b32_e32 v5, 24, v5
	s_movk_i32 s24, 0x80
	v_and_or_b32 v5, v5, s24, v6
	global_store_byte v[0:1], v5, off
.LBB23_353:
	s_mov_b64 s[28:29], 0
	s_mov_b64 s[24:25], -1
.LBB23_354:
	s_andn2_b64 vcc, exec, s[28:29]
	s_cbranch_vccnz .LBB23_362
; %bb.355:
	v_mov_b32_e32 v5, 14
	v_cmp_gt_i16_sdwa s[30:31], s33, v5 src0_sel:BYTE_0 src1_sel:DWORD
	s_mov_b64 s[28:29], -1
	s_and_b64 vcc, exec, s[30:31]
	s_cbranch_vccz .LBB23_359
; %bb.356:
	v_mov_b32_e32 v5, 15
	v_cmp_eq_u16_sdwa s[28:29], s33, v5 src0_sel:BYTE_0 src1_sel:DWORD
	s_mov_b64 s[0:1], -1
	s_and_b64 vcc, exec, s[28:29]
	s_cbranch_vccz .LBB23_358
; %bb.357:
	v_cvt_f32_f16_e32 v5, v4
	s_movk_i32 s0, 0x7fff
	v_mov_b32_e32 v6, 0x7fc0
	v_cmp_o_f16_e32 vcc, v4, v4
	v_bfe_u32 v7, v5, 16, 1
	v_add3_u32 v5, v5, v7, s0
	v_lshrrev_b32_e32 v5, 16, v5
	v_cndmask_b32_e32 v5, v6, v5, vcc
	global_store_short v[0:1], v5, off
	s_mov_b64 s[24:25], -1
	s_mov_b64 s[0:1], 0
.LBB23_358:
	s_mov_b64 s[28:29], 0
.LBB23_359:
	s_and_b64 vcc, exec, s[28:29]
	s_cbranch_vccz .LBB23_362
; %bb.360:
	v_mov_b32_e32 v5, 11
	v_cmp_eq_u16_sdwa s[28:29], s33, v5 src0_sel:BYTE_0 src1_sel:DWORD
	s_mov_b64 s[0:1], -1
	s_and_b64 vcc, exec, s[28:29]
	s_cbranch_vccz .LBB23_362
; %bb.361:
	v_cmp_neq_f16_e32 vcc, 0, v4
	v_cndmask_b32_e64 v5, 0, 1, vcc
	s_mov_b64 s[24:25], -1
	s_mov_b64 s[0:1], 0
	global_store_byte v[0:1], v5, off
.LBB23_362:
	s_mov_b64 s[28:29], 0
.LBB23_363:
	s_and_b64 vcc, exec, s[28:29]
	s_cbranch_vccz .LBB23_402
; %bb.364:
	v_mov_b32_e32 v5, 5
	v_cmp_lt_i16_sdwa s[28:29], s33, v5 src0_sel:BYTE_0 src1_sel:DWORD
	s_mov_b64 s[24:25], -1
	s_and_b64 vcc, exec, s[28:29]
	s_cbranch_vccnz .LBB23_385
; %bb.365:
	v_mov_b32_e32 v5, 8
	v_cmp_lt_i16_sdwa s[28:29], s33, v5 src0_sel:BYTE_0 src1_sel:DWORD
	s_and_b64 vcc, exec, s[28:29]
	s_cbranch_vccnz .LBB23_375
; %bb.366:
	v_mov_b32_e32 v5, 9
	v_cmp_lt_i16_sdwa s[28:29], s33, v5 src0_sel:BYTE_0 src1_sel:DWORD
	s_and_b64 vcc, exec, s[28:29]
	s_cbranch_vccnz .LBB23_372
; %bb.367:
	v_cmp_gt_i16_sdwa s[28:29], s33, v5 src0_sel:BYTE_0 src1_sel:DWORD
	s_and_b64 vcc, exec, s[28:29]
	s_cbranch_vccz .LBB23_369
; %bb.368:
	v_cvt_f32_f16_e32 v5, v4
	v_mov_b32_e32 v8, 0
	v_mov_b32_e32 v9, v8
	s_mov_b64 s[24:25], 0
	v_cvt_f64_f32_e32 v[6:7], v5
	global_store_dwordx4 v[0:1], v[6:9], off
.LBB23_369:
	s_andn2_b64 vcc, exec, s[24:25]
	s_cbranch_vccnz .LBB23_371
; %bb.370:
	v_cvt_f32_f16_e32 v6, v4
	v_mov_b32_e32 v7, 0
	global_store_dwordx2 v[0:1], v[6:7], off
.LBB23_371:
	s_mov_b64 s[24:25], 0
.LBB23_372:
	s_andn2_b64 vcc, exec, s[24:25]
	s_cbranch_vccnz .LBB23_374
; %bb.373:
	v_and_b32_e32 v5, 0xffff, v4
	global_store_dword v[0:1], v5, off
.LBB23_374:
	s_mov_b64 s[24:25], 0
.LBB23_375:
	s_andn2_b64 vcc, exec, s[24:25]
	s_cbranch_vccnz .LBB23_384
; %bb.376:
	v_mov_b32_e32 v5, 6
	v_cmp_lt_i16_sdwa s[28:29], s33, v5 src0_sel:BYTE_0 src1_sel:DWORD
	s_mov_b64 s[24:25], -1
	s_and_b64 vcc, exec, s[28:29]
	s_cbranch_vccnz .LBB23_382
; %bb.377:
	v_cmp_gt_i16_sdwa s[28:29], s33, v5 src0_sel:BYTE_0 src1_sel:DWORD
	s_and_b64 vcc, exec, s[28:29]
	s_cbranch_vccz .LBB23_379
; %bb.378:
	v_cvt_f32_f16_e32 v5, v4
	s_mov_b64 s[24:25], 0
	v_cvt_f64_f32_e32 v[6:7], v5
	global_store_dwordx2 v[0:1], v[6:7], off
.LBB23_379:
	s_andn2_b64 vcc, exec, s[24:25]
	s_cbranch_vccnz .LBB23_381
; %bb.380:
	v_cvt_f32_f16_e32 v5, v4
	global_store_dword v[0:1], v5, off
.LBB23_381:
	s_mov_b64 s[24:25], 0
.LBB23_382:
	s_andn2_b64 vcc, exec, s[24:25]
	s_cbranch_vccnz .LBB23_384
; %bb.383:
	global_store_short v[0:1], v4, off
.LBB23_384:
	s_mov_b64 s[24:25], 0
.LBB23_385:
	s_andn2_b64 vcc, exec, s[24:25]
	s_cbranch_vccnz .LBB23_401
; %bb.386:
	v_mov_b32_e32 v5, 2
	v_cmp_lt_i16_sdwa s[28:29], s33, v5 src0_sel:BYTE_0 src1_sel:DWORD
	s_mov_b64 s[24:25], -1
	s_and_b64 vcc, exec, s[28:29]
	s_cbranch_vccnz .LBB23_396
; %bb.387:
	v_mov_b32_e32 v5, 3
	v_cmp_lt_i16_sdwa s[28:29], s33, v5 src0_sel:BYTE_0 src1_sel:DWORD
	s_and_b64 vcc, exec, s[28:29]
	s_cbranch_vccnz .LBB23_393
; %bb.388:
	v_cmp_gt_i16_sdwa s[28:29], s33, v5 src0_sel:BYTE_0 src1_sel:DWORD
	s_and_b64 vcc, exec, s[28:29]
	s_cbranch_vccz .LBB23_390
; %bb.389:
	v_cvt_f32_f16_e32 v5, v4
	s_mov_b64 s[24:25], 0
	v_cvt_i32_f32_e32 v6, v5
	v_ashrrev_i32_e32 v7, 31, v6
	global_store_dwordx2 v[0:1], v[6:7], off
.LBB23_390:
	s_andn2_b64 vcc, exec, s[24:25]
	s_cbranch_vccnz .LBB23_392
; %bb.391:
	v_cvt_f32_f16_e32 v5, v4
	v_cvt_i32_f32_e32 v5, v5
	global_store_dword v[0:1], v5, off
.LBB23_392:
	s_mov_b64 s[24:25], 0
.LBB23_393:
	s_andn2_b64 vcc, exec, s[24:25]
	s_cbranch_vccnz .LBB23_395
; %bb.394:
	v_cvt_i16_f16_e32 v5, v4
	global_store_short v[0:1], v5, off
.LBB23_395:
	s_mov_b64 s[24:25], 0
.LBB23_396:
	s_andn2_b64 vcc, exec, s[24:25]
	s_cbranch_vccnz .LBB23_401
; %bb.397:
	v_mov_b32_e32 v5, 0
	v_cmp_gt_i16_sdwa s[28:29], s33, v5 src0_sel:BYTE_0 src1_sel:DWORD
	s_mov_b64 s[24:25], -1
	s_and_b64 vcc, exec, s[28:29]
	s_cbranch_vccz .LBB23_399
; %bb.398:
	v_cvt_i16_f16_e32 v5, v4
	s_mov_b64 s[24:25], 0
	global_store_byte v[0:1], v5, off
.LBB23_399:
	s_andn2_b64 vcc, exec, s[24:25]
	s_cbranch_vccnz .LBB23_401
; %bb.400:
	v_cvt_f32_f16_e32 v4, v4
	v_cvt_i32_f32_e32 v4, v4
	global_store_byte v[0:1], v4, off
.LBB23_401:
	s_mov_b64 s[24:25], -1
.LBB23_402:
	s_andn2_b64 vcc, exec, s[24:25]
	s_cbranch_vccnz .LBB23_404
; %bb.403:
	v_add_u32_e32 v2, 0x80, v2
	s_mov_b64 s[28:29], -1
	s_branch .LBB23_516
.LBB23_404:
	s_mov_b64 s[28:29], 0
                                        ; implicit-def: $vgpr2
	s_branch .LBB23_516
.LBB23_405:
	s_mov_b64 s[22:23], -1
                                        ; implicit-def: $vgpr4
.LBB23_406:
	s_mov_b64 s[24:25], 0
.LBB23_407:
	s_and_b64 vcc, exec, s[24:25]
	s_cbranch_vccz .LBB23_411
; %bb.408:
	v_cmp_eq_u16_e32 vcc, 29, v3
	s_cbranch_vccz .LBB23_410
; %bb.409:
	global_load_dwordx2 v[4:5], v[0:1], off
	s_mov_b64 s[0:1], -1
	s_mov_b64 s[22:23], 0
	s_mov_b64 s[24:25], 0
	s_waitcnt vmcnt(0)
	v_ffbh_u32_e32 v6, v5
	v_min_u32_e32 v6, 32, v6
	v_lshlrev_b64 v[4:5], v6, v[4:5]
	v_min_u32_e32 v4, 1, v4
	v_or_b32_e32 v4, v5, v4
	v_cvt_f32_u32_e32 v4, v4
	v_sub_u32_e32 v5, 32, v6
	v_ldexp_f32 v4, v4, v5
	v_cvt_f16_f32_e32 v4, v4
	s_branch .LBB23_412
.LBB23_410:
	s_mov_b64 s[22:23], -1
                                        ; implicit-def: $vgpr4
.LBB23_411:
	s_mov_b64 s[24:25], 0
.LBB23_412:
	s_and_b64 vcc, exec, s[24:25]
	s_cbranch_vccz .LBB23_430
; %bb.413:
	v_cmp_gt_i16_e32 vcc, 27, v3
	s_cbranch_vccnz .LBB23_416
; %bb.414:
	v_cmp_lt_i16_e32 vcc, 27, v3
	s_cbranch_vccz .LBB23_417
; %bb.415:
	global_load_dword v4, v[0:1], off
	s_mov_b64 s[0:1], 0
	s_waitcnt vmcnt(0)
	v_cvt_f32_u32_e32 v4, v4
	v_cvt_f16_f32_e32 v4, v4
	s_branch .LBB23_418
.LBB23_416:
	s_mov_b64 s[0:1], -1
                                        ; implicit-def: $vgpr4
	s_branch .LBB23_421
.LBB23_417:
	s_mov_b64 s[0:1], -1
                                        ; implicit-def: $vgpr4
.LBB23_418:
	s_andn2_b64 vcc, exec, s[0:1]
	s_cbranch_vccnz .LBB23_420
; %bb.419:
	global_load_ushort v4, v[0:1], off
	s_waitcnt vmcnt(0)
	v_cvt_f16_u16_e32 v4, v4
.LBB23_420:
	s_mov_b64 s[0:1], 0
.LBB23_421:
	s_andn2_b64 vcc, exec, s[0:1]
	s_cbranch_vccnz .LBB23_429
; %bb.422:
	global_load_ubyte v5, v[0:1], off
	s_movk_i32 s0, 0x7f
                                        ; implicit-def: $sgpr30
	s_waitcnt vmcnt(0)
	v_cmp_lt_i16_e32 vcc, s0, v5
	s_mov_b64 s[0:1], 0
	s_and_saveexec_b64 s[24:25], vcc
	s_xor_b64 s[24:25], exec, s[24:25]
	s_cbranch_execz .LBB23_443
; %bb.423:
	s_movk_i32 s0, 0x80
	v_cmp_eq_u16_e32 vcc, s0, v5
	s_mov_b64 s[0:1], -1
                                        ; implicit-def: $sgpr30
	s_and_saveexec_b64 s[28:29], vcc
; %bb.424:
	s_movk_i32 s30, 0x7e00
	s_xor_b64 s[0:1], exec, -1
; %bb.425:
	s_or_b64 exec, exec, s[28:29]
	s_and_b64 s[0:1], s[0:1], exec
	s_or_saveexec_b64 s[24:25], s[24:25]
	v_mov_b32_e32 v4, s30
	s_xor_b64 exec, exec, s[24:25]
	s_cbranch_execnz .LBB23_444
.LBB23_426:
	s_or_b64 exec, exec, s[24:25]
	s_and_saveexec_b64 s[24:25], s[0:1]
	s_cbranch_execz .LBB23_428
.LBB23_427:
	v_lshlrev_b32_e32 v4, 24, v5
	v_and_b32_e32 v5, 0xffff, v5
	v_and_b32_e32 v6, 7, v5
	v_ffbh_u32_e32 v8, v6
	v_min_u32_e32 v8, 32, v8
	v_subrev_u32_e32 v9, 28, v8
	v_bfe_u32 v7, v5, 3, 4
	v_lshlrev_b32_e32 v5, v9, v5
	v_sub_u32_e32 v8, 29, v8
	v_and_b32_e32 v5, 7, v5
	v_cmp_eq_u32_e32 vcc, 0, v7
	v_cndmask_b32_e32 v7, v7, v8, vcc
	v_cndmask_b32_e32 v5, v6, v5, vcc
	v_mov_b32_e32 v6, 0x3b800000
	v_lshlrev_b32_e32 v5, 20, v5
	v_and_b32_e32 v4, 0x80000000, v4
	v_lshl_add_u32 v6, v7, 23, v6
	v_or3_b32 v4, v4, v6, v5
	v_cvt_f16_f32_e32 v4, v4
.LBB23_428:
	s_or_b64 exec, exec, s[24:25]
.LBB23_429:
	s_mov_b64 s[0:1], -1
.LBB23_430:
	s_mov_b64 s[24:25], 0
.LBB23_431:
	s_and_b64 vcc, exec, s[24:25]
	s_cbranch_vccz .LBB23_466
; %bb.432:
	v_cmp_lt_i16_e32 vcc, 22, v3
	s_cbranch_vccz .LBB23_442
; %bb.433:
	v_cmp_gt_i16_e32 vcc, 24, v3
	s_cbranch_vccnz .LBB23_445
; %bb.434:
	v_cmp_lt_i16_e32 vcc, 24, v3
	s_cbranch_vccz .LBB23_446
; %bb.435:
	global_load_ubyte v5, v[0:1], off
	s_movk_i32 s0, 0x7f
                                        ; implicit-def: $sgpr30
	s_waitcnt vmcnt(0)
	v_cmp_lt_i16_e32 vcc, s0, v5
	s_mov_b64 s[0:1], 0
	s_and_saveexec_b64 s[24:25], vcc
	s_xor_b64 s[24:25], exec, s[24:25]
	s_cbranch_execz .LBB23_458
; %bb.436:
	s_movk_i32 s0, 0x80
	v_cmp_eq_u16_e32 vcc, s0, v5
	s_mov_b64 s[0:1], -1
                                        ; implicit-def: $sgpr30
	s_and_saveexec_b64 s[28:29], vcc
; %bb.437:
	s_movk_i32 s30, 0x7e00
	s_xor_b64 s[0:1], exec, -1
; %bb.438:
	s_or_b64 exec, exec, s[28:29]
	s_and_b64 s[0:1], s[0:1], exec
	s_or_saveexec_b64 s[24:25], s[24:25]
	v_mov_b32_e32 v4, s30
	s_xor_b64 exec, exec, s[24:25]
	s_cbranch_execnz .LBB23_459
.LBB23_439:
	s_or_b64 exec, exec, s[24:25]
	s_and_saveexec_b64 s[24:25], s[0:1]
	s_cbranch_execz .LBB23_441
.LBB23_440:
	v_lshlrev_b32_e32 v4, 24, v5
	v_and_b32_e32 v5, 0xffff, v5
	v_and_b32_e32 v6, 3, v5
	v_ffbh_u32_e32 v8, v6
	v_min_u32_e32 v8, 32, v8
	v_subrev_u32_e32 v9, 29, v8
	v_bfe_u32 v7, v5, 2, 5
	v_lshlrev_b32_e32 v5, v9, v5
	v_sub_u32_e32 v8, 30, v8
	v_and_b32_e32 v5, 3, v5
	v_cmp_eq_u32_e32 vcc, 0, v7
	v_cndmask_b32_e32 v7, v7, v8, vcc
	v_cndmask_b32_e32 v5, v6, v5, vcc
	v_mov_b32_e32 v6, 0x37800000
	v_lshlrev_b32_e32 v5, 21, v5
	v_and_b32_e32 v4, 0x80000000, v4
	v_lshl_add_u32 v6, v7, 23, v6
	v_or3_b32 v4, v4, v6, v5
	v_cvt_f16_f32_e32 v4, v4
.LBB23_441:
	s_or_b64 exec, exec, s[24:25]
	s_mov_b64 s[0:1], 0
	s_branch .LBB23_447
.LBB23_442:
	s_mov_b64 s[24:25], -1
                                        ; implicit-def: $vgpr4
	s_branch .LBB23_453
.LBB23_443:
	s_or_saveexec_b64 s[24:25], s[24:25]
	v_mov_b32_e32 v4, s30
	s_xor_b64 exec, exec, s[24:25]
	s_cbranch_execz .LBB23_426
.LBB23_444:
	v_cmp_ne_u16_e32 vcc, 0, v5
	s_andn2_b64 s[0:1], s[0:1], exec
	s_and_b64 s[28:29], vcc, exec
	s_or_b64 s[0:1], s[0:1], s[28:29]
	v_mov_b32_e32 v4, v5
	s_or_b64 exec, exec, s[24:25]
	s_and_saveexec_b64 s[24:25], s[0:1]
	s_cbranch_execnz .LBB23_427
	s_branch .LBB23_428
.LBB23_445:
	s_mov_b64 s[0:1], -1
                                        ; implicit-def: $vgpr4
	s_branch .LBB23_450
.LBB23_446:
	s_mov_b64 s[0:1], -1
                                        ; implicit-def: $vgpr4
.LBB23_447:
	s_and_b64 vcc, exec, s[0:1]
	s_cbranch_vccz .LBB23_449
; %bb.448:
	global_load_ubyte v4, v[0:1], off
	s_mov_b32 s0, 0x7f800000
	s_waitcnt vmcnt(0)
	v_lshlrev_b32_e32 v4, 24, v4
	v_and_b32_e32 v5, 0x7f000000, v4
	v_ffbh_u32_e32 v6, v5
	v_min_u32_e32 v6, 32, v6
	v_sub_u32_e64 v6, v6, 4 clamp
	v_lshlrev_b32_e32 v8, v6, v5
	v_lshlrev_b32_e32 v6, 23, v6
	v_lshrrev_b32_e32 v8, 4, v8
	v_add_u32_e32 v7, 0x1000000, v5
	v_sub_u32_e32 v6, v8, v6
	v_ashrrev_i32_e32 v7, 8, v7
	v_add_u32_e32 v6, 0x3c000000, v6
	v_and_or_b32 v6, v7, s0, v6
	v_cmp_ne_u32_e32 vcc, 0, v5
	v_cndmask_b32_e32 v5, 0, v6, vcc
	s_brev_b32 s0, 1
	v_and_or_b32 v4, v4, s0, v5
	v_cvt_f16_f32_e32 v4, v4
.LBB23_449:
	s_mov_b64 s[0:1], 0
.LBB23_450:
	s_andn2_b64 vcc, exec, s[0:1]
	s_cbranch_vccnz .LBB23_452
; %bb.451:
	global_load_ubyte v4, v[0:1], off
	s_movk_i32 s0, 0x7f00
	s_brev_b32 s1, 16
	s_waitcnt vmcnt(0)
	v_lshlrev_b16_e32 v5, 8, v4
	v_lshlrev_b32_e32 v4, 25, v4
	v_lshrrev_b32_e32 v6, 4, v4
	v_and_or_b32 v7, v5, s0, 0.5
	v_or_b32_e32 v6, 0x70000000, v6
	v_add_f32_e32 v7, -0.5, v7
	v_mul_f32_e32 v6, 0x7800000, v6
	v_cmp_gt_u32_e32 vcc, s1, v4
	v_bfe_i32 v5, v5, 0, 16
	v_cndmask_b32_e32 v4, v6, v7, vcc
	s_brev_b32 s0, 1
	v_and_or_b32 v4, v5, s0, v4
	v_cvt_f16_f32_e32 v4, v4
.LBB23_452:
	s_mov_b64 s[24:25], 0
	s_mov_b64 s[0:1], -1
.LBB23_453:
	s_andn2_b64 vcc, exec, s[24:25]
	s_cbranch_vccnz .LBB23_466
; %bb.454:
	v_cmp_lt_i16_e32 vcc, 14, v3
	s_cbranch_vccz .LBB23_457
; %bb.455:
	v_cmp_eq_u16_e32 vcc, 15, v3
	s_cbranch_vccz .LBB23_460
; %bb.456:
	global_load_ushort v4, v[0:1], off
	s_mov_b64 s[0:1], -1
	s_mov_b64 s[22:23], 0
	s_waitcnt vmcnt(0)
	v_lshlrev_b32_e32 v4, 16, v4
	v_cvt_f16_f32_e32 v4, v4
	s_branch .LBB23_461
.LBB23_457:
	s_mov_b64 s[24:25], -1
                                        ; implicit-def: $vgpr4
	s_branch .LBB23_462
.LBB23_458:
	s_or_saveexec_b64 s[24:25], s[24:25]
	v_mov_b32_e32 v4, s30
	s_xor_b64 exec, exec, s[24:25]
	s_cbranch_execz .LBB23_439
.LBB23_459:
	v_cmp_ne_u16_e32 vcc, 0, v5
	s_andn2_b64 s[0:1], s[0:1], exec
	s_and_b64 s[28:29], vcc, exec
	s_or_b64 s[0:1], s[0:1], s[28:29]
	v_mov_b32_e32 v4, v5
	s_or_b64 exec, exec, s[24:25]
	s_and_saveexec_b64 s[24:25], s[0:1]
	s_cbranch_execnz .LBB23_440
	s_branch .LBB23_441
.LBB23_460:
	s_mov_b64 s[22:23], -1
                                        ; implicit-def: $vgpr4
.LBB23_461:
	s_mov_b64 s[24:25], 0
.LBB23_462:
	s_and_b64 vcc, exec, s[24:25]
	s_cbranch_vccz .LBB23_466
; %bb.463:
	v_cmp_eq_u16_e32 vcc, 11, v3
	s_cbranch_vccz .LBB23_465
; %bb.464:
	global_load_ubyte v4, v[0:1], off
	v_mov_b32_e32 v5, 0x3c00
	s_mov_b64 s[0:1], -1
	s_mov_b64 s[22:23], 0
	s_waitcnt vmcnt(0)
	v_cmp_ne_u16_e32 vcc, 0, v4
	v_cndmask_b32_e32 v4, 0, v5, vcc
	s_branch .LBB23_466
.LBB23_465:
	s_mov_b64 s[22:23], -1
                                        ; implicit-def: $vgpr4
.LBB23_466:
	s_branch .LBB23_267
.LBB23_467:
	v_cmp_gt_i16_e32 vcc, 5, v3
	s_cbranch_vccnz .LBB23_472
; %bb.468:
	v_cmp_gt_i16_e32 vcc, 8, v3
	s_cbranch_vccnz .LBB23_473
; %bb.469:
	;; [unrolled: 3-line block ×3, first 2 shown]
	v_cmp_lt_i16_e32 vcc, 9, v3
	s_cbranch_vccz .LBB23_475
; %bb.471:
	global_load_dwordx2 v[4:5], v[0:1], off
	s_mov_b64 s[0:1], 0
	s_waitcnt vmcnt(0)
	v_cvt_f32_f64_e32 v4, v[4:5]
	v_cvt_f16_f32_e32 v4, v4
	s_branch .LBB23_476
.LBB23_472:
	s_mov_b64 s[0:1], -1
                                        ; implicit-def: $vgpr4
	s_branch .LBB23_494
.LBB23_473:
	s_mov_b64 s[0:1], -1
                                        ; implicit-def: $vgpr4
	s_branch .LBB23_482
.LBB23_474:
	s_mov_b64 s[0:1], -1
                                        ; implicit-def: $vgpr4
	s_branch .LBB23_479
.LBB23_475:
	s_mov_b64 s[0:1], -1
                                        ; implicit-def: $vgpr4
.LBB23_476:
	s_andn2_b64 vcc, exec, s[0:1]
	s_cbranch_vccnz .LBB23_478
; %bb.477:
	global_load_dword v4, v[0:1], off
	s_waitcnt vmcnt(0)
	v_cvt_f16_f32_e32 v4, v4
.LBB23_478:
	s_mov_b64 s[0:1], 0
.LBB23_479:
	s_andn2_b64 vcc, exec, s[0:1]
	s_cbranch_vccnz .LBB23_481
; %bb.480:
	global_load_dword v4, v[0:1], off
.LBB23_481:
	s_mov_b64 s[0:1], 0
.LBB23_482:
	s_andn2_b64 vcc, exec, s[0:1]
	s_cbranch_vccnz .LBB23_493
; %bb.483:
	v_cmp_gt_i16_e32 vcc, 6, v3
	s_cbranch_vccnz .LBB23_486
; %bb.484:
	v_cmp_lt_i16_e32 vcc, 6, v3
	s_cbranch_vccz .LBB23_487
; %bb.485:
	global_load_dwordx2 v[4:5], v[0:1], off
	s_mov_b64 s[0:1], 0
	s_waitcnt vmcnt(0)
	v_cvt_f32_f64_e32 v4, v[4:5]
	v_cvt_f16_f32_e32 v4, v4
	s_branch .LBB23_488
.LBB23_486:
	s_mov_b64 s[0:1], -1
                                        ; implicit-def: $vgpr4
	s_branch .LBB23_491
.LBB23_487:
	s_mov_b64 s[0:1], -1
                                        ; implicit-def: $vgpr4
.LBB23_488:
	s_andn2_b64 vcc, exec, s[0:1]
	s_cbranch_vccnz .LBB23_490
; %bb.489:
	global_load_dword v4, v[0:1], off
	s_waitcnt vmcnt(0)
	v_cvt_f16_f32_e32 v4, v4
.LBB23_490:
	s_mov_b64 s[0:1], 0
.LBB23_491:
	s_andn2_b64 vcc, exec, s[0:1]
	s_cbranch_vccnz .LBB23_493
; %bb.492:
	global_load_ushort v4, v[0:1], off
.LBB23_493:
	s_mov_b64 s[0:1], 0
.LBB23_494:
	s_andn2_b64 vcc, exec, s[0:1]
	s_cbranch_vccnz .LBB23_514
; %bb.495:
	v_cmp_gt_i16_e32 vcc, 2, v3
	s_cbranch_vccnz .LBB23_499
; %bb.496:
	v_cmp_gt_i16_e32 vcc, 3, v3
	s_cbranch_vccnz .LBB23_500
; %bb.497:
	v_cmp_lt_i16_e32 vcc, 3, v3
	s_cbranch_vccz .LBB23_501
; %bb.498:
	global_load_dwordx2 v[4:5], v[0:1], off
	s_mov_b64 s[0:1], 0
	s_waitcnt vmcnt(0)
	v_xor_b32_e32 v7, v4, v5
	v_ffbh_i32_e32 v6, v5
	v_ashrrev_i32_e32 v7, 31, v7
	v_add_u32_e32 v6, -1, v6
	v_add_u32_e32 v7, 32, v7
	v_min_u32_e32 v6, v6, v7
	v_lshlrev_b64 v[4:5], v6, v[4:5]
	v_min_u32_e32 v4, 1, v4
	v_or_b32_e32 v4, v5, v4
	v_cvt_f32_i32_e32 v4, v4
	v_sub_u32_e32 v5, 32, v6
	v_ldexp_f32 v4, v4, v5
	v_cvt_f16_f32_e32 v4, v4
	s_branch .LBB23_502
.LBB23_499:
	s_mov_b64 s[0:1], -1
                                        ; implicit-def: $vgpr4
	s_branch .LBB23_508
.LBB23_500:
	s_mov_b64 s[0:1], -1
                                        ; implicit-def: $vgpr4
	s_branch .LBB23_505
.LBB23_501:
	s_mov_b64 s[0:1], -1
                                        ; implicit-def: $vgpr4
.LBB23_502:
	s_andn2_b64 vcc, exec, s[0:1]
	s_cbranch_vccnz .LBB23_504
; %bb.503:
	global_load_dword v4, v[0:1], off
	s_waitcnt vmcnt(0)
	v_cvt_f32_i32_e32 v4, v4
	v_cvt_f16_f32_e32 v4, v4
.LBB23_504:
	s_mov_b64 s[0:1], 0
.LBB23_505:
	s_andn2_b64 vcc, exec, s[0:1]
	s_cbranch_vccnz .LBB23_507
; %bb.506:
	global_load_ushort v4, v[0:1], off
	s_waitcnt vmcnt(0)
	v_cvt_f16_i16_e32 v4, v4
.LBB23_507:
	s_mov_b64 s[0:1], 0
.LBB23_508:
	s_andn2_b64 vcc, exec, s[0:1]
	s_cbranch_vccnz .LBB23_514
; %bb.509:
	v_cmp_lt_i16_e32 vcc, 0, v3
	s_cbranch_vccz .LBB23_511
; %bb.510:
	global_load_sbyte v4, v[0:1], off
	s_mov_b64 s[0:1], 0
	s_waitcnt vmcnt(0)
	v_cvt_f16_i16_e32 v4, v4
	s_branch .LBB23_512
.LBB23_511:
	s_mov_b64 s[0:1], -1
                                        ; implicit-def: $vgpr4
.LBB23_512:
	s_andn2_b64 vcc, exec, s[0:1]
	s_cbranch_vccnz .LBB23_514
; %bb.513:
	global_load_ubyte v0, v[0:1], off
	s_waitcnt vmcnt(0)
	v_cvt_f16_u16_e32 v4, v0
.LBB23_514:
	s_branch .LBB23_268
.LBB23_515:
	s_mov_b64 s[28:29], 0
                                        ; implicit-def: $vgpr2
	s_mov_b64 s[0:1], s[16:17]
.LBB23_516:
	s_andn2_b64 s[24:25], s[16:17], exec
	s_and_b64 s[0:1], s[0:1], exec
	s_or_b64 s[24:25], s[24:25], s[0:1]
	s_andn2_b64 s[0:1], s[18:19], exec
	s_and_b64 s[22:23], s[22:23], exec
	s_or_b64 s[22:23], s[0:1], s[22:23]
	s_orn2_b64 s[0:1], s[28:29], exec
.LBB23_517:
	s_or_b64 exec, exec, s[26:27]
	s_mov_b64 s[28:29], 0
	s_mov_b64 s[30:31], 0
	;; [unrolled: 1-line block ×3, first 2 shown]
                                        ; implicit-def: $vgpr0_vgpr1
                                        ; implicit-def: $vgpr5
	s_and_saveexec_b64 s[26:27], s[0:1]
	s_cbranch_execz .LBB23_864
; %bb.518:
	v_cmp_gt_i32_e32 vcc, s42, v2
	s_mov_b64 s[38:39], -1
	s_mov_b64 s[0:1], s[22:23]
	s_mov_b64 s[34:35], s[24:25]
	s_and_saveexec_b64 s[28:29], vcc
	s_cbranch_execz .LBB23_778
; %bb.519:
	v_mul_lo_u32 v0, v2, s3
	v_ashrrev_i32_e32 v1, 31, v0
	s_waitcnt vmcnt(0)
	v_mov_b32_e32 v4, s11
	v_add_co_u32_e32 v0, vcc, s10, v0
	v_addc_co_u32_e32 v1, vcc, v4, v1, vcc
	v_cmp_gt_i16_e32 vcc, 11, v3
	s_cbranch_vccnz .LBB23_526
; %bb.520:
	v_cmp_lt_i16_e32 vcc, 25, v3
	s_cbranch_vccz .LBB23_527
; %bb.521:
	v_cmp_lt_i16_e32 vcc, 28, v3
	s_cbranch_vccz .LBB23_528
	;; [unrolled: 3-line block ×4, first 2 shown]
; %bb.524:
	v_cmp_eq_u16_e32 vcc, 46, v3
	s_mov_b64 s[34:35], 0
	s_cbranch_vccz .LBB23_535
; %bb.525:
	global_load_dword v4, v[0:1], off
	s_mov_b64 s[0:1], -1
	s_waitcnt vmcnt(0)
	v_lshlrev_b32_e32 v4, 16, v4
	v_cvt_f16_f32_e32 v4, v4
	s_branch .LBB23_536
.LBB23_526:
	s_mov_b64 s[34:35], -1
	s_mov_b64 s[0:1], 0
                                        ; implicit-def: $vgpr4
	s_mov_b64 s[30:31], s[22:23]
	s_branch .LBB23_601
.LBB23_527:
	s_mov_b64 s[34:35], -1
	s_mov_b64 s[0:1], 0
	s_mov_b64 s[30:31], s[22:23]
                                        ; implicit-def: $vgpr4
	s_branch .LBB23_565
.LBB23_528:
	s_mov_b64 s[34:35], -1
	s_mov_b64 s[0:1], 0
	s_mov_b64 s[30:31], s[22:23]
                                        ; implicit-def: $vgpr4
	s_branch .LBB23_546
.LBB23_529:
	s_mov_b64 s[34:35], -1
	s_mov_b64 s[0:1], 0
	s_mov_b64 s[30:31], s[22:23]
                                        ; implicit-def: $vgpr4
	s_branch .LBB23_541
.LBB23_530:
	s_or_saveexec_b64 s[30:31], s[30:31]
                                        ; implicit-def: $sgpr34
	s_xor_b64 exec, exec, s[30:31]
	s_cbranch_execz .LBB23_315
.LBB23_531:
	s_mov_b32 s34, 0x46000000
	v_add_f32_e64 v6, |v5|, s34
	v_and_b32_e32 v6, 0xff, v6
	v_cmp_ne_u32_e32 vcc, 0, v6
	s_andn2_b64 s[28:29], s[28:29], exec
	s_and_b64 s[36:37], vcc, exec
	s_mov_b32 s34, 0
	s_or_b64 s[28:29], s[28:29], s[36:37]
	s_or_b64 exec, exec, s[30:31]
	v_mov_b32_e32 v7, s34
	s_and_saveexec_b64 s[30:31], s[28:29]
	s_cbranch_execnz .LBB23_316
	s_branch .LBB23_317
.LBB23_532:
	s_mov_b64 s[34:35], -1
	s_mov_b64 s[0:1], 0
	s_mov_b64 s[30:31], s[22:23]
                                        ; implicit-def: $vgpr4
	s_branch .LBB23_536
.LBB23_533:
	s_or_saveexec_b64 s[30:31], s[30:31]
                                        ; implicit-def: $sgpr34
	s_xor_b64 exec, exec, s[30:31]
	s_cbranch_execz .LBB23_328
.LBB23_534:
	s_mov_b32 s34, 0x42800000
	v_add_f32_e64 v6, |v5|, s34
	v_and_b32_e32 v6, 0xff, v6
	v_cmp_ne_u32_e32 vcc, 0, v6
	s_andn2_b64 s[28:29], s[28:29], exec
	s_and_b64 s[36:37], vcc, exec
	s_mov_b32 s34, 0
	s_or_b64 s[28:29], s[28:29], s[36:37]
	s_or_b64 exec, exec, s[30:31]
	v_mov_b32_e32 v7, s34
	s_and_saveexec_b64 s[30:31], s[28:29]
	s_cbranch_execnz .LBB23_329
	s_branch .LBB23_330
.LBB23_535:
	s_mov_b64 s[30:31], -1
                                        ; implicit-def: $vgpr4
	s_mov_b64 s[0:1], 0
.LBB23_536:
	s_and_b64 vcc, exec, s[34:35]
	s_cbranch_vccz .LBB23_540
; %bb.537:
	v_cmp_eq_u16_e32 vcc, 44, v3
	s_cbranch_vccz .LBB23_539
; %bb.538:
	global_load_ubyte v4, v[0:1], off
	s_movk_i32 s30, 0xff
	v_mov_b32_e32 v6, 0x7e00
	s_mov_b64 s[0:1], -1
	s_waitcnt vmcnt(0)
	v_lshlrev_b32_e32 v5, 23, v4
	v_cvt_f16_f32_e32 v5, v5
	v_cmp_ne_u32_e32 vcc, s30, v4
	s_mov_b64 s[30:31], 0
	v_cndmask_b32_e32 v5, v6, v5, vcc
	v_cmp_ne_u32_e32 vcc, 0, v4
	v_cndmask_b32_e32 v4, 0, v5, vcc
	s_branch .LBB23_540
.LBB23_539:
	s_mov_b64 s[30:31], -1
                                        ; implicit-def: $vgpr4
.LBB23_540:
	s_mov_b64 s[34:35], 0
.LBB23_541:
	s_and_b64 vcc, exec, s[34:35]
	s_cbranch_vccz .LBB23_545
; %bb.542:
	v_cmp_eq_u16_e32 vcc, 29, v3
	s_cbranch_vccz .LBB23_544
; %bb.543:
	global_load_dwordx2 v[4:5], v[0:1], off
	s_mov_b64 s[0:1], -1
	s_mov_b64 s[30:31], 0
	s_mov_b64 s[34:35], 0
	s_waitcnt vmcnt(0)
	v_ffbh_u32_e32 v6, v5
	v_min_u32_e32 v6, 32, v6
	v_lshlrev_b64 v[4:5], v6, v[4:5]
	v_min_u32_e32 v4, 1, v4
	v_or_b32_e32 v4, v5, v4
	v_cvt_f32_u32_e32 v4, v4
	v_sub_u32_e32 v5, 32, v6
	v_ldexp_f32 v4, v4, v5
	v_cvt_f16_f32_e32 v4, v4
	s_branch .LBB23_546
.LBB23_544:
	s_mov_b64 s[30:31], -1
                                        ; implicit-def: $vgpr4
.LBB23_545:
	s_mov_b64 s[34:35], 0
.LBB23_546:
	s_and_b64 vcc, exec, s[34:35]
	s_cbranch_vccz .LBB23_564
; %bb.547:
	v_cmp_gt_i16_e32 vcc, 27, v3
	s_cbranch_vccnz .LBB23_550
; %bb.548:
	v_cmp_lt_i16_e32 vcc, 27, v3
	s_cbranch_vccz .LBB23_551
; %bb.549:
	global_load_dword v4, v[0:1], off
	s_mov_b64 s[0:1], 0
	s_waitcnt vmcnt(0)
	v_cvt_f32_u32_e32 v4, v4
	v_cvt_f16_f32_e32 v4, v4
	s_branch .LBB23_552
.LBB23_550:
	s_mov_b64 s[0:1], -1
                                        ; implicit-def: $vgpr4
	s_branch .LBB23_555
.LBB23_551:
	s_mov_b64 s[0:1], -1
                                        ; implicit-def: $vgpr4
.LBB23_552:
	s_andn2_b64 vcc, exec, s[0:1]
	s_cbranch_vccnz .LBB23_554
; %bb.553:
	global_load_ushort v4, v[0:1], off
	s_waitcnt vmcnt(0)
	v_cvt_f16_u16_e32 v4, v4
.LBB23_554:
	s_mov_b64 s[0:1], 0
.LBB23_555:
	s_andn2_b64 vcc, exec, s[0:1]
	s_cbranch_vccnz .LBB23_563
; %bb.556:
	global_load_ubyte v5, v[0:1], off
	s_movk_i32 s0, 0x7f
                                        ; implicit-def: $sgpr38
	s_waitcnt vmcnt(0)
	v_cmp_lt_i16_e32 vcc, s0, v5
	s_mov_b64 s[0:1], 0
	s_and_saveexec_b64 s[34:35], vcc
	s_xor_b64 s[34:35], exec, s[34:35]
	s_cbranch_execz .LBB23_577
; %bb.557:
	s_movk_i32 s0, 0x80
	v_cmp_eq_u16_e32 vcc, s0, v5
	s_mov_b64 s[0:1], -1
                                        ; implicit-def: $sgpr38
	s_and_saveexec_b64 s[36:37], vcc
; %bb.558:
	s_movk_i32 s38, 0x7e00
	s_xor_b64 s[0:1], exec, -1
; %bb.559:
	s_or_b64 exec, exec, s[36:37]
	s_and_b64 s[0:1], s[0:1], exec
	s_or_saveexec_b64 s[34:35], s[34:35]
	v_mov_b32_e32 v4, s38
	s_xor_b64 exec, exec, s[34:35]
	s_cbranch_execnz .LBB23_578
.LBB23_560:
	s_or_b64 exec, exec, s[34:35]
	s_and_saveexec_b64 s[34:35], s[0:1]
	s_cbranch_execz .LBB23_562
.LBB23_561:
	v_lshlrev_b32_e32 v4, 24, v5
	v_and_b32_e32 v5, 0xffff, v5
	v_and_b32_e32 v6, 7, v5
	v_ffbh_u32_e32 v8, v6
	v_min_u32_e32 v8, 32, v8
	v_subrev_u32_e32 v9, 28, v8
	v_bfe_u32 v7, v5, 3, 4
	v_lshlrev_b32_e32 v5, v9, v5
	v_sub_u32_e32 v8, 29, v8
	v_and_b32_e32 v5, 7, v5
	v_cmp_eq_u32_e32 vcc, 0, v7
	v_cndmask_b32_e32 v7, v7, v8, vcc
	v_cndmask_b32_e32 v5, v6, v5, vcc
	v_mov_b32_e32 v6, 0x3b800000
	v_lshlrev_b32_e32 v5, 20, v5
	v_and_b32_e32 v4, 0x80000000, v4
	v_lshl_add_u32 v6, v7, 23, v6
	v_or3_b32 v4, v4, v6, v5
	v_cvt_f16_f32_e32 v4, v4
.LBB23_562:
	s_or_b64 exec, exec, s[34:35]
.LBB23_563:
	s_mov_b64 s[0:1], -1
.LBB23_564:
	s_mov_b64 s[34:35], 0
.LBB23_565:
	s_and_b64 vcc, exec, s[34:35]
	s_cbranch_vccz .LBB23_600
; %bb.566:
	v_cmp_lt_i16_e32 vcc, 22, v3
	s_cbranch_vccz .LBB23_576
; %bb.567:
	v_cmp_gt_i16_e32 vcc, 24, v3
	s_cbranch_vccnz .LBB23_579
; %bb.568:
	v_cmp_lt_i16_e32 vcc, 24, v3
	s_cbranch_vccz .LBB23_580
; %bb.569:
	global_load_ubyte v5, v[0:1], off
	s_movk_i32 s0, 0x7f
                                        ; implicit-def: $sgpr38
	s_waitcnt vmcnt(0)
	v_cmp_lt_i16_e32 vcc, s0, v5
	s_mov_b64 s[0:1], 0
	s_and_saveexec_b64 s[34:35], vcc
	s_xor_b64 s[34:35], exec, s[34:35]
	s_cbranch_execz .LBB23_592
; %bb.570:
	s_movk_i32 s0, 0x80
	v_cmp_eq_u16_e32 vcc, s0, v5
	s_mov_b64 s[0:1], -1
                                        ; implicit-def: $sgpr38
	s_and_saveexec_b64 s[36:37], vcc
; %bb.571:
	s_movk_i32 s38, 0x7e00
	s_xor_b64 s[0:1], exec, -1
; %bb.572:
	s_or_b64 exec, exec, s[36:37]
	s_and_b64 s[0:1], s[0:1], exec
	s_or_saveexec_b64 s[34:35], s[34:35]
	v_mov_b32_e32 v4, s38
	s_xor_b64 exec, exec, s[34:35]
	s_cbranch_execnz .LBB23_593
.LBB23_573:
	s_or_b64 exec, exec, s[34:35]
	s_and_saveexec_b64 s[34:35], s[0:1]
	s_cbranch_execz .LBB23_575
.LBB23_574:
	v_lshlrev_b32_e32 v4, 24, v5
	v_and_b32_e32 v5, 0xffff, v5
	v_and_b32_e32 v6, 3, v5
	v_ffbh_u32_e32 v8, v6
	v_min_u32_e32 v8, 32, v8
	v_subrev_u32_e32 v9, 29, v8
	v_bfe_u32 v7, v5, 2, 5
	v_lshlrev_b32_e32 v5, v9, v5
	v_sub_u32_e32 v8, 30, v8
	v_and_b32_e32 v5, 3, v5
	v_cmp_eq_u32_e32 vcc, 0, v7
	v_cndmask_b32_e32 v7, v7, v8, vcc
	v_cndmask_b32_e32 v5, v6, v5, vcc
	v_mov_b32_e32 v6, 0x37800000
	v_lshlrev_b32_e32 v5, 21, v5
	v_and_b32_e32 v4, 0x80000000, v4
	v_lshl_add_u32 v6, v7, 23, v6
	v_or3_b32 v4, v4, v6, v5
	v_cvt_f16_f32_e32 v4, v4
.LBB23_575:
	s_or_b64 exec, exec, s[34:35]
	s_mov_b64 s[0:1], 0
	s_branch .LBB23_581
.LBB23_576:
	s_mov_b64 s[34:35], -1
                                        ; implicit-def: $vgpr4
	s_branch .LBB23_587
.LBB23_577:
	s_or_saveexec_b64 s[34:35], s[34:35]
	v_mov_b32_e32 v4, s38
	s_xor_b64 exec, exec, s[34:35]
	s_cbranch_execz .LBB23_560
.LBB23_578:
	v_cmp_ne_u16_e32 vcc, 0, v5
	s_andn2_b64 s[0:1], s[0:1], exec
	s_and_b64 s[36:37], vcc, exec
	s_or_b64 s[0:1], s[0:1], s[36:37]
	v_mov_b32_e32 v4, v5
	s_or_b64 exec, exec, s[34:35]
	s_and_saveexec_b64 s[34:35], s[0:1]
	s_cbranch_execnz .LBB23_561
	s_branch .LBB23_562
.LBB23_579:
	s_mov_b64 s[0:1], -1
                                        ; implicit-def: $vgpr4
	s_branch .LBB23_584
.LBB23_580:
	s_mov_b64 s[0:1], -1
                                        ; implicit-def: $vgpr4
.LBB23_581:
	s_and_b64 vcc, exec, s[0:1]
	s_cbranch_vccz .LBB23_583
; %bb.582:
	global_load_ubyte v4, v[0:1], off
	s_mov_b32 s0, 0x7f800000
	s_waitcnt vmcnt(0)
	v_lshlrev_b32_e32 v4, 24, v4
	v_and_b32_e32 v5, 0x7f000000, v4
	v_ffbh_u32_e32 v6, v5
	v_min_u32_e32 v6, 32, v6
	v_sub_u32_e64 v6, v6, 4 clamp
	v_lshlrev_b32_e32 v8, v6, v5
	v_lshlrev_b32_e32 v6, 23, v6
	v_lshrrev_b32_e32 v8, 4, v8
	v_add_u32_e32 v7, 0x1000000, v5
	v_sub_u32_e32 v6, v8, v6
	v_ashrrev_i32_e32 v7, 8, v7
	v_add_u32_e32 v6, 0x3c000000, v6
	v_and_or_b32 v6, v7, s0, v6
	v_cmp_ne_u32_e32 vcc, 0, v5
	v_cndmask_b32_e32 v5, 0, v6, vcc
	s_brev_b32 s0, 1
	v_and_or_b32 v4, v4, s0, v5
	v_cvt_f16_f32_e32 v4, v4
.LBB23_583:
	s_mov_b64 s[0:1], 0
.LBB23_584:
	s_andn2_b64 vcc, exec, s[0:1]
	s_cbranch_vccnz .LBB23_586
; %bb.585:
	global_load_ubyte v4, v[0:1], off
	s_movk_i32 s0, 0x7f00
	s_brev_b32 s1, 16
	s_waitcnt vmcnt(0)
	v_lshlrev_b16_e32 v5, 8, v4
	v_lshlrev_b32_e32 v4, 25, v4
	v_lshrrev_b32_e32 v6, 4, v4
	v_and_or_b32 v7, v5, s0, 0.5
	v_or_b32_e32 v6, 0x70000000, v6
	v_add_f32_e32 v7, -0.5, v7
	v_mul_f32_e32 v6, 0x7800000, v6
	v_cmp_gt_u32_e32 vcc, s1, v4
	v_bfe_i32 v5, v5, 0, 16
	v_cndmask_b32_e32 v4, v6, v7, vcc
	s_brev_b32 s0, 1
	v_and_or_b32 v4, v5, s0, v4
	v_cvt_f16_f32_e32 v4, v4
.LBB23_586:
	s_mov_b64 s[34:35], 0
	s_mov_b64 s[0:1], -1
.LBB23_587:
	s_andn2_b64 vcc, exec, s[34:35]
	s_cbranch_vccnz .LBB23_600
; %bb.588:
	v_cmp_lt_i16_e32 vcc, 14, v3
	s_cbranch_vccz .LBB23_591
; %bb.589:
	v_cmp_eq_u16_e32 vcc, 15, v3
	s_cbranch_vccz .LBB23_594
; %bb.590:
	global_load_ushort v4, v[0:1], off
	s_mov_b64 s[0:1], -1
	s_mov_b64 s[30:31], 0
	s_waitcnt vmcnt(0)
	v_lshlrev_b32_e32 v4, 16, v4
	v_cvt_f16_f32_e32 v4, v4
	s_branch .LBB23_595
.LBB23_591:
	s_mov_b64 s[34:35], -1
                                        ; implicit-def: $vgpr4
	s_branch .LBB23_596
.LBB23_592:
	s_or_saveexec_b64 s[34:35], s[34:35]
	v_mov_b32_e32 v4, s38
	s_xor_b64 exec, exec, s[34:35]
	s_cbranch_execz .LBB23_573
.LBB23_593:
	v_cmp_ne_u16_e32 vcc, 0, v5
	s_andn2_b64 s[0:1], s[0:1], exec
	s_and_b64 s[36:37], vcc, exec
	s_or_b64 s[0:1], s[0:1], s[36:37]
	v_mov_b32_e32 v4, v5
	s_or_b64 exec, exec, s[34:35]
	s_and_saveexec_b64 s[34:35], s[0:1]
	s_cbranch_execnz .LBB23_574
	s_branch .LBB23_575
.LBB23_594:
	s_mov_b64 s[30:31], -1
                                        ; implicit-def: $vgpr4
.LBB23_595:
	s_mov_b64 s[34:35], 0
.LBB23_596:
	s_and_b64 vcc, exec, s[34:35]
	s_cbranch_vccz .LBB23_600
; %bb.597:
	v_cmp_eq_u16_e32 vcc, 11, v3
	s_cbranch_vccz .LBB23_599
; %bb.598:
	global_load_ubyte v4, v[0:1], off
	v_mov_b32_e32 v5, 0x3c00
	s_mov_b64 s[0:1], -1
	s_mov_b64 s[30:31], 0
	s_waitcnt vmcnt(0)
	v_cmp_ne_u16_e32 vcc, 0, v4
	v_cndmask_b32_e32 v4, 0, v5, vcc
	s_branch .LBB23_600
.LBB23_599:
	s_mov_b64 s[30:31], -1
                                        ; implicit-def: $vgpr4
.LBB23_600:
	s_mov_b64 s[34:35], 0
.LBB23_601:
	s_and_b64 vcc, exec, s[34:35]
	s_cbranch_vccz .LBB23_650
; %bb.602:
	v_cmp_gt_i16_e32 vcc, 5, v3
	s_cbranch_vccnz .LBB23_607
; %bb.603:
	v_cmp_gt_i16_e32 vcc, 8, v3
	s_cbranch_vccnz .LBB23_608
	;; [unrolled: 3-line block ×3, first 2 shown]
; %bb.605:
	v_cmp_lt_i16_e32 vcc, 9, v3
	s_cbranch_vccz .LBB23_610
; %bb.606:
	global_load_dwordx2 v[4:5], v[0:1], off
	s_mov_b64 s[0:1], 0
	s_waitcnt vmcnt(0)
	v_cvt_f32_f64_e32 v4, v[4:5]
	v_cvt_f16_f32_e32 v4, v4
	s_branch .LBB23_611
.LBB23_607:
	s_mov_b64 s[0:1], -1
                                        ; implicit-def: $vgpr4
	s_branch .LBB23_629
.LBB23_608:
	s_mov_b64 s[0:1], -1
                                        ; implicit-def: $vgpr4
	s_branch .LBB23_617
.LBB23_609:
	s_mov_b64 s[0:1], -1
                                        ; implicit-def: $vgpr4
	s_branch .LBB23_614
.LBB23_610:
	s_mov_b64 s[0:1], -1
                                        ; implicit-def: $vgpr4
.LBB23_611:
	s_andn2_b64 vcc, exec, s[0:1]
	s_cbranch_vccnz .LBB23_613
; %bb.612:
	global_load_dword v4, v[0:1], off
	s_waitcnt vmcnt(0)
	v_cvt_f16_f32_e32 v4, v4
.LBB23_613:
	s_mov_b64 s[0:1], 0
.LBB23_614:
	s_andn2_b64 vcc, exec, s[0:1]
	s_cbranch_vccnz .LBB23_616
; %bb.615:
	global_load_dword v4, v[0:1], off
.LBB23_616:
	s_mov_b64 s[0:1], 0
.LBB23_617:
	s_andn2_b64 vcc, exec, s[0:1]
	s_cbranch_vccnz .LBB23_628
; %bb.618:
	v_cmp_gt_i16_e32 vcc, 6, v3
	s_cbranch_vccnz .LBB23_621
; %bb.619:
	v_cmp_lt_i16_e32 vcc, 6, v3
	s_cbranch_vccz .LBB23_622
; %bb.620:
	global_load_dwordx2 v[4:5], v[0:1], off
	s_mov_b64 s[0:1], 0
	s_waitcnt vmcnt(0)
	v_cvt_f32_f64_e32 v4, v[4:5]
	v_cvt_f16_f32_e32 v4, v4
	s_branch .LBB23_623
.LBB23_621:
	s_mov_b64 s[0:1], -1
                                        ; implicit-def: $vgpr4
	s_branch .LBB23_626
.LBB23_622:
	s_mov_b64 s[0:1], -1
                                        ; implicit-def: $vgpr4
.LBB23_623:
	s_andn2_b64 vcc, exec, s[0:1]
	s_cbranch_vccnz .LBB23_625
; %bb.624:
	global_load_dword v4, v[0:1], off
	s_waitcnt vmcnt(0)
	v_cvt_f16_f32_e32 v4, v4
.LBB23_625:
	s_mov_b64 s[0:1], 0
.LBB23_626:
	s_andn2_b64 vcc, exec, s[0:1]
	s_cbranch_vccnz .LBB23_628
; %bb.627:
	global_load_ushort v4, v[0:1], off
.LBB23_628:
	s_mov_b64 s[0:1], 0
.LBB23_629:
	s_andn2_b64 vcc, exec, s[0:1]
	s_cbranch_vccnz .LBB23_649
; %bb.630:
	v_cmp_gt_i16_e32 vcc, 2, v3
	s_cbranch_vccnz .LBB23_634
; %bb.631:
	v_cmp_gt_i16_e32 vcc, 3, v3
	s_cbranch_vccnz .LBB23_635
; %bb.632:
	v_cmp_lt_i16_e32 vcc, 3, v3
	s_cbranch_vccz .LBB23_636
; %bb.633:
	global_load_dwordx2 v[4:5], v[0:1], off
	s_mov_b64 s[0:1], 0
	s_waitcnt vmcnt(0)
	v_xor_b32_e32 v7, v4, v5
	v_ffbh_i32_e32 v6, v5
	v_ashrrev_i32_e32 v7, 31, v7
	v_add_u32_e32 v6, -1, v6
	v_add_u32_e32 v7, 32, v7
	v_min_u32_e32 v6, v6, v7
	v_lshlrev_b64 v[4:5], v6, v[4:5]
	v_min_u32_e32 v4, 1, v4
	v_or_b32_e32 v4, v5, v4
	v_cvt_f32_i32_e32 v4, v4
	v_sub_u32_e32 v5, 32, v6
	v_ldexp_f32 v4, v4, v5
	v_cvt_f16_f32_e32 v4, v4
	s_branch .LBB23_637
.LBB23_634:
	s_mov_b64 s[0:1], -1
                                        ; implicit-def: $vgpr4
	s_branch .LBB23_643
.LBB23_635:
	s_mov_b64 s[0:1], -1
                                        ; implicit-def: $vgpr4
	s_branch .LBB23_640
.LBB23_636:
	s_mov_b64 s[0:1], -1
                                        ; implicit-def: $vgpr4
.LBB23_637:
	s_andn2_b64 vcc, exec, s[0:1]
	s_cbranch_vccnz .LBB23_639
; %bb.638:
	global_load_dword v4, v[0:1], off
	s_waitcnt vmcnt(0)
	v_cvt_f32_i32_e32 v4, v4
	v_cvt_f16_f32_e32 v4, v4
.LBB23_639:
	s_mov_b64 s[0:1], 0
.LBB23_640:
	s_andn2_b64 vcc, exec, s[0:1]
	s_cbranch_vccnz .LBB23_642
; %bb.641:
	global_load_ushort v4, v[0:1], off
	s_waitcnt vmcnt(0)
	v_cvt_f16_i16_e32 v4, v4
.LBB23_642:
	s_mov_b64 s[0:1], 0
.LBB23_643:
	s_andn2_b64 vcc, exec, s[0:1]
	s_cbranch_vccnz .LBB23_649
; %bb.644:
	v_cmp_lt_i16_e32 vcc, 0, v3
	s_cbranch_vccz .LBB23_646
; %bb.645:
	global_load_sbyte v4, v[0:1], off
	s_mov_b64 s[0:1], 0
	s_waitcnt vmcnt(0)
	v_cvt_f16_i16_e32 v4, v4
	s_branch .LBB23_647
.LBB23_646:
	s_mov_b64 s[0:1], -1
                                        ; implicit-def: $vgpr4
.LBB23_647:
	s_andn2_b64 vcc, exec, s[0:1]
	s_cbranch_vccnz .LBB23_649
; %bb.648:
	global_load_ubyte v0, v[0:1], off
	s_waitcnt vmcnt(0)
	v_cvt_f16_u16_e32 v4, v0
.LBB23_649:
	s_mov_b64 s[0:1], -1
.LBB23_650:
	s_andn2_b64 vcc, exec, s[0:1]
	s_cbranch_vccnz .LBB23_660
; %bb.651:
	s_waitcnt vmcnt(0)
	v_cvt_f32_f16_e32 v5, v4
	s_mov_b32 s0, 0x7f800000
	v_cmp_nlg_f32_e64 s[34:35], |v5|, s0
	s_and_saveexec_b64 s[0:1], s[34:35]
	s_cbranch_execz .LBB23_653
; %bb.652:
	v_mov_b32_e32 v0, 0
	v_mov_b32_e32 v1, 1.0
	global_store_dword v0, v1, s[12:13]
.LBB23_653:
	s_or_b64 exec, exec, s[0:1]
	v_mov_b32_e32 v0, 0
	global_load_dword v6, v0, s[14:15]
	v_mul_lo_u32 v0, v2, s2
	v_mov_b32_e32 v1, s9
	v_mov_b32_e32 v7, 11
	v_ashrrev_i32_e32 v8, 31, v0
	v_add_co_u32_e32 v0, vcc, s8, v0
	v_cmp_lt_i16_sdwa s[0:1], s33, v7 src0_sel:BYTE_0 src1_sel:DWORD
	v_addc_co_u32_e32 v1, vcc, v1, v8, vcc
	s_and_b64 vcc, exec, s[0:1]
	s_waitcnt vmcnt(0)
	v_fma_mixlo_f16 v5, v6, v5, 0
	v_cmp_eq_f32_e64 s[0:1], 1.0, v6
	v_cndmask_b32_e64 v4, v5, v4, s[0:1]
	s_cbranch_vccnz .LBB23_661
; %bb.654:
	v_mov_b32_e32 v5, 25
	v_cmp_gt_i16_sdwa s[0:1], s33, v5 src0_sel:BYTE_0 src1_sel:DWORD
	s_and_b64 vcc, exec, s[0:1]
	s_cbranch_vccz .LBB23_662
; %bb.655:
	v_mov_b32_e32 v5, 28
	v_cmp_gt_i16_sdwa s[0:1], s33, v5 src0_sel:BYTE_0 src1_sel:DWORD
	s_and_b64 vcc, exec, s[0:1]
	s_cbranch_vccz .LBB23_663
	;; [unrolled: 5-line block ×4, first 2 shown]
; %bb.658:
	v_mov_b32_e32 v5, 46
	v_cmp_eq_u16_sdwa s[34:35], s33, v5 src0_sel:BYTE_0 src1_sel:DWORD
	s_mov_b64 s[36:37], 0
	s_mov_b64 s[0:1], -1
	s_and_b64 vcc, exec, s[34:35]
	s_mov_b64 s[34:35], 0
	s_cbranch_vccz .LBB23_666
; %bb.659:
	v_cvt_f32_f16_e32 v5, v4
	s_movk_i32 s0, 0x7fff
	v_mov_b32_e32 v6, 0x7fc0
	v_cmp_o_f16_e32 vcc, v4, v4
	v_bfe_u32 v7, v5, 16, 1
	v_add3_u32 v5, v5, v7, s0
	v_lshrrev_b32_e32 v5, 16, v5
	v_cndmask_b32_e32 v5, v6, v5, vcc
	global_store_dword v[0:1], v5, off
	s_mov_b64 s[34:35], -1
	s_mov_b64 s[0:1], 0
	s_branch .LBB23_666
.LBB23_660:
	s_mov_b64 s[36:37], 0
                                        ; implicit-def: $vgpr2
	s_mov_b64 s[0:1], s[24:25]
	s_branch .LBB23_777
.LBB23_661:
	s_mov_b64 s[36:37], -1
	s_mov_b64 s[34:35], 0
	s_mov_b64 s[0:1], s[24:25]
	s_branch .LBB23_735
.LBB23_662:
	s_mov_b64 s[36:37], -1
	s_mov_b64 s[34:35], 0
	s_mov_b64 s[0:1], s[24:25]
	s_branch .LBB23_693
.LBB23_663:
	s_mov_b64 s[36:37], -1
	s_mov_b64 s[34:35], 0
	s_mov_b64 s[0:1], s[24:25]
	s_branch .LBB23_676
.LBB23_664:
	s_mov_b64 s[36:37], -1
	s_mov_b64 s[34:35], 0
	s_mov_b64 s[0:1], s[24:25]
	s_branch .LBB23_672
.LBB23_665:
	s_mov_b64 s[36:37], -1
	s_mov_b64 s[34:35], 0
	s_mov_b64 s[0:1], s[24:25]
.LBB23_666:
	s_and_b64 vcc, exec, s[36:37]
	s_cbranch_vccz .LBB23_671
; %bb.667:
	v_mov_b32_e32 v5, 44
	v_cmp_eq_u16_sdwa s[36:37], s33, v5 src0_sel:BYTE_0 src1_sel:DWORD
	s_mov_b64 s[0:1], -1
	s_and_b64 vcc, exec, s[36:37]
	s_cbranch_vccz .LBB23_671
; %bb.668:
	v_cvt_f32_f16_e32 v5, v4
	s_movk_i32 s0, 0xff
	v_mov_b32_e32 v7, 0xff
	v_bfe_u32 v6, v5, 23, 8
	v_cmp_ne_u32_e32 vcc, s0, v6
	s_and_saveexec_b64 s[34:35], vcc
; %bb.669:
	s_mov_b32 s0, 0x3fffff
	v_lshrrev_b32_e32 v7, 23, v5
	v_and_b32_e32 v8, 0x400000, v5
	v_and_or_b32 v5, v5, s0, v6
	v_cmp_ne_u32_e32 vcc, 0, v8
	v_cmp_ne_u32_e64 s[0:1], 0, v5
	s_and_b64 s[0:1], vcc, s[0:1]
	v_cndmask_b32_e64 v5, 0, 1, s[0:1]
	v_add_u32_e32 v7, v7, v5
; %bb.670:
	s_or_b64 exec, exec, s[34:35]
	s_mov_b64 s[34:35], -1
	s_mov_b64 s[0:1], 0
	global_store_byte v[0:1], v7, off
.LBB23_671:
	s_mov_b64 s[36:37], 0
.LBB23_672:
	s_and_b64 vcc, exec, s[36:37]
	s_cbranch_vccz .LBB23_675
; %bb.673:
	v_mov_b32_e32 v5, 29
	v_cmp_eq_u16_sdwa s[36:37], s33, v5 src0_sel:BYTE_0 src1_sel:DWORD
	s_mov_b64 s[0:1], -1
	s_and_b64 vcc, exec, s[36:37]
	s_cbranch_vccz .LBB23_675
; %bb.674:
	v_cvt_f32_f16_e32 v5, v4
	v_mov_b32_e32 v7, 0
	s_mov_b64 s[34:35], -1
	s_mov_b64 s[0:1], 0
	v_cvt_u32_f32_e32 v6, v5
	s_mov_b64 s[36:37], 0
	global_store_dwordx2 v[0:1], v[6:7], off
	s_branch .LBB23_676
.LBB23_675:
	s_mov_b64 s[36:37], 0
.LBB23_676:
	s_and_b64 vcc, exec, s[36:37]
	s_cbranch_vccz .LBB23_692
; %bb.677:
	v_mov_b32_e32 v5, 27
	v_cmp_lt_i16_sdwa s[36:37], s33, v5 src0_sel:BYTE_0 src1_sel:DWORD
	s_mov_b64 s[34:35], -1
	s_and_b64 vcc, exec, s[36:37]
	s_cbranch_vccnz .LBB23_683
; %bb.678:
	v_cmp_gt_i16_sdwa s[36:37], s33, v5 src0_sel:BYTE_0 src1_sel:DWORD
	s_and_b64 vcc, exec, s[36:37]
	s_cbranch_vccz .LBB23_680
; %bb.679:
	v_cvt_f32_f16_e32 v5, v4
	s_mov_b64 s[34:35], 0
	v_cvt_u32_f32_e32 v5, v5
	global_store_dword v[0:1], v5, off
.LBB23_680:
	s_andn2_b64 vcc, exec, s[34:35]
	s_cbranch_vccnz .LBB23_682
; %bb.681:
	v_cvt_u16_f16_e32 v5, v4
	global_store_short v[0:1], v5, off
.LBB23_682:
	s_mov_b64 s[34:35], 0
.LBB23_683:
	s_andn2_b64 vcc, exec, s[34:35]
	s_cbranch_vccnz .LBB23_691
; %bb.684:
	v_cvt_f32_f16_e32 v5, v4
	s_mov_b32 s34, 0x43800000
	v_mov_b32_e32 v7, 0x80
	v_and_b32_e32 v6, 0x7fffffff, v5
	v_cmp_gt_u32_e32 vcc, s34, v6
	s_and_saveexec_b64 s[34:35], vcc
	s_cbranch_execz .LBB23_690
; %bb.685:
	s_mov_b32 s36, 0x3bffffff
	v_cmp_lt_u32_e32 vcc, s36, v6
	s_mov_b64 s[36:37], 0
                                        ; implicit-def: $vgpr6
	s_and_saveexec_b64 s[38:39], vcc
	s_xor_b64 s[38:39], exec, s[38:39]
	s_cbranch_execz .LBB23_791
; %bb.686:
	v_bfe_u32 v6, v5, 20, 1
	s_mov_b32 s40, 0x487ffff
	v_add3_u32 v6, v5, v6, s40
	s_mov_b64 s[36:37], exec
	v_lshrrev_b32_e32 v6, 20, v6
	s_or_saveexec_b64 s[38:39], s[38:39]
                                        ; implicit-def: $sgpr40
	s_xor_b64 exec, exec, s[38:39]
	s_cbranch_execnz .LBB23_792
.LBB23_687:
	s_or_b64 exec, exec, s[38:39]
	v_mov_b32_e32 v7, s40
	s_and_saveexec_b64 s[38:39], s[36:37]
.LBB23_688:
	v_lshrrev_b32_e32 v5, 24, v5
	s_movk_i32 s36, 0x80
	v_and_or_b32 v7, v5, s36, v6
.LBB23_689:
	s_or_b64 exec, exec, s[38:39]
.LBB23_690:
	s_or_b64 exec, exec, s[34:35]
	global_store_byte v[0:1], v7, off
.LBB23_691:
	s_mov_b64 s[34:35], -1
.LBB23_692:
	s_mov_b64 s[36:37], 0
.LBB23_693:
	s_and_b64 vcc, exec, s[36:37]
	s_cbranch_vccz .LBB23_734
; %bb.694:
	v_mov_b32_e32 v5, 22
	v_cmp_gt_i16_sdwa s[38:39], s33, v5 src0_sel:BYTE_0 src1_sel:DWORD
	s_mov_b64 s[36:37], -1
	s_and_b64 vcc, exec, s[38:39]
	s_cbranch_vccz .LBB23_726
; %bb.695:
	v_mov_b32_e32 v5, 24
	v_cmp_lt_i16_sdwa s[36:37], s33, v5 src0_sel:BYTE_0 src1_sel:DWORD
	s_mov_b64 s[34:35], -1
	s_and_b64 vcc, exec, s[36:37]
	s_cbranch_vccnz .LBB23_715
; %bb.696:
	v_cmp_gt_i16_sdwa s[36:37], s33, v5 src0_sel:BYTE_0 src1_sel:DWORD
	s_and_b64 vcc, exec, s[36:37]
	s_cbranch_vccz .LBB23_704
; %bb.697:
	v_cvt_f32_f16_e32 v5, v4
	s_mov_b32 s34, 0x47800000
	v_mov_b32_e32 v7, 0x80
	v_and_b32_e32 v6, 0x7fffffff, v5
	v_cmp_gt_u32_e32 vcc, s34, v6
	s_and_saveexec_b64 s[34:35], vcc
	s_cbranch_execz .LBB23_703
; %bb.698:
	s_mov_b32 s36, 0x37ffffff
	v_cmp_lt_u32_e32 vcc, s36, v6
	s_mov_b64 s[36:37], 0
                                        ; implicit-def: $vgpr6
	s_and_saveexec_b64 s[38:39], vcc
	s_xor_b64 s[38:39], exec, s[38:39]
	s_cbranch_execz .LBB23_794
; %bb.699:
	v_bfe_u32 v6, v5, 21, 1
	s_mov_b32 s40, 0x88fffff
	v_add3_u32 v6, v5, v6, s40
	s_mov_b64 s[36:37], exec
	v_lshrrev_b32_e32 v6, 21, v6
	s_or_saveexec_b64 s[38:39], s[38:39]
                                        ; implicit-def: $sgpr40
	s_xor_b64 exec, exec, s[38:39]
	s_cbranch_execnz .LBB23_795
.LBB23_700:
	s_or_b64 exec, exec, s[38:39]
	v_mov_b32_e32 v7, s40
	s_and_saveexec_b64 s[38:39], s[36:37]
.LBB23_701:
	v_lshrrev_b32_e32 v5, 24, v5
	s_movk_i32 s36, 0x80
	v_and_or_b32 v7, v5, s36, v6
.LBB23_702:
	s_or_b64 exec, exec, s[38:39]
.LBB23_703:
	s_or_b64 exec, exec, s[34:35]
	s_mov_b64 s[34:35], 0
	global_store_byte v[0:1], v7, off
.LBB23_704:
	s_and_b64 vcc, exec, s[34:35]
	s_cbranch_vccz .LBB23_714
; %bb.705:
	v_cvt_f32_f16_e32 v5, v4
	s_mov_b32 s34, 0x43f00000
                                        ; implicit-def: $vgpr6
	v_and_b32_e32 v7, 0x7fffffff, v5
	v_cmp_gt_u32_e32 vcc, s34, v7
	s_and_saveexec_b64 s[34:35], vcc
	s_xor_b64 s[34:35], exec, s[34:35]
	s_cbranch_execz .LBB23_711
; %bb.706:
	s_mov_b32 s36, 0x3c7fffff
	v_cmp_lt_u32_e32 vcc, s36, v7
                                        ; implicit-def: $vgpr6
	s_and_saveexec_b64 s[36:37], vcc
	s_xor_b64 s[36:37], exec, s[36:37]
; %bb.707:
	v_bfe_u32 v6, v5, 20, 1
	s_mov_b32 s38, 0x407ffff
	v_add3_u32 v6, v5, v6, s38
	v_lshrrev_b32_e32 v7, 20, v6
	v_and_b32_e32 v6, 0xff00000, v6
	s_mov_b32 s38, 0x7f00000
	v_mov_b32_e32 v8, 0x7e
	v_cmp_ne_u32_e32 vcc, s38, v6
	v_cndmask_b32_e32 v6, v8, v7, vcc
; %bb.708:
	s_andn2_saveexec_b64 s[36:37], s[36:37]
; %bb.709:
	s_mov_b32 s38, 0x46800000
	v_add_f32_e64 v6, |v5|, s38
; %bb.710:
	s_or_b64 exec, exec, s[36:37]
                                        ; implicit-def: $vgpr7
.LBB23_711:
	s_andn2_saveexec_b64 s[34:35], s[34:35]
; %bb.712:
	s_mov_b32 s36, 0x7f800000
	v_mov_b32_e32 v6, 0x7e
	v_mov_b32_e32 v8, 0x7f
	v_cmp_lt_u32_e32 vcc, s36, v7
	v_cndmask_b32_e32 v6, v6, v8, vcc
; %bb.713:
	s_or_b64 exec, exec, s[34:35]
	v_lshrrev_b32_e32 v5, 24, v5
	s_movk_i32 s34, 0x80
	v_and_or_b32 v5, v5, s34, v6
	global_store_byte v[0:1], v5, off
.LBB23_714:
	s_mov_b64 s[34:35], 0
.LBB23_715:
	s_andn2_b64 vcc, exec, s[34:35]
	s_cbranch_vccnz .LBB23_725
; %bb.716:
	v_cvt_f32_f16_e32 v5, v4
	s_mov_b32 s34, 0x47800000
                                        ; implicit-def: $vgpr6
	v_and_b32_e32 v7, 0x7fffffff, v5
	v_cmp_gt_u32_e32 vcc, s34, v7
	s_and_saveexec_b64 s[34:35], vcc
	s_xor_b64 s[34:35], exec, s[34:35]
	s_cbranch_execz .LBB23_722
; %bb.717:
	s_mov_b32 s36, 0x387fffff
	v_cmp_lt_u32_e32 vcc, s36, v7
                                        ; implicit-def: $vgpr6
	s_and_saveexec_b64 s[36:37], vcc
	s_xor_b64 s[36:37], exec, s[36:37]
; %bb.718:
	v_bfe_u32 v6, v5, 21, 1
	s_mov_b32 s38, 0x80fffff
	v_add3_u32 v6, v5, v6, s38
	v_lshrrev_b32_e32 v6, 21, v6
; %bb.719:
	s_andn2_saveexec_b64 s[36:37], s[36:37]
; %bb.720:
	s_mov_b32 s38, 0x43000000
	v_add_f32_e64 v6, |v5|, s38
; %bb.721:
	s_or_b64 exec, exec, s[36:37]
                                        ; implicit-def: $vgpr7
.LBB23_722:
	s_andn2_saveexec_b64 s[34:35], s[34:35]
; %bb.723:
	s_mov_b32 s36, 0x7f800000
	v_mov_b32_e32 v6, 0x7c
	v_mov_b32_e32 v8, 0x7f
	v_cmp_lt_u32_e32 vcc, s36, v7
	v_cndmask_b32_e32 v6, v6, v8, vcc
; %bb.724:
	s_or_b64 exec, exec, s[34:35]
	v_lshrrev_b32_e32 v5, 24, v5
	s_movk_i32 s34, 0x80
	v_and_or_b32 v5, v5, s34, v6
	global_store_byte v[0:1], v5, off
.LBB23_725:
	s_mov_b64 s[36:37], 0
	s_mov_b64 s[34:35], -1
.LBB23_726:
	s_andn2_b64 vcc, exec, s[36:37]
	s_cbranch_vccnz .LBB23_734
; %bb.727:
	v_mov_b32_e32 v5, 14
	v_cmp_gt_i16_sdwa s[38:39], s33, v5 src0_sel:BYTE_0 src1_sel:DWORD
	s_mov_b64 s[36:37], -1
	s_and_b64 vcc, exec, s[38:39]
	s_cbranch_vccz .LBB23_731
; %bb.728:
	v_mov_b32_e32 v5, 15
	v_cmp_eq_u16_sdwa s[36:37], s33, v5 src0_sel:BYTE_0 src1_sel:DWORD
	s_mov_b64 s[0:1], -1
	s_and_b64 vcc, exec, s[36:37]
	s_cbranch_vccz .LBB23_730
; %bb.729:
	v_cvt_f32_f16_e32 v5, v4
	s_movk_i32 s0, 0x7fff
	v_mov_b32_e32 v6, 0x7fc0
	v_cmp_o_f16_e32 vcc, v4, v4
	v_bfe_u32 v7, v5, 16, 1
	v_add3_u32 v5, v5, v7, s0
	v_lshrrev_b32_e32 v5, 16, v5
	v_cndmask_b32_e32 v5, v6, v5, vcc
	global_store_short v[0:1], v5, off
	s_mov_b64 s[34:35], -1
	s_mov_b64 s[0:1], 0
.LBB23_730:
	s_mov_b64 s[36:37], 0
.LBB23_731:
	s_and_b64 vcc, exec, s[36:37]
	s_cbranch_vccz .LBB23_734
; %bb.732:
	v_mov_b32_e32 v5, 11
	v_cmp_eq_u16_sdwa s[36:37], s33, v5 src0_sel:BYTE_0 src1_sel:DWORD
	s_mov_b64 s[0:1], -1
	s_and_b64 vcc, exec, s[36:37]
	s_cbranch_vccz .LBB23_734
; %bb.733:
	v_cmp_neq_f16_e32 vcc, 0, v4
	v_cndmask_b32_e64 v5, 0, 1, vcc
	s_mov_b64 s[34:35], -1
	s_mov_b64 s[0:1], 0
	global_store_byte v[0:1], v5, off
.LBB23_734:
	s_mov_b64 s[36:37], 0
.LBB23_735:
	s_and_b64 vcc, exec, s[36:37]
	s_cbranch_vccz .LBB23_774
; %bb.736:
	v_mov_b32_e32 v5, 5
	v_cmp_lt_i16_sdwa s[36:37], s33, v5 src0_sel:BYTE_0 src1_sel:DWORD
	s_mov_b64 s[34:35], -1
	s_and_b64 vcc, exec, s[36:37]
	s_cbranch_vccnz .LBB23_757
; %bb.737:
	v_mov_b32_e32 v5, 8
	v_cmp_lt_i16_sdwa s[36:37], s33, v5 src0_sel:BYTE_0 src1_sel:DWORD
	s_and_b64 vcc, exec, s[36:37]
	s_cbranch_vccnz .LBB23_747
; %bb.738:
	v_mov_b32_e32 v5, 9
	v_cmp_lt_i16_sdwa s[36:37], s33, v5 src0_sel:BYTE_0 src1_sel:DWORD
	s_and_b64 vcc, exec, s[36:37]
	s_cbranch_vccnz .LBB23_744
; %bb.739:
	v_cmp_gt_i16_sdwa s[36:37], s33, v5 src0_sel:BYTE_0 src1_sel:DWORD
	s_and_b64 vcc, exec, s[36:37]
	s_cbranch_vccz .LBB23_741
; %bb.740:
	v_cvt_f32_f16_e32 v5, v4
	v_mov_b32_e32 v8, 0
	v_mov_b32_e32 v9, v8
	s_mov_b64 s[34:35], 0
	v_cvt_f64_f32_e32 v[6:7], v5
	global_store_dwordx4 v[0:1], v[6:9], off
.LBB23_741:
	s_andn2_b64 vcc, exec, s[34:35]
	s_cbranch_vccnz .LBB23_743
; %bb.742:
	v_cvt_f32_f16_e32 v6, v4
	v_mov_b32_e32 v7, 0
	global_store_dwordx2 v[0:1], v[6:7], off
.LBB23_743:
	s_mov_b64 s[34:35], 0
.LBB23_744:
	s_andn2_b64 vcc, exec, s[34:35]
	s_cbranch_vccnz .LBB23_746
; %bb.745:
	v_and_b32_e32 v5, 0xffff, v4
	global_store_dword v[0:1], v5, off
.LBB23_746:
	s_mov_b64 s[34:35], 0
.LBB23_747:
	s_andn2_b64 vcc, exec, s[34:35]
	s_cbranch_vccnz .LBB23_756
; %bb.748:
	v_mov_b32_e32 v5, 6
	v_cmp_lt_i16_sdwa s[36:37], s33, v5 src0_sel:BYTE_0 src1_sel:DWORD
	s_mov_b64 s[34:35], -1
	s_and_b64 vcc, exec, s[36:37]
	s_cbranch_vccnz .LBB23_754
; %bb.749:
	v_cmp_gt_i16_sdwa s[36:37], s33, v5 src0_sel:BYTE_0 src1_sel:DWORD
	s_and_b64 vcc, exec, s[36:37]
	s_cbranch_vccz .LBB23_751
; %bb.750:
	v_cvt_f32_f16_e32 v5, v4
	s_mov_b64 s[34:35], 0
	v_cvt_f64_f32_e32 v[6:7], v5
	global_store_dwordx2 v[0:1], v[6:7], off
.LBB23_751:
	s_andn2_b64 vcc, exec, s[34:35]
	s_cbranch_vccnz .LBB23_753
; %bb.752:
	v_cvt_f32_f16_e32 v5, v4
	global_store_dword v[0:1], v5, off
.LBB23_753:
	s_mov_b64 s[34:35], 0
.LBB23_754:
	s_andn2_b64 vcc, exec, s[34:35]
	s_cbranch_vccnz .LBB23_756
; %bb.755:
	global_store_short v[0:1], v4, off
.LBB23_756:
	s_mov_b64 s[34:35], 0
.LBB23_757:
	s_andn2_b64 vcc, exec, s[34:35]
	s_cbranch_vccnz .LBB23_773
; %bb.758:
	v_mov_b32_e32 v5, 2
	v_cmp_lt_i16_sdwa s[36:37], s33, v5 src0_sel:BYTE_0 src1_sel:DWORD
	s_mov_b64 s[34:35], -1
	s_and_b64 vcc, exec, s[36:37]
	s_cbranch_vccnz .LBB23_768
; %bb.759:
	v_mov_b32_e32 v5, 3
	v_cmp_lt_i16_sdwa s[36:37], s33, v5 src0_sel:BYTE_0 src1_sel:DWORD
	s_and_b64 vcc, exec, s[36:37]
	s_cbranch_vccnz .LBB23_765
; %bb.760:
	v_cmp_gt_i16_sdwa s[36:37], s33, v5 src0_sel:BYTE_0 src1_sel:DWORD
	s_and_b64 vcc, exec, s[36:37]
	s_cbranch_vccz .LBB23_762
; %bb.761:
	v_cvt_f32_f16_e32 v5, v4
	s_mov_b64 s[34:35], 0
	v_cvt_i32_f32_e32 v6, v5
	v_ashrrev_i32_e32 v7, 31, v6
	global_store_dwordx2 v[0:1], v[6:7], off
.LBB23_762:
	s_andn2_b64 vcc, exec, s[34:35]
	s_cbranch_vccnz .LBB23_764
; %bb.763:
	v_cvt_f32_f16_e32 v5, v4
	v_cvt_i32_f32_e32 v5, v5
	global_store_dword v[0:1], v5, off
.LBB23_764:
	s_mov_b64 s[34:35], 0
.LBB23_765:
	s_andn2_b64 vcc, exec, s[34:35]
	s_cbranch_vccnz .LBB23_767
; %bb.766:
	v_cvt_i16_f16_e32 v5, v4
	global_store_short v[0:1], v5, off
.LBB23_767:
	s_mov_b64 s[34:35], 0
.LBB23_768:
	s_andn2_b64 vcc, exec, s[34:35]
	s_cbranch_vccnz .LBB23_773
; %bb.769:
	v_mov_b32_e32 v5, 0
	v_cmp_gt_i16_sdwa s[36:37], s33, v5 src0_sel:BYTE_0 src1_sel:DWORD
	s_mov_b64 s[34:35], -1
	s_and_b64 vcc, exec, s[36:37]
	s_cbranch_vccz .LBB23_771
; %bb.770:
	v_cvt_i16_f16_e32 v5, v4
	s_mov_b64 s[34:35], 0
	global_store_byte v[0:1], v5, off
.LBB23_771:
	s_andn2_b64 vcc, exec, s[34:35]
	s_cbranch_vccnz .LBB23_773
; %bb.772:
	v_cvt_f32_f16_e32 v4, v4
	v_cvt_i32_f32_e32 v4, v4
	global_store_byte v[0:1], v4, off
.LBB23_773:
	s_mov_b64 s[34:35], -1
.LBB23_774:
	s_andn2_b64 vcc, exec, s[34:35]
	s_cbranch_vccnz .LBB23_776
; %bb.775:
	v_add_u32_e32 v2, 0x80, v2
	s_mov_b64 s[36:37], -1
	s_branch .LBB23_777
.LBB23_776:
	s_mov_b64 s[36:37], 0
                                        ; implicit-def: $vgpr2
.LBB23_777:
	s_andn2_b64 s[34:35], s[24:25], exec
	s_and_b64 s[0:1], s[0:1], exec
	s_or_b64 s[34:35], s[34:35], s[0:1]
	s_andn2_b64 s[0:1], s[22:23], exec
	s_and_b64 s[30:31], s[30:31], exec
	s_or_b64 s[0:1], s[0:1], s[30:31]
	s_orn2_b64 s[38:39], s[36:37], exec
.LBB23_778:
	s_or_b64 exec, exec, s[28:29]
	s_mov_b64 s[36:37], 0
	s_mov_b64 s[30:31], 0
	;; [unrolled: 1-line block ×3, first 2 shown]
                                        ; implicit-def: $vgpr0_vgpr1
                                        ; implicit-def: $vgpr5
	s_and_saveexec_b64 s[28:29], s[38:39]
	s_cbranch_execz .LBB23_863
; %bb.779:
	v_cmp_gt_i32_e32 vcc, s42, v2
	s_mov_b64 s[38:39], 0
	s_mov_b64 s[42:43], s[0:1]
	;; [unrolled: 1-line block ×3, first 2 shown]
                                        ; implicit-def: $vgpr0_vgpr1
                                        ; implicit-def: $vgpr5
	s_and_saveexec_b64 s[30:31], vcc
	s_cbranch_execz .LBB23_862
; %bb.780:
	v_mul_lo_u32 v0, v2, s3
	v_ashrrev_i32_e32 v1, 31, v0
	s_waitcnt vmcnt(0)
	v_mov_b32_e32 v4, s11
	v_add_co_u32_e32 v0, vcc, s10, v0
	v_addc_co_u32_e32 v1, vcc, v4, v1, vcc
	v_cmp_gt_i16_e32 vcc, 11, v3
	s_cbranch_vccnz .LBB23_787
; %bb.781:
	v_cmp_lt_i16_e32 vcc, 25, v3
	s_cbranch_vccz .LBB23_788
; %bb.782:
	v_cmp_lt_i16_e32 vcc, 28, v3
	s_cbranch_vccz .LBB23_789
	;; [unrolled: 3-line block ×4, first 2 shown]
; %bb.785:
	v_cmp_eq_u16_e32 vcc, 46, v3
	s_mov_b64 s[42:43], 0
	s_cbranch_vccz .LBB23_796
; %bb.786:
	global_load_dword v4, v[0:1], off
	s_mov_b64 s[40:41], -1
	s_waitcnt vmcnt(0)
	v_lshlrev_b32_e32 v4, 16, v4
	v_cvt_f16_f32_e32 v5, v4
	s_branch .LBB23_798
.LBB23_787:
	s_mov_b64 s[42:43], -1
                                        ; implicit-def: $vgpr5
	s_mov_b64 s[36:37], s[0:1]
	s_branch .LBB23_861
.LBB23_788:
	s_mov_b64 s[42:43], -1
	s_mov_b64 s[36:37], s[0:1]
                                        ; implicit-def: $vgpr5
	s_branch .LBB23_827
.LBB23_789:
	s_mov_b64 s[42:43], -1
	s_mov_b64 s[36:37], s[0:1]
                                        ; implicit-def: $vgpr5
	s_branch .LBB23_808
.LBB23_790:
	s_mov_b64 s[42:43], -1
	s_mov_b64 s[36:37], s[0:1]
                                        ; implicit-def: $vgpr5
	s_branch .LBB23_803
.LBB23_791:
	s_or_saveexec_b64 s[38:39], s[38:39]
                                        ; implicit-def: $sgpr40
	s_xor_b64 exec, exec, s[38:39]
	s_cbranch_execz .LBB23_687
.LBB23_792:
	s_mov_b32 s40, 0x46000000
	v_add_f32_e64 v6, |v5|, s40
	v_and_b32_e32 v6, 0xff, v6
	v_cmp_ne_u32_e32 vcc, 0, v6
	s_andn2_b64 s[36:37], s[36:37], exec
	s_and_b64 s[44:45], vcc, exec
	s_mov_b32 s40, 0
	s_or_b64 s[36:37], s[36:37], s[44:45]
	s_or_b64 exec, exec, s[38:39]
	v_mov_b32_e32 v7, s40
	s_and_saveexec_b64 s[38:39], s[36:37]
	s_cbranch_execnz .LBB23_688
	s_branch .LBB23_689
.LBB23_793:
	s_mov_b64 s[42:43], -1
	s_mov_b64 s[36:37], s[0:1]
	s_branch .LBB23_797
.LBB23_794:
	s_or_saveexec_b64 s[38:39], s[38:39]
                                        ; implicit-def: $sgpr40
	s_xor_b64 exec, exec, s[38:39]
	s_cbranch_execz .LBB23_700
.LBB23_795:
	s_mov_b32 s40, 0x42800000
	v_add_f32_e64 v6, |v5|, s40
	v_and_b32_e32 v6, 0xff, v6
	v_cmp_ne_u32_e32 vcc, 0, v6
	s_andn2_b64 s[36:37], s[36:37], exec
	s_and_b64 s[44:45], vcc, exec
	s_mov_b32 s40, 0
	s_or_b64 s[36:37], s[36:37], s[44:45]
	s_or_b64 exec, exec, s[38:39]
	v_mov_b32_e32 v7, s40
	s_and_saveexec_b64 s[38:39], s[36:37]
	s_cbranch_execnz .LBB23_701
	s_branch .LBB23_702
.LBB23_796:
	s_mov_b64 s[36:37], -1
.LBB23_797:
                                        ; implicit-def: $vgpr5
.LBB23_798:
	s_and_b64 vcc, exec, s[42:43]
	s_cbranch_vccz .LBB23_802
; %bb.799:
	v_cmp_eq_u16_e32 vcc, 44, v3
	s_cbranch_vccz .LBB23_801
; %bb.800:
	global_load_ubyte v4, v[0:1], off
	s_movk_i32 s40, 0xff
	v_mov_b32_e32 v6, 0x7e00
	s_mov_b64 s[36:37], 0
	s_waitcnt vmcnt(0)
	v_lshlrev_b32_e32 v5, 23, v4
	v_cvt_f16_f32_e32 v5, v5
	v_cmp_ne_u32_e32 vcc, s40, v4
	s_mov_b64 s[40:41], -1
	v_cndmask_b32_e32 v5, v6, v5, vcc
	v_cmp_ne_u32_e32 vcc, 0, v4
	v_cndmask_b32_e32 v5, 0, v5, vcc
	s_branch .LBB23_802
.LBB23_801:
	s_mov_b64 s[36:37], -1
                                        ; implicit-def: $vgpr5
.LBB23_802:
	s_mov_b64 s[42:43], 0
.LBB23_803:
	s_and_b64 vcc, exec, s[42:43]
	s_cbranch_vccz .LBB23_807
; %bb.804:
	v_cmp_eq_u16_e32 vcc, 29, v3
	s_cbranch_vccz .LBB23_806
; %bb.805:
	global_load_dwordx2 v[4:5], v[0:1], off
	s_mov_b64 s[36:37], 0
	s_mov_b64 s[40:41], -1
	s_mov_b64 s[42:43], 0
	s_waitcnt vmcnt(0)
	v_ffbh_u32_e32 v6, v5
	v_min_u32_e32 v6, 32, v6
	v_lshlrev_b64 v[4:5], v6, v[4:5]
	v_min_u32_e32 v4, 1, v4
	v_or_b32_e32 v4, v5, v4
	v_cvt_f32_u32_e32 v4, v4
	v_sub_u32_e32 v5, 32, v6
	v_ldexp_f32 v4, v4, v5
	v_cvt_f16_f32_e32 v5, v4
	s_branch .LBB23_808
.LBB23_806:
	s_mov_b64 s[36:37], -1
                                        ; implicit-def: $vgpr5
.LBB23_807:
	s_mov_b64 s[42:43], 0
.LBB23_808:
	s_and_b64 vcc, exec, s[42:43]
	s_cbranch_vccz .LBB23_826
; %bb.809:
	v_cmp_gt_i16_e32 vcc, 27, v3
	s_cbranch_vccnz .LBB23_812
; %bb.810:
	v_cmp_lt_i16_e32 vcc, 27, v3
	s_cbranch_vccz .LBB23_813
; %bb.811:
	global_load_dword v4, v[0:1], off
	s_mov_b64 s[40:41], 0
	s_waitcnt vmcnt(0)
	v_cvt_f32_u32_e32 v4, v4
	v_cvt_f16_f32_e32 v5, v4
	s_branch .LBB23_814
.LBB23_812:
	s_mov_b64 s[40:41], -1
                                        ; implicit-def: $vgpr5
	s_branch .LBB23_817
.LBB23_813:
	s_mov_b64 s[40:41], -1
                                        ; implicit-def: $vgpr5
.LBB23_814:
	s_andn2_b64 vcc, exec, s[40:41]
	s_cbranch_vccnz .LBB23_816
; %bb.815:
	global_load_ushort v4, v[0:1], off
	s_waitcnt vmcnt(0)
	v_cvt_f16_u16_e32 v5, v4
.LBB23_816:
	s_mov_b64 s[40:41], 0
.LBB23_817:
	s_andn2_b64 vcc, exec, s[40:41]
	s_cbranch_vccnz .LBB23_825
; %bb.818:
	global_load_ubyte v4, v[0:1], off
	s_movk_i32 s40, 0x7f
                                        ; implicit-def: $sgpr46
	s_waitcnt vmcnt(0)
	v_cmp_lt_i16_e32 vcc, s40, v4
	s_mov_b64 s[40:41], 0
	s_and_saveexec_b64 s[42:43], vcc
	s_xor_b64 s[42:43], exec, s[42:43]
	s_cbranch_execz .LBB23_839
; %bb.819:
	s_movk_i32 s40, 0x80
	v_cmp_eq_u16_e32 vcc, s40, v4
	s_mov_b64 s[40:41], -1
                                        ; implicit-def: $sgpr46
	s_and_saveexec_b64 s[44:45], vcc
; %bb.820:
	s_movk_i32 s46, 0x7e00
	s_xor_b64 s[40:41], exec, -1
; %bb.821:
	s_or_b64 exec, exec, s[44:45]
	s_and_b64 s[40:41], s[40:41], exec
	s_or_saveexec_b64 s[42:43], s[42:43]
	v_mov_b32_e32 v5, s46
	s_xor_b64 exec, exec, s[42:43]
	s_cbranch_execnz .LBB23_840
.LBB23_822:
	s_or_b64 exec, exec, s[42:43]
	s_and_saveexec_b64 s[42:43], s[40:41]
	s_cbranch_execz .LBB23_824
.LBB23_823:
	v_lshlrev_b32_e32 v5, 24, v4
	v_and_b32_e32 v4, 0xffff, v4
	v_and_b32_e32 v6, 7, v4
	v_ffbh_u32_e32 v8, v6
	v_min_u32_e32 v8, 32, v8
	v_subrev_u32_e32 v9, 28, v8
	v_bfe_u32 v7, v4, 3, 4
	v_lshlrev_b32_e32 v4, v9, v4
	v_sub_u32_e32 v8, 29, v8
	v_and_b32_e32 v4, 7, v4
	v_cmp_eq_u32_e32 vcc, 0, v7
	v_cndmask_b32_e32 v7, v7, v8, vcc
	v_cndmask_b32_e32 v4, v6, v4, vcc
	v_mov_b32_e32 v6, 0x3b800000
	v_lshlrev_b32_e32 v4, 20, v4
	v_and_b32_e32 v5, 0x80000000, v5
	v_lshl_add_u32 v6, v7, 23, v6
	v_or3_b32 v4, v5, v6, v4
	v_cvt_f16_f32_e32 v5, v4
.LBB23_824:
	s_or_b64 exec, exec, s[42:43]
.LBB23_825:
	s_mov_b64 s[40:41], -1
.LBB23_826:
	s_mov_b64 s[42:43], 0
.LBB23_827:
	s_and_b64 vcc, exec, s[42:43]
	s_cbranch_vccz .LBB23_860
; %bb.828:
	v_cmp_lt_i16_e32 vcc, 22, v3
	s_cbranch_vccz .LBB23_838
; %bb.829:
	v_cmp_gt_i16_e32 vcc, 24, v3
	s_cbranch_vccnz .LBB23_841
; %bb.830:
	v_cmp_lt_i16_e32 vcc, 24, v3
	s_cbranch_vccz .LBB23_842
; %bb.831:
	global_load_ubyte v4, v[0:1], off
	s_movk_i32 s38, 0x7f
                                        ; implicit-def: $sgpr44
	s_waitcnt vmcnt(0)
	v_cmp_lt_i16_e32 vcc, s38, v4
	s_mov_b64 s[38:39], 0
	s_and_saveexec_b64 s[40:41], vcc
	s_xor_b64 s[40:41], exec, s[40:41]
	s_cbranch_execz .LBB23_854
; %bb.832:
	s_movk_i32 s38, 0x80
	v_cmp_eq_u16_e32 vcc, s38, v4
	s_mov_b64 s[38:39], -1
                                        ; implicit-def: $sgpr44
	s_and_saveexec_b64 s[42:43], vcc
; %bb.833:
	s_movk_i32 s44, 0x7e00
	s_xor_b64 s[38:39], exec, -1
; %bb.834:
	s_or_b64 exec, exec, s[42:43]
	s_and_b64 s[38:39], s[38:39], exec
	s_or_saveexec_b64 s[40:41], s[40:41]
	v_mov_b32_e32 v5, s44
	s_xor_b64 exec, exec, s[40:41]
	s_cbranch_execnz .LBB23_855
.LBB23_835:
	s_or_b64 exec, exec, s[40:41]
	s_and_saveexec_b64 s[40:41], s[38:39]
	s_cbranch_execz .LBB23_837
.LBB23_836:
	v_lshlrev_b32_e32 v5, 24, v4
	v_and_b32_e32 v4, 0xffff, v4
	v_and_b32_e32 v6, 3, v4
	v_ffbh_u32_e32 v8, v6
	v_min_u32_e32 v8, 32, v8
	v_subrev_u32_e32 v9, 29, v8
	v_bfe_u32 v7, v4, 2, 5
	v_lshlrev_b32_e32 v4, v9, v4
	v_sub_u32_e32 v8, 30, v8
	v_and_b32_e32 v4, 3, v4
	v_cmp_eq_u32_e32 vcc, 0, v7
	v_cndmask_b32_e32 v7, v7, v8, vcc
	v_cndmask_b32_e32 v4, v6, v4, vcc
	v_mov_b32_e32 v6, 0x37800000
	v_lshlrev_b32_e32 v4, 21, v4
	v_and_b32_e32 v5, 0x80000000, v5
	v_lshl_add_u32 v6, v7, 23, v6
	v_or3_b32 v4, v5, v6, v4
	v_cvt_f16_f32_e32 v5, v4
.LBB23_837:
	s_or_b64 exec, exec, s[40:41]
	s_mov_b64 s[38:39], 0
	s_branch .LBB23_843
.LBB23_838:
	s_mov_b64 s[38:39], -1
                                        ; implicit-def: $vgpr5
	s_branch .LBB23_849
.LBB23_839:
	s_or_saveexec_b64 s[42:43], s[42:43]
	v_mov_b32_e32 v5, s46
	s_xor_b64 exec, exec, s[42:43]
	s_cbranch_execz .LBB23_822
.LBB23_840:
	v_cmp_ne_u16_e32 vcc, 0, v4
	s_andn2_b64 s[40:41], s[40:41], exec
	s_and_b64 s[44:45], vcc, exec
	s_or_b64 s[40:41], s[40:41], s[44:45]
	v_mov_b32_e32 v5, v4
	s_or_b64 exec, exec, s[42:43]
	s_and_saveexec_b64 s[42:43], s[40:41]
	s_cbranch_execnz .LBB23_823
	s_branch .LBB23_824
.LBB23_841:
	s_mov_b64 s[38:39], -1
                                        ; implicit-def: $vgpr5
	s_branch .LBB23_846
.LBB23_842:
	s_mov_b64 s[38:39], -1
                                        ; implicit-def: $vgpr5
.LBB23_843:
	s_and_b64 vcc, exec, s[38:39]
	s_cbranch_vccz .LBB23_845
; %bb.844:
	global_load_ubyte v4, v[0:1], off
	s_mov_b32 s38, 0x7f800000
	s_waitcnt vmcnt(0)
	v_lshlrev_b32_e32 v4, 24, v4
	v_and_b32_e32 v5, 0x7f000000, v4
	v_ffbh_u32_e32 v6, v5
	v_min_u32_e32 v6, 32, v6
	v_sub_u32_e64 v6, v6, 4 clamp
	v_lshlrev_b32_e32 v8, v6, v5
	v_lshlrev_b32_e32 v6, 23, v6
	v_lshrrev_b32_e32 v8, 4, v8
	v_add_u32_e32 v7, 0x1000000, v5
	v_sub_u32_e32 v6, v8, v6
	v_ashrrev_i32_e32 v7, 8, v7
	v_add_u32_e32 v6, 0x3c000000, v6
	v_and_or_b32 v6, v7, s38, v6
	v_cmp_ne_u32_e32 vcc, 0, v5
	v_cndmask_b32_e32 v5, 0, v6, vcc
	s_brev_b32 s38, 1
	v_and_or_b32 v4, v4, s38, v5
	v_cvt_f16_f32_e32 v5, v4
.LBB23_845:
	s_mov_b64 s[38:39], 0
.LBB23_846:
	s_andn2_b64 vcc, exec, s[38:39]
	s_cbranch_vccnz .LBB23_848
; %bb.847:
	global_load_ubyte v4, v[0:1], off
	s_movk_i32 s38, 0x7f00
	s_brev_b32 s39, 16
	s_waitcnt vmcnt(0)
	v_lshlrev_b16_e32 v5, 8, v4
	v_lshlrev_b32_e32 v4, 25, v4
	v_lshrrev_b32_e32 v6, 4, v4
	v_and_or_b32 v7, v5, s38, 0.5
	v_or_b32_e32 v6, 0x70000000, v6
	v_add_f32_e32 v7, -0.5, v7
	v_mul_f32_e32 v6, 0x7800000, v6
	v_cmp_gt_u32_e32 vcc, s39, v4
	v_bfe_i32 v5, v5, 0, 16
	v_cndmask_b32_e32 v4, v6, v7, vcc
	s_brev_b32 s38, 1
	v_and_or_b32 v4, v5, s38, v4
	v_cvt_f16_f32_e32 v5, v4
.LBB23_848:
	s_mov_b64 s[38:39], 0
	s_mov_b64 s[40:41], -1
.LBB23_849:
	s_andn2_b64 vcc, exec, s[38:39]
	s_mov_b64 s[38:39], 0
	s_cbranch_vccnz .LBB23_860
; %bb.850:
	v_cmp_lt_i16_e32 vcc, 14, v3
	s_cbranch_vccz .LBB23_853
; %bb.851:
	v_cmp_eq_u16_e32 vcc, 15, v3
	s_cbranch_vccz .LBB23_856
; %bb.852:
	global_load_ushort v4, v[0:1], off
	s_mov_b64 s[36:37], 0
	s_mov_b64 s[40:41], -1
	s_waitcnt vmcnt(0)
	v_lshlrev_b32_e32 v4, 16, v4
	v_cvt_f16_f32_e32 v5, v4
	s_branch .LBB23_857
.LBB23_853:
	s_mov_b64 s[42:43], -1
                                        ; implicit-def: $vgpr5
	s_branch .LBB23_858
.LBB23_854:
	s_or_saveexec_b64 s[40:41], s[40:41]
	v_mov_b32_e32 v5, s44
	s_xor_b64 exec, exec, s[40:41]
	s_cbranch_execz .LBB23_835
.LBB23_855:
	v_cmp_ne_u16_e32 vcc, 0, v4
	s_andn2_b64 s[38:39], s[38:39], exec
	s_and_b64 s[42:43], vcc, exec
	s_or_b64 s[38:39], s[38:39], s[42:43]
	v_mov_b32_e32 v5, v4
	s_or_b64 exec, exec, s[40:41]
	s_and_saveexec_b64 s[40:41], s[38:39]
	s_cbranch_execnz .LBB23_836
	s_branch .LBB23_837
.LBB23_856:
	s_mov_b64 s[36:37], -1
                                        ; implicit-def: $vgpr5
.LBB23_857:
	s_mov_b64 s[42:43], 0
.LBB23_858:
	s_and_b64 vcc, exec, s[42:43]
	s_cbranch_vccz .LBB23_860
; %bb.859:
	v_cmp_ne_u16_e32 vcc, 11, v3
	s_andn2_b64 s[36:37], s[36:37], exec
	s_and_b64 s[42:43], vcc, exec
	s_mov_b64 s[38:39], -1
	s_or_b64 s[36:37], s[36:37], s[42:43]
                                        ; implicit-def: $vgpr5
.LBB23_860:
	s_mov_b64 s[42:43], 0
.LBB23_861:
	s_and_b64 s[44:45], s[42:43], exec
	s_andn2_b64 s[42:43], s[0:1], exec
	s_and_b64 s[36:37], s[36:37], exec
	s_and_b64 s[40:41], s[40:41], exec
	;; [unrolled: 1-line block ×3, first 2 shown]
	s_or_b64 s[42:43], s[42:43], s[36:37]
.LBB23_862:
	s_or_b64 exec, exec, s[30:31]
	s_and_b64 s[36:37], s[38:39], exec
	s_andn2_b64 s[0:1], s[0:1], exec
	s_and_b64 s[38:39], s[42:43], exec
	s_and_b64 s[40:41], s[40:41], exec
	;; [unrolled: 1-line block ×3, first 2 shown]
	s_or_b64 s[0:1], s[0:1], s[38:39]
.LBB23_863:
	s_or_b64 exec, exec, s[28:29]
	s_andn2_b64 s[24:25], s[24:25], exec
	s_and_b64 s[28:29], s[34:35], exec
	s_andn2_b64 s[22:23], s[22:23], exec
	s_and_b64 s[0:1], s[0:1], exec
	s_or_b64 s[24:25], s[24:25], s[28:29]
	s_and_b64 s[34:35], s[40:41], exec
	s_and_b64 s[30:31], s[30:31], exec
	;; [unrolled: 1-line block ×3, first 2 shown]
	s_or_b64 s[22:23], s[22:23], s[0:1]
.LBB23_864:
	s_or_b64 exec, exec, s[26:27]
	s_andn2_b64 s[0:1], s[16:17], exec
	s_and_b64 s[16:17], s[24:25], exec
	s_andn2_b64 s[18:19], s[18:19], exec
	s_and_b64 s[22:23], s[22:23], exec
	s_or_b64 s[16:17], s[0:1], s[16:17]
	s_and_b64 s[0:1], s[34:35], exec
	s_and_b64 s[26:27], s[30:31], exec
	;; [unrolled: 1-line block ×3, first 2 shown]
	s_or_b64 s[18:19], s[18:19], s[22:23]
	s_or_b64 exec, exec, s[20:21]
	s_mov_b64 s[20:21], 0
	s_and_saveexec_b64 s[22:23], s[18:19]
	s_cbranch_execz .LBB23_264
.LBB23_865:
	s_mov_b64 s[20:21], exec
	s_andn2_b64 s[24:25], s[24:25], exec
	s_trap 2
                                        ; implicit-def: $vgpr5
	s_or_b64 exec, exec, s[22:23]
	s_and_saveexec_b64 s[18:19], s[24:25]
	s_xor_b64 s[18:19], exec, s[18:19]
	s_cbranch_execnz .LBB23_265
.LBB23_866:
	s_or_b64 exec, exec, s[18:19]
	s_and_saveexec_b64 s[18:19], s[26:27]
	s_cbranch_execz .LBB23_912
.LBB23_867:
	v_cmp_gt_i16_e32 vcc, 5, v3
	s_cbranch_vccnz .LBB23_872
; %bb.868:
	v_cmp_gt_i16_e32 vcc, 8, v3
	s_cbranch_vccnz .LBB23_873
; %bb.869:
	;; [unrolled: 3-line block ×3, first 2 shown]
	v_cmp_lt_i16_e32 vcc, 9, v3
	s_cbranch_vccz .LBB23_875
; %bb.871:
	global_load_dwordx2 v[4:5], v[0:1], off
	s_mov_b64 s[22:23], 0
	s_waitcnt vmcnt(0)
	v_cvt_f32_f64_e32 v4, v[4:5]
	v_cvt_f16_f32_e32 v5, v4
	s_branch .LBB23_876
.LBB23_872:
                                        ; implicit-def: $vgpr5
	s_branch .LBB23_893
.LBB23_873:
                                        ; implicit-def: $vgpr5
	s_branch .LBB23_882
.LBB23_874:
	s_mov_b64 s[22:23], -1
                                        ; implicit-def: $vgpr5
	s_branch .LBB23_879
.LBB23_875:
	s_mov_b64 s[22:23], -1
                                        ; implicit-def: $vgpr5
.LBB23_876:
	s_andn2_b64 vcc, exec, s[22:23]
	s_cbranch_vccnz .LBB23_878
; %bb.877:
	global_load_dword v4, v[0:1], off
	s_waitcnt vmcnt(0)
	v_cvt_f16_f32_e32 v5, v4
.LBB23_878:
	s_mov_b64 s[22:23], 0
.LBB23_879:
	s_andn2_b64 vcc, exec, s[22:23]
	s_cbranch_vccnz .LBB23_881
; %bb.880:
	global_load_dword v5, v[0:1], off
.LBB23_881:
	s_cbranch_execnz .LBB23_892
.LBB23_882:
	v_cmp_gt_i16_e32 vcc, 6, v3
	s_cbranch_vccnz .LBB23_885
; %bb.883:
	v_cmp_lt_i16_e32 vcc, 6, v3
	s_cbranch_vccz .LBB23_886
; %bb.884:
	global_load_dwordx2 v[4:5], v[0:1], off
	s_mov_b64 s[22:23], 0
	s_waitcnt vmcnt(0)
	v_cvt_f32_f64_e32 v4, v[4:5]
	v_cvt_f16_f32_e32 v5, v4
	s_branch .LBB23_887
.LBB23_885:
	s_mov_b64 s[22:23], -1
                                        ; implicit-def: $vgpr5
	s_branch .LBB23_890
.LBB23_886:
	s_mov_b64 s[22:23], -1
                                        ; implicit-def: $vgpr5
.LBB23_887:
	s_andn2_b64 vcc, exec, s[22:23]
	s_cbranch_vccnz .LBB23_889
; %bb.888:
	global_load_dword v4, v[0:1], off
	s_waitcnt vmcnt(0)
	v_cvt_f16_f32_e32 v5, v4
.LBB23_889:
	s_mov_b64 s[22:23], 0
.LBB23_890:
	s_andn2_b64 vcc, exec, s[22:23]
	s_cbranch_vccnz .LBB23_892
; %bb.891:
	global_load_ushort v5, v[0:1], off
.LBB23_892:
	s_cbranch_execnz .LBB23_911
.LBB23_893:
	v_cmp_gt_i16_e32 vcc, 2, v3
	s_cbranch_vccnz .LBB23_897
; %bb.894:
	v_cmp_gt_i16_e32 vcc, 3, v3
	s_cbranch_vccnz .LBB23_898
; %bb.895:
	v_cmp_lt_i16_e32 vcc, 3, v3
	s_cbranch_vccz .LBB23_899
; %bb.896:
	global_load_dwordx2 v[4:5], v[0:1], off
	s_mov_b64 s[22:23], 0
	s_waitcnt vmcnt(0)
	v_xor_b32_e32 v7, v4, v5
	v_ffbh_i32_e32 v6, v5
	v_ashrrev_i32_e32 v7, 31, v7
	v_add_u32_e32 v6, -1, v6
	v_add_u32_e32 v7, 32, v7
	v_min_u32_e32 v6, v6, v7
	v_lshlrev_b64 v[4:5], v6, v[4:5]
	v_min_u32_e32 v4, 1, v4
	v_or_b32_e32 v4, v5, v4
	v_cvt_f32_i32_e32 v4, v4
	v_sub_u32_e32 v5, 32, v6
	v_ldexp_f32 v4, v4, v5
	v_cvt_f16_f32_e32 v5, v4
	s_branch .LBB23_900
.LBB23_897:
                                        ; implicit-def: $vgpr5
	s_branch .LBB23_906
.LBB23_898:
	s_mov_b64 s[22:23], -1
                                        ; implicit-def: $vgpr5
	s_branch .LBB23_903
.LBB23_899:
	s_mov_b64 s[22:23], -1
                                        ; implicit-def: $vgpr5
.LBB23_900:
	s_andn2_b64 vcc, exec, s[22:23]
	s_cbranch_vccnz .LBB23_902
; %bb.901:
	global_load_dword v4, v[0:1], off
	s_waitcnt vmcnt(0)
	v_cvt_f32_i32_e32 v4, v4
	v_cvt_f16_f32_e32 v5, v4
.LBB23_902:
	s_mov_b64 s[22:23], 0
.LBB23_903:
	s_andn2_b64 vcc, exec, s[22:23]
	s_cbranch_vccnz .LBB23_905
; %bb.904:
	global_load_ushort v4, v[0:1], off
	s_waitcnt vmcnt(0)
	v_cvt_f16_i16_e32 v5, v4
.LBB23_905:
	s_cbranch_execnz .LBB23_911
.LBB23_906:
	v_cmp_lt_i16_e32 vcc, 0, v3
	s_cbranch_vccz .LBB23_908
; %bb.907:
	global_load_sbyte v3, v[0:1], off
	s_mov_b64 s[22:23], 0
	s_waitcnt vmcnt(0)
	v_cvt_f16_i16_e32 v5, v3
	s_branch .LBB23_909
.LBB23_908:
	s_mov_b64 s[22:23], -1
                                        ; implicit-def: $vgpr5
.LBB23_909:
	s_andn2_b64 vcc, exec, s[22:23]
	s_cbranch_vccnz .LBB23_911
; %bb.910:
	global_load_ubyte v0, v[0:1], off
	s_waitcnt vmcnt(0)
	v_cvt_f16_u16_e32 v5, v0
.LBB23_911:
	s_or_b64 s[0:1], s[0:1], exec
.LBB23_912:
	s_or_b64 exec, exec, s[18:19]
	s_mov_b64 s[24:25], 0
	s_mov_b64 s[22:23], 0
                                        ; implicit-def: $vgpr4
                                        ; implicit-def: $vgpr0_vgpr1
                                        ; implicit-def: $vgpr3
	s_and_saveexec_b64 s[18:19], s[0:1]
	s_cbranch_execz .LBB23_932
; %bb.913:
	s_waitcnt vmcnt(0)
	v_cvt_f32_f16_e32 v3, v5
	s_mov_b32 s0, 0x7f800000
	v_cmp_nlg_f32_e64 s[22:23], |v3|, s0
	s_and_saveexec_b64 s[0:1], s[22:23]
	s_cbranch_execz .LBB23_915
; %bb.914:
	v_mov_b32_e32 v0, 0
	v_mov_b32_e32 v1, 1.0
	global_store_dword v0, v1, s[12:13]
.LBB23_915:
	s_or_b64 exec, exec, s[0:1]
	v_mov_b32_e32 v0, 0
	global_load_dword v6, v0, s[14:15]
	v_mul_lo_u32 v0, v2, s2
	v_mov_b32_e32 v1, s9
	v_mov_b32_e32 v2, 0xff
	v_ashrrev_i32_e32 v7, 31, v0
	v_add_co_u32_e32 v0, vcc, s8, v0
	v_and_b32_e32 v4, s33, v2
	v_addc_co_u32_e32 v1, vcc, v1, v7, vcc
	v_cmp_gt_i16_e32 vcc, 11, v4
	s_and_b64 vcc, exec, vcc
	s_waitcnt vmcnt(0)
	v_fma_mixlo_f16 v2, v6, v3, 0
	v_cmp_eq_f32_e64 s[0:1], 1.0, v6
	v_cndmask_b32_e64 v3, v2, v5, s[0:1]
	s_cbranch_vccnz .LBB23_935
; %bb.916:
	v_cmp_lt_i16_e32 vcc, 25, v4
	s_mov_b64 s[24:25], -1
	s_mov_b64 s[0:1], s[16:17]
	s_cbranch_vccz .LBB23_953
; %bb.917:
	v_cmp_lt_i16_e32 vcc, 28, v4
	s_mov_b64 s[22:23], -1
	s_mov_b64 s[0:1], s[16:17]
	s_cbranch_vccz .LBB23_937
; %bb.918:
	v_cmp_lt_i16_e32 vcc, 43, v4
	s_mov_b64 s[0:1], s[16:17]
	s_cbranch_vccz .LBB23_929
; %bb.919:
	v_cmp_lt_i16_e32 vcc, 45, v4
	s_mov_b64 s[0:1], s[16:17]
	s_cbranch_vccz .LBB23_923
; %bb.920:
	v_cmp_eq_u16_e32 vcc, 46, v4
	s_mov_b64 s[0:1], -1
	s_cbranch_vccz .LBB23_922
; %bb.921:
	v_cvt_f32_f16_e32 v2, v3
	s_movk_i32 s0, 0x7fff
	v_mov_b32_e32 v5, 0x7fc0
	v_cmp_o_f16_e32 vcc, v3, v3
	v_bfe_u32 v6, v2, 16, 1
	v_add3_u32 v2, v2, v6, s0
	v_lshrrev_b32_e32 v2, 16, v2
	v_cndmask_b32_e32 v2, v5, v2, vcc
	global_store_dword v[0:1], v2, off
	s_mov_b64 s[0:1], 0
.LBB23_922:
	s_mov_b64 s[22:23], 0
.LBB23_923:
	s_and_b64 vcc, exec, s[22:23]
	s_cbranch_vccz .LBB23_928
; %bb.924:
	v_cmp_eq_u16_e32 vcc, 44, v4
	s_mov_b64 s[0:1], -1
	s_cbranch_vccz .LBB23_928
; %bb.925:
	v_cvt_f32_f16_e32 v2, v3
	s_movk_i32 s0, 0xff
	v_mov_b32_e32 v6, 0xff
	v_bfe_u32 v5, v2, 23, 8
	v_cmp_ne_u32_e32 vcc, s0, v5
	s_and_saveexec_b64 s[22:23], vcc
; %bb.926:
	s_mov_b32 s0, 0x3fffff
	v_lshrrev_b32_e32 v6, 23, v2
	v_and_b32_e32 v7, 0x400000, v2
	v_and_or_b32 v2, v2, s0, v5
	v_cmp_ne_u32_e32 vcc, 0, v7
	v_cmp_ne_u32_e64 s[0:1], 0, v2
	s_and_b64 s[0:1], vcc, s[0:1]
	v_cndmask_b32_e64 v2, 0, 1, s[0:1]
	v_add_u32_e32 v6, v6, v2
; %bb.927:
	s_or_b64 exec, exec, s[22:23]
	s_mov_b64 s[0:1], 0
	global_store_byte v[0:1], v6, off
.LBB23_928:
	s_mov_b64 s[22:23], 0
.LBB23_929:
	s_and_b64 vcc, exec, s[22:23]
	s_cbranch_vccz .LBB23_936
; %bb.930:
	v_cmp_eq_u16_e32 vcc, 29, v4
	s_mov_b64 s[0:1], -1
	s_cbranch_vccz .LBB23_936
; %bb.931:
	v_cvt_f32_f16_e32 v2, v3
	v_mov_b32_e32 v7, 0
	s_mov_b64 s[0:1], 0
	s_mov_b64 s[22:23], 0
	v_cvt_u32_f32_e32 v6, v2
	global_store_dwordx2 v[0:1], v[6:7], off
	s_branch .LBB23_937
.LBB23_932:
	s_or_b64 exec, exec, s[18:19]
	s_and_saveexec_b64 s[0:1], s[16:17]
	s_cbranch_execnz .LBB23_995
.LBB23_933:
	s_or_b64 exec, exec, s[0:1]
	s_and_saveexec_b64 s[0:1], s[24:25]
	s_xor_b64 s[0:1], exec, s[0:1]
	s_cbranch_execz .LBB23_996
.LBB23_934:
	v_cmp_neq_f16_e32 vcc, 0, v3
	v_cndmask_b32_e64 v2, 0, 1, vcc
	global_store_byte v[0:1], v2, off
	s_or_b64 exec, exec, s[0:1]
	s_and_saveexec_b64 s[0:1], s[22:23]
	s_xor_b64 s[0:1], exec, s[0:1]
	s_cbranch_execz .LBB23_1034
	s_branch .LBB23_997
.LBB23_935:
	s_mov_b64 s[22:23], -1
	s_mov_b64 s[0:1], s[16:17]
	s_branch .LBB23_994
.LBB23_936:
	s_mov_b64 s[22:23], 0
.LBB23_937:
	s_and_b64 vcc, exec, s[22:23]
	s_cbranch_vccz .LBB23_952
; %bb.938:
	v_cmp_gt_i16_e32 vcc, 27, v4
	s_mov_b64 s[22:23], -1
	s_cbranch_vccnz .LBB23_944
; %bb.939:
	v_cmp_lt_i16_e32 vcc, 27, v4
	s_cbranch_vccz .LBB23_941
; %bb.940:
	v_cvt_f32_f16_e32 v2, v3
	s_mov_b64 s[22:23], 0
	v_cvt_u32_f32_e32 v2, v2
	global_store_dword v[0:1], v2, off
.LBB23_941:
	s_andn2_b64 vcc, exec, s[22:23]
	s_cbranch_vccnz .LBB23_943
; %bb.942:
	v_cvt_u16_f16_e32 v2, v3
	global_store_short v[0:1], v2, off
.LBB23_943:
	s_mov_b64 s[22:23], 0
.LBB23_944:
	s_andn2_b64 vcc, exec, s[22:23]
	s_cbranch_vccnz .LBB23_952
; %bb.945:
	v_cvt_f32_f16_e32 v2, v3
	s_mov_b32 s22, 0x43800000
	v_mov_b32_e32 v6, 0x80
	v_and_b32_e32 v5, 0x7fffffff, v2
	v_cmp_gt_u32_e32 vcc, s22, v5
	s_and_saveexec_b64 s[22:23], vcc
	s_cbranch_execz .LBB23_951
; %bb.946:
	s_mov_b32 s24, 0x3bffffff
	v_cmp_lt_u32_e32 vcc, s24, v5
	s_mov_b64 s[24:25], 0
                                        ; implicit-def: $vgpr5
	s_and_saveexec_b64 s[26:27], vcc
	s_xor_b64 s[26:27], exec, s[26:27]
	s_cbranch_execz .LBB23_1049
; %bb.947:
	v_bfe_u32 v5, v2, 20, 1
	s_mov_b32 s28, 0x487ffff
	v_add3_u32 v5, v2, v5, s28
	s_mov_b64 s[24:25], exec
	v_lshrrev_b32_e32 v5, 20, v5
	s_or_saveexec_b64 s[26:27], s[26:27]
                                        ; implicit-def: $sgpr28
	s_xor_b64 exec, exec, s[26:27]
	s_cbranch_execnz .LBB23_1050
.LBB23_948:
	s_or_b64 exec, exec, s[26:27]
	v_mov_b32_e32 v6, s28
	s_and_saveexec_b64 s[26:27], s[24:25]
.LBB23_949:
	v_lshrrev_b32_e32 v2, 24, v2
	s_movk_i32 s24, 0x80
	v_and_or_b32 v6, v2, s24, v5
.LBB23_950:
	s_or_b64 exec, exec, s[26:27]
.LBB23_951:
	s_or_b64 exec, exec, s[22:23]
	global_store_byte v[0:1], v6, off
.LBB23_952:
	s_mov_b64 s[24:25], 0
.LBB23_953:
	s_mov_b64 s[22:23], 0
	s_and_b64 vcc, exec, s[24:25]
	s_cbranch_vccz .LBB23_993
; %bb.954:
	v_cmp_lt_i16_e32 vcc, 22, v4
	s_mov_b64 s[24:25], -1
	s_cbranch_vccz .LBB23_986
; %bb.955:
	v_cmp_gt_i16_e32 vcc, 24, v4
	s_cbranch_vccnz .LBB23_975
; %bb.956:
	v_cmp_lt_i16_e32 vcc, 24, v4
	s_cbranch_vccz .LBB23_964
; %bb.957:
	v_cvt_f32_f16_e32 v2, v3
	s_mov_b32 s24, 0x47800000
	v_mov_b32_e32 v6, 0x80
	v_and_b32_e32 v5, 0x7fffffff, v2
	v_cmp_gt_u32_e32 vcc, s24, v5
	s_and_saveexec_b64 s[24:25], vcc
	s_cbranch_execz .LBB23_963
; %bb.958:
	s_mov_b32 s26, 0x37ffffff
	v_cmp_lt_u32_e32 vcc, s26, v5
	s_mov_b64 s[26:27], 0
                                        ; implicit-def: $vgpr5
	s_and_saveexec_b64 s[28:29], vcc
	s_xor_b64 s[28:29], exec, s[28:29]
	s_cbranch_execz .LBB23_1176
; %bb.959:
	v_bfe_u32 v5, v2, 21, 1
	s_mov_b32 s30, 0x88fffff
	v_add3_u32 v5, v2, v5, s30
	s_mov_b64 s[26:27], exec
	v_lshrrev_b32_e32 v5, 21, v5
	s_or_saveexec_b64 s[28:29], s[28:29]
                                        ; implicit-def: $sgpr30
	s_xor_b64 exec, exec, s[28:29]
	s_cbranch_execnz .LBB23_1177
.LBB23_960:
	s_or_b64 exec, exec, s[28:29]
	v_mov_b32_e32 v6, s30
	s_and_saveexec_b64 s[28:29], s[26:27]
.LBB23_961:
	v_lshrrev_b32_e32 v2, 24, v2
	s_movk_i32 s26, 0x80
	v_and_or_b32 v6, v2, s26, v5
.LBB23_962:
	s_or_b64 exec, exec, s[28:29]
.LBB23_963:
	s_or_b64 exec, exec, s[24:25]
	s_mov_b64 s[24:25], 0
	global_store_byte v[0:1], v6, off
.LBB23_964:
	s_and_b64 vcc, exec, s[24:25]
	s_cbranch_vccz .LBB23_974
; %bb.965:
	v_cvt_f32_f16_e32 v2, v3
	s_mov_b32 s24, 0x43f00000
                                        ; implicit-def: $vgpr5
	v_and_b32_e32 v6, 0x7fffffff, v2
	v_cmp_gt_u32_e32 vcc, s24, v6
	s_and_saveexec_b64 s[24:25], vcc
	s_xor_b64 s[24:25], exec, s[24:25]
	s_cbranch_execz .LBB23_971
; %bb.966:
	s_mov_b32 s26, 0x3c7fffff
	v_cmp_lt_u32_e32 vcc, s26, v6
                                        ; implicit-def: $vgpr5
	s_and_saveexec_b64 s[26:27], vcc
	s_xor_b64 s[26:27], exec, s[26:27]
; %bb.967:
	v_bfe_u32 v5, v2, 20, 1
	s_mov_b32 s28, 0x407ffff
	v_add3_u32 v5, v2, v5, s28
	v_lshrrev_b32_e32 v6, 20, v5
	v_and_b32_e32 v5, 0xff00000, v5
	s_mov_b32 s28, 0x7f00000
	v_mov_b32_e32 v7, 0x7e
	v_cmp_ne_u32_e32 vcc, s28, v5
	v_cndmask_b32_e32 v5, v7, v6, vcc
; %bb.968:
	s_andn2_saveexec_b64 s[26:27], s[26:27]
; %bb.969:
	s_mov_b32 s28, 0x46800000
	v_add_f32_e64 v5, |v2|, s28
; %bb.970:
	s_or_b64 exec, exec, s[26:27]
                                        ; implicit-def: $vgpr6
.LBB23_971:
	s_andn2_saveexec_b64 s[24:25], s[24:25]
; %bb.972:
	s_mov_b32 s26, 0x7f800000
	v_mov_b32_e32 v5, 0x7e
	v_mov_b32_e32 v7, 0x7f
	v_cmp_lt_u32_e32 vcc, s26, v6
	v_cndmask_b32_e32 v5, v5, v7, vcc
; %bb.973:
	s_or_b64 exec, exec, s[24:25]
	v_lshrrev_b32_e32 v2, 24, v2
	s_movk_i32 s24, 0x80
	v_and_or_b32 v2, v2, s24, v5
	global_store_byte v[0:1], v2, off
.LBB23_974:
	s_mov_b64 s[24:25], 0
.LBB23_975:
	s_andn2_b64 vcc, exec, s[24:25]
	s_cbranch_vccnz .LBB23_985
; %bb.976:
	v_cvt_f32_f16_e32 v2, v3
	s_mov_b32 s24, 0x47800000
                                        ; implicit-def: $vgpr5
	v_and_b32_e32 v6, 0x7fffffff, v2
	v_cmp_gt_u32_e32 vcc, s24, v6
	s_and_saveexec_b64 s[24:25], vcc
	s_xor_b64 s[24:25], exec, s[24:25]
	s_cbranch_execz .LBB23_982
; %bb.977:
	s_mov_b32 s26, 0x387fffff
	v_cmp_lt_u32_e32 vcc, s26, v6
                                        ; implicit-def: $vgpr5
	s_and_saveexec_b64 s[26:27], vcc
	s_xor_b64 s[26:27], exec, s[26:27]
; %bb.978:
	v_bfe_u32 v5, v2, 21, 1
	s_mov_b32 s28, 0x80fffff
	v_add3_u32 v5, v2, v5, s28
	v_lshrrev_b32_e32 v5, 21, v5
; %bb.979:
	s_andn2_saveexec_b64 s[26:27], s[26:27]
; %bb.980:
	s_mov_b32 s28, 0x43000000
	v_add_f32_e64 v5, |v2|, s28
; %bb.981:
	s_or_b64 exec, exec, s[26:27]
                                        ; implicit-def: $vgpr6
.LBB23_982:
	s_andn2_saveexec_b64 s[24:25], s[24:25]
; %bb.983:
	s_mov_b32 s26, 0x7f800000
	v_mov_b32_e32 v5, 0x7c
	v_mov_b32_e32 v7, 0x7f
	v_cmp_lt_u32_e32 vcc, s26, v6
	v_cndmask_b32_e32 v5, v5, v7, vcc
; %bb.984:
	s_or_b64 exec, exec, s[24:25]
	v_lshrrev_b32_e32 v2, 24, v2
	s_movk_i32 s24, 0x80
	v_and_or_b32 v2, v2, s24, v5
	global_store_byte v[0:1], v2, off
.LBB23_985:
	s_mov_b64 s[24:25], 0
.LBB23_986:
	s_andn2_b64 vcc, exec, s[24:25]
	s_mov_b64 s[24:25], 0
	s_cbranch_vccnz .LBB23_994
; %bb.987:
	v_cmp_lt_i16_e32 vcc, 14, v4
	s_mov_b64 s[26:27], -1
	s_cbranch_vccz .LBB23_991
; %bb.988:
	v_cmp_eq_u16_e32 vcc, 15, v4
	s_mov_b64 s[0:1], -1
	s_cbranch_vccz .LBB23_990
; %bb.989:
	v_cvt_f32_f16_e32 v2, v3
	s_movk_i32 s0, 0x7fff
	v_mov_b32_e32 v5, 0x7fc0
	v_cmp_o_f16_e32 vcc, v3, v3
	v_bfe_u32 v6, v2, 16, 1
	v_add3_u32 v2, v2, v6, s0
	v_lshrrev_b32_e32 v2, 16, v2
	v_cndmask_b32_e32 v2, v5, v2, vcc
	global_store_short v[0:1], v2, off
	s_mov_b64 s[0:1], 0
.LBB23_990:
	s_mov_b64 s[26:27], 0
.LBB23_991:
	s_and_b64 vcc, exec, s[26:27]
	s_cbranch_vccz .LBB23_994
; %bb.992:
	v_cmp_ne_u16_e32 vcc, 11, v4
	s_andn2_b64 s[0:1], s[0:1], exec
	s_and_b64 s[26:27], vcc, exec
	s_mov_b64 s[24:25], -1
	s_or_b64 s[0:1], s[0:1], s[26:27]
	s_branch .LBB23_994
.LBB23_993:
	s_mov_b64 s[24:25], 0
.LBB23_994:
	s_andn2_b64 s[16:17], s[16:17], exec
	s_and_b64 s[0:1], s[0:1], exec
	s_and_b64 s[22:23], s[22:23], exec
	;; [unrolled: 1-line block ×3, first 2 shown]
	s_or_b64 s[16:17], s[16:17], s[0:1]
	s_or_b64 exec, exec, s[18:19]
	s_and_saveexec_b64 s[0:1], s[16:17]
	s_cbranch_execz .LBB23_933
.LBB23_995:
	s_or_b64 s[20:21], s[20:21], exec
	s_andn2_b64 s[24:25], s[24:25], exec
	s_trap 2
	s_or_b64 exec, exec, s[0:1]
	s_and_saveexec_b64 s[0:1], s[24:25]
	s_xor_b64 s[0:1], exec, s[0:1]
	s_cbranch_execnz .LBB23_934
.LBB23_996:
	s_or_b64 exec, exec, s[0:1]
	s_and_saveexec_b64 s[0:1], s[22:23]
	s_xor_b64 s[0:1], exec, s[0:1]
	s_cbranch_execz .LBB23_1034
.LBB23_997:
	s_waitcnt vmcnt(0)
	v_cmp_gt_i16_e32 vcc, 5, v4
	s_mov_b64 s[16:17], -1
	s_cbranch_vccnz .LBB23_1018
; %bb.998:
	v_cmp_gt_i16_e32 vcc, 8, v4
	s_cbranch_vccnz .LBB23_1008
; %bb.999:
	v_cmp_gt_i16_e32 vcc, 9, v4
	s_cbranch_vccnz .LBB23_1005
; %bb.1000:
	v_cmp_lt_i16_e32 vcc, 9, v4
	s_cbranch_vccz .LBB23_1002
; %bb.1001:
	v_cvt_f32_f16_e32 v2, v3
	v_mov_b32_e32 v8, 0
	v_mov_b32_e32 v9, v8
	s_mov_b64 s[16:17], 0
	v_cvt_f64_f32_e32 v[6:7], v2
	global_store_dwordx4 v[0:1], v[6:9], off
.LBB23_1002:
	s_andn2_b64 vcc, exec, s[16:17]
	s_cbranch_vccnz .LBB23_1004
; %bb.1003:
	v_cvt_f32_f16_e32 v6, v3
	v_mov_b32_e32 v7, 0
	global_store_dwordx2 v[0:1], v[6:7], off
.LBB23_1004:
	s_mov_b64 s[16:17], 0
.LBB23_1005:
	s_andn2_b64 vcc, exec, s[16:17]
	s_cbranch_vccnz .LBB23_1007
; %bb.1006:
	v_and_b32_e32 v2, 0xffff, v3
	global_store_dword v[0:1], v2, off
.LBB23_1007:
	s_mov_b64 s[16:17], 0
.LBB23_1008:
	s_andn2_b64 vcc, exec, s[16:17]
	s_cbranch_vccnz .LBB23_1017
; %bb.1009:
	v_cmp_gt_i16_e32 vcc, 6, v4
	s_mov_b64 s[16:17], -1
	s_cbranch_vccnz .LBB23_1015
; %bb.1010:
	v_cmp_lt_i16_e32 vcc, 6, v4
	s_cbranch_vccz .LBB23_1012
; %bb.1011:
	v_cvt_f32_f16_e32 v2, v3
	s_mov_b64 s[16:17], 0
	v_cvt_f64_f32_e32 v[6:7], v2
	global_store_dwordx2 v[0:1], v[6:7], off
.LBB23_1012:
	s_andn2_b64 vcc, exec, s[16:17]
	s_cbranch_vccnz .LBB23_1014
; %bb.1013:
	v_cvt_f32_f16_e32 v2, v3
	global_store_dword v[0:1], v2, off
.LBB23_1014:
	s_mov_b64 s[16:17], 0
.LBB23_1015:
	s_andn2_b64 vcc, exec, s[16:17]
	s_cbranch_vccnz .LBB23_1017
; %bb.1016:
	global_store_short v[0:1], v3, off
.LBB23_1017:
	s_mov_b64 s[16:17], 0
.LBB23_1018:
	s_andn2_b64 vcc, exec, s[16:17]
	s_cbranch_vccnz .LBB23_1034
; %bb.1019:
	v_cmp_gt_i16_e32 vcc, 2, v4
	s_mov_b64 s[16:17], -1
	s_cbranch_vccnz .LBB23_1029
; %bb.1020:
	v_cmp_gt_i16_e32 vcc, 3, v4
	s_cbranch_vccnz .LBB23_1026
; %bb.1021:
	v_cmp_lt_i16_e32 vcc, 3, v4
	s_cbranch_vccz .LBB23_1023
; %bb.1022:
	v_cvt_f32_f16_e32 v2, v3
	s_mov_b64 s[16:17], 0
	v_cvt_i32_f32_e32 v6, v2
	v_ashrrev_i32_e32 v7, 31, v6
	global_store_dwordx2 v[0:1], v[6:7], off
.LBB23_1023:
	s_andn2_b64 vcc, exec, s[16:17]
	s_cbranch_vccnz .LBB23_1025
; %bb.1024:
	v_cvt_f32_f16_e32 v2, v3
	v_cvt_i32_f32_e32 v2, v2
	global_store_dword v[0:1], v2, off
.LBB23_1025:
	s_mov_b64 s[16:17], 0
.LBB23_1026:
	s_andn2_b64 vcc, exec, s[16:17]
	s_cbranch_vccnz .LBB23_1028
; %bb.1027:
	v_cvt_i16_f16_e32 v2, v3
	global_store_short v[0:1], v2, off
.LBB23_1028:
	s_mov_b64 s[16:17], 0
.LBB23_1029:
	s_andn2_b64 vcc, exec, s[16:17]
	s_cbranch_vccnz .LBB23_1034
; %bb.1030:
	v_cmp_lt_i16_e32 vcc, 0, v4
	s_mov_b64 s[16:17], -1
	s_cbranch_vccz .LBB23_1032
; %bb.1031:
	v_cvt_i16_f16_e32 v2, v3
	s_mov_b64 s[16:17], 0
	global_store_byte v[0:1], v2, off
.LBB23_1032:
	s_andn2_b64 vcc, exec, s[16:17]
	s_cbranch_vccnz .LBB23_1034
; %bb.1033:
	v_cvt_f32_f16_e32 v2, v3
	v_cvt_i32_f32_e32 v2, v2
	global_store_byte v[0:1], v2, off
.LBB23_1034:
	s_or_b64 exec, exec, s[0:1]
	s_and_b64 s[16:17], s[20:21], exec
                                        ; implicit-def: $vgpr2
                                        ; implicit-def: $vgpr3
.LBB23_1035:
	s_or_saveexec_b64 s[6:7], s[6:7]
	s_mov_b64 s[0:1], 0
                                        ; implicit-def: $vgpr5
                                        ; implicit-def: $vgpr0_vgpr1
                                        ; implicit-def: $vgpr4
	s_xor_b64 exec, exec, s[6:7]
	s_cbranch_execz .LBB23_2011
; %bb.1036:
	s_waitcnt vmcnt(0)
	v_mul_lo_u32 v5, s3, v2
	v_ashrrev_i32_e32 v1, 31, v5
	v_mov_b32_e32 v4, s11
	v_add_co_u32_e32 v0, vcc, s10, v5
	v_addc_co_u32_e32 v1, vcc, v4, v1, vcc
	v_cmp_gt_i16_e64 s[0:1], 11, v3
	s_and_b64 vcc, exec, s[0:1]
	s_cbranch_vccnz .LBB23_1043
; %bb.1037:
	v_cmp_lt_i16_e32 vcc, 25, v3
	s_mov_b64 s[20:21], 0
	s_cbranch_vccz .LBB23_1045
; %bb.1038:
	v_cmp_lt_i16_e32 vcc, 28, v3
	s_cbranch_vccz .LBB23_1046
; %bb.1039:
	v_cmp_lt_i16_e32 vcc, 43, v3
	;; [unrolled: 3-line block ×3, first 2 shown]
	s_cbranch_vccz .LBB23_1048
; %bb.1041:
	v_cmp_eq_u16_e32 vcc, 46, v3
	s_mov_b64 s[18:19], 0
	s_cbranch_vccz .LBB23_1051
; %bb.1042:
	global_load_dword v4, v[0:1], off
	s_mov_b64 s[22:23], -1
	s_waitcnt vmcnt(0)
	v_lshlrev_b32_e32 v4, 16, v4
	v_cvt_f16_f32_e32 v4, v4
	s_branch .LBB23_1052
.LBB23_1043:
	s_mov_b64 s[22:23], 0
                                        ; implicit-def: $vgpr4
	s_mov_b64 s[18:19], s[16:17]
	s_cbranch_execnz .LBB23_1115
.LBB23_1044:
	s_andn2_b64 vcc, exec, s[22:23]
	s_cbranch_vccz .LBB23_1160
	s_branch .LBB23_2009
.LBB23_1045:
	s_mov_b64 s[22:23], 0
                                        ; implicit-def: $vgpr4
	s_cbranch_execnz .LBB23_1080
	s_branch .LBB23_1111
.LBB23_1046:
	s_mov_b64 s[18:19], -1
	s_mov_b64 s[22:23], 0
                                        ; implicit-def: $vgpr4
	s_branch .LBB23_1061
.LBB23_1047:
	s_mov_b64 s[22:23], 0
                                        ; implicit-def: $vgpr4
	s_cbranch_execnz .LBB23_1057
	s_branch .LBB23_1060
.LBB23_1048:
	s_mov_b64 s[18:19], -1
	s_mov_b64 s[22:23], 0
                                        ; implicit-def: $vgpr4
	s_branch .LBB23_1052
.LBB23_1049:
	s_or_saveexec_b64 s[26:27], s[26:27]
                                        ; implicit-def: $sgpr28
	s_xor_b64 exec, exec, s[26:27]
	s_cbranch_execz .LBB23_948
.LBB23_1050:
	s_mov_b32 s28, 0x46000000
	v_add_f32_e64 v5, |v2|, s28
	v_and_b32_e32 v5, 0xff, v5
	v_cmp_ne_u32_e32 vcc, 0, v5
	s_andn2_b64 s[24:25], s[24:25], exec
	s_and_b64 s[30:31], vcc, exec
	s_mov_b32 s28, 0
	s_or_b64 s[24:25], s[24:25], s[30:31]
	s_or_b64 exec, exec, s[26:27]
	v_mov_b32_e32 v6, s28
	s_and_saveexec_b64 s[26:27], s[24:25]
	s_cbranch_execnz .LBB23_949
	s_branch .LBB23_950
.LBB23_1051:
	s_mov_b64 s[4:5], -1
                                        ; implicit-def: $vgpr4
	s_mov_b64 s[22:23], 0
.LBB23_1052:
	s_and_b64 vcc, exec, s[18:19]
	s_cbranch_vccz .LBB23_1055
; %bb.1053:
	v_cmp_eq_u16_e32 vcc, 44, v3
	s_cbranch_vccz .LBB23_1056
; %bb.1054:
	global_load_ubyte v4, v[0:1], off
	s_movk_i32 s18, 0xff
	v_mov_b32_e32 v7, 0x7e00
	s_mov_b64 s[4:5], 0
	s_mov_b64 s[22:23], -1
	s_waitcnt vmcnt(0)
	v_lshlrev_b32_e32 v6, 23, v4
	v_cvt_f16_f32_e32 v6, v6
	v_cmp_ne_u32_e32 vcc, s18, v4
	v_cndmask_b32_e32 v6, v7, v6, vcc
	v_cmp_ne_u32_e32 vcc, 0, v4
	v_cndmask_b32_e32 v4, 0, v6, vcc
.LBB23_1055:
	s_branch .LBB23_1060
.LBB23_1056:
	s_mov_b64 s[4:5], -1
                                        ; implicit-def: $vgpr4
	s_branch .LBB23_1060
.LBB23_1057:
	v_cmp_eq_u16_e32 vcc, 29, v3
	s_cbranch_vccz .LBB23_1059
; %bb.1058:
	global_load_dwordx2 v[6:7], v[0:1], off
	s_mov_b64 s[4:5], 0
	s_mov_b64 s[22:23], -1
	s_mov_b64 s[18:19], 0
	s_waitcnt vmcnt(0)
	v_ffbh_u32_e32 v4, v7
	v_min_u32_e32 v4, 32, v4
	v_lshlrev_b64 v[6:7], v4, v[6:7]
	v_min_u32_e32 v6, 1, v6
	v_or_b32_e32 v6, v7, v6
	v_cvt_f32_u32_e32 v6, v6
	v_sub_u32_e32 v4, 32, v4
	v_ldexp_f32 v4, v6, v4
	v_cvt_f16_f32_e32 v4, v4
	s_branch .LBB23_1061
.LBB23_1059:
	s_mov_b64 s[4:5], -1
                                        ; implicit-def: $vgpr4
.LBB23_1060:
	s_mov_b64 s[18:19], 0
.LBB23_1061:
	s_and_b64 vcc, exec, s[18:19]
	s_cbranch_vccz .LBB23_1079
; %bb.1062:
	v_cmp_gt_i16_e32 vcc, 27, v3
	s_cbranch_vccnz .LBB23_1065
; %bb.1063:
	v_cmp_lt_i16_e32 vcc, 27, v3
	s_cbranch_vccz .LBB23_1066
; %bb.1064:
	global_load_dword v4, v[0:1], off
	s_mov_b64 s[18:19], 0
	s_waitcnt vmcnt(0)
	v_cvt_f32_u32_e32 v4, v4
	v_cvt_f16_f32_e32 v4, v4
	s_branch .LBB23_1067
.LBB23_1065:
	s_mov_b64 s[18:19], -1
                                        ; implicit-def: $vgpr4
	s_branch .LBB23_1070
.LBB23_1066:
	s_mov_b64 s[18:19], -1
                                        ; implicit-def: $vgpr4
.LBB23_1067:
	s_andn2_b64 vcc, exec, s[18:19]
	s_cbranch_vccnz .LBB23_1069
; %bb.1068:
	global_load_ushort v4, v[0:1], off
	s_waitcnt vmcnt(0)
	v_cvt_f16_u16_e32 v4, v4
.LBB23_1069:
	s_mov_b64 s[18:19], 0
.LBB23_1070:
	s_andn2_b64 vcc, exec, s[18:19]
	s_cbranch_vccnz .LBB23_1078
; %bb.1071:
	global_load_ubyte v6, v[0:1], off
	s_movk_i32 s18, 0x7f
                                        ; implicit-def: $sgpr26
	s_waitcnt vmcnt(0)
	v_cmp_lt_i16_e32 vcc, s18, v6
	s_mov_b64 s[18:19], 0
	s_and_saveexec_b64 s[22:23], vcc
	s_xor_b64 s[22:23], exec, s[22:23]
	s_cbranch_execz .LBB23_1091
; %bb.1072:
	s_movk_i32 s18, 0x80
	v_cmp_eq_u16_e32 vcc, s18, v6
	s_mov_b64 s[18:19], -1
                                        ; implicit-def: $sgpr26
	s_and_saveexec_b64 s[24:25], vcc
; %bb.1073:
	s_movk_i32 s26, 0x7e00
	s_xor_b64 s[18:19], exec, -1
; %bb.1074:
	s_or_b64 exec, exec, s[24:25]
	s_and_b64 s[18:19], s[18:19], exec
	s_or_saveexec_b64 s[22:23], s[22:23]
	v_mov_b32_e32 v4, s26
	s_xor_b64 exec, exec, s[22:23]
	s_cbranch_execnz .LBB23_1092
.LBB23_1075:
	s_or_b64 exec, exec, s[22:23]
	s_and_saveexec_b64 s[22:23], s[18:19]
	s_cbranch_execz .LBB23_1077
.LBB23_1076:
	v_lshlrev_b32_e32 v4, 24, v6
	v_and_b32_e32 v6, 0xffff, v6
	v_and_b32_e32 v7, 7, v6
	v_ffbh_u32_e32 v9, v7
	v_min_u32_e32 v9, 32, v9
	v_subrev_u32_e32 v10, 28, v9
	v_bfe_u32 v8, v6, 3, 4
	v_lshlrev_b32_e32 v6, v10, v6
	v_sub_u32_e32 v9, 29, v9
	v_and_b32_e32 v6, 7, v6
	v_cmp_eq_u32_e32 vcc, 0, v8
	v_cndmask_b32_e32 v8, v8, v9, vcc
	v_cndmask_b32_e32 v6, v7, v6, vcc
	v_mov_b32_e32 v7, 0x3b800000
	v_lshlrev_b32_e32 v6, 20, v6
	v_and_b32_e32 v4, 0x80000000, v4
	v_lshl_add_u32 v7, v8, 23, v7
	v_or3_b32 v4, v4, v7, v6
	v_cvt_f16_f32_e32 v4, v4
.LBB23_1077:
	s_or_b64 exec, exec, s[22:23]
.LBB23_1078:
	s_mov_b64 s[22:23], -1
.LBB23_1079:
	s_branch .LBB23_1111
.LBB23_1080:
	v_cmp_lt_i16_e32 vcc, 22, v3
	s_cbranch_vccz .LBB23_1090
; %bb.1081:
	v_cmp_gt_i16_e32 vcc, 24, v3
	s_cbranch_vccnz .LBB23_1093
; %bb.1082:
	v_cmp_lt_i16_e32 vcc, 24, v3
	s_cbranch_vccz .LBB23_1094
; %bb.1083:
	global_load_ubyte v6, v[0:1], off
	s_movk_i32 s18, 0x7f
                                        ; implicit-def: $sgpr24
	s_waitcnt vmcnt(0)
	v_cmp_lt_i16_e32 vcc, s18, v6
	s_mov_b64 s[18:19], 0
	s_and_saveexec_b64 s[20:21], vcc
	s_xor_b64 s[20:21], exec, s[20:21]
	s_cbranch_execz .LBB23_1105
; %bb.1084:
	s_movk_i32 s18, 0x80
	v_cmp_eq_u16_e32 vcc, s18, v6
	s_mov_b64 s[18:19], -1
                                        ; implicit-def: $sgpr24
	s_and_saveexec_b64 s[22:23], vcc
; %bb.1085:
	s_movk_i32 s24, 0x7e00
	s_xor_b64 s[18:19], exec, -1
; %bb.1086:
	s_or_b64 exec, exec, s[22:23]
	s_and_b64 s[18:19], s[18:19], exec
	s_or_saveexec_b64 s[20:21], s[20:21]
	v_mov_b32_e32 v4, s24
	s_xor_b64 exec, exec, s[20:21]
	s_cbranch_execnz .LBB23_1106
.LBB23_1087:
	s_or_b64 exec, exec, s[20:21]
	s_and_saveexec_b64 s[20:21], s[18:19]
	s_cbranch_execz .LBB23_1089
.LBB23_1088:
	v_lshlrev_b32_e32 v4, 24, v6
	v_and_b32_e32 v6, 0xffff, v6
	v_and_b32_e32 v7, 3, v6
	v_ffbh_u32_e32 v9, v7
	v_min_u32_e32 v9, 32, v9
	v_subrev_u32_e32 v10, 29, v9
	v_bfe_u32 v8, v6, 2, 5
	v_lshlrev_b32_e32 v6, v10, v6
	v_sub_u32_e32 v9, 30, v9
	v_and_b32_e32 v6, 3, v6
	v_cmp_eq_u32_e32 vcc, 0, v8
	v_cndmask_b32_e32 v8, v8, v9, vcc
	v_cndmask_b32_e32 v6, v7, v6, vcc
	v_mov_b32_e32 v7, 0x37800000
	v_lshlrev_b32_e32 v6, 21, v6
	v_and_b32_e32 v4, 0x80000000, v4
	v_lshl_add_u32 v7, v8, 23, v7
	v_or3_b32 v4, v4, v7, v6
	v_cvt_f16_f32_e32 v4, v4
.LBB23_1089:
	s_or_b64 exec, exec, s[20:21]
	s_mov_b64 s[18:19], 0
	s_branch .LBB23_1095
.LBB23_1090:
                                        ; implicit-def: $vgpr4
	s_mov_b64 s[20:21], 0
	s_branch .LBB23_1101
.LBB23_1091:
	s_or_saveexec_b64 s[22:23], s[22:23]
	v_mov_b32_e32 v4, s26
	s_xor_b64 exec, exec, s[22:23]
	s_cbranch_execz .LBB23_1075
.LBB23_1092:
	v_cmp_ne_u16_e32 vcc, 0, v6
	s_andn2_b64 s[18:19], s[18:19], exec
	s_and_b64 s[24:25], vcc, exec
	s_or_b64 s[18:19], s[18:19], s[24:25]
	v_mov_b32_e32 v4, v6
	s_or_b64 exec, exec, s[22:23]
	s_and_saveexec_b64 s[22:23], s[18:19]
	s_cbranch_execnz .LBB23_1076
	s_branch .LBB23_1077
.LBB23_1093:
	s_mov_b64 s[18:19], -1
                                        ; implicit-def: $vgpr4
	s_branch .LBB23_1098
.LBB23_1094:
	s_mov_b64 s[18:19], -1
                                        ; implicit-def: $vgpr4
.LBB23_1095:
	s_and_b64 vcc, exec, s[18:19]
	s_cbranch_vccz .LBB23_1097
; %bb.1096:
	global_load_ubyte v4, v[0:1], off
	s_mov_b32 s18, 0x7f800000
	s_waitcnt vmcnt(0)
	v_lshlrev_b32_e32 v4, 24, v4
	v_and_b32_e32 v6, 0x7f000000, v4
	v_ffbh_u32_e32 v7, v6
	v_min_u32_e32 v7, 32, v7
	v_sub_u32_e64 v7, v7, 4 clamp
	v_lshlrev_b32_e32 v9, v7, v6
	v_lshlrev_b32_e32 v7, 23, v7
	v_lshrrev_b32_e32 v9, 4, v9
	v_add_u32_e32 v8, 0x1000000, v6
	v_sub_u32_e32 v7, v9, v7
	v_ashrrev_i32_e32 v8, 8, v8
	v_add_u32_e32 v7, 0x3c000000, v7
	v_and_or_b32 v7, v8, s18, v7
	v_cmp_ne_u32_e32 vcc, 0, v6
	v_cndmask_b32_e32 v6, 0, v7, vcc
	s_brev_b32 s18, 1
	v_and_or_b32 v4, v4, s18, v6
	v_cvt_f16_f32_e32 v4, v4
.LBB23_1097:
	s_mov_b64 s[18:19], 0
.LBB23_1098:
	s_andn2_b64 vcc, exec, s[18:19]
	s_cbranch_vccnz .LBB23_1100
; %bb.1099:
	global_load_ubyte v4, v[0:1], off
	s_movk_i32 s18, 0x7f00
	s_brev_b32 s19, 16
	s_waitcnt vmcnt(0)
	v_lshlrev_b16_e32 v6, 8, v4
	v_lshlrev_b32_e32 v4, 25, v4
	v_lshrrev_b32_e32 v7, 4, v4
	v_and_or_b32 v8, v6, s18, 0.5
	v_or_b32_e32 v7, 0x70000000, v7
	v_add_f32_e32 v8, -0.5, v8
	v_mul_f32_e32 v7, 0x7800000, v7
	v_cmp_gt_u32_e32 vcc, s19, v4
	v_bfe_i32 v6, v6, 0, 16
	v_cndmask_b32_e32 v4, v7, v8, vcc
	s_brev_b32 s18, 1
	v_and_or_b32 v4, v6, s18, v4
	v_cvt_f16_f32_e32 v4, v4
.LBB23_1100:
	s_mov_b64 s[22:23], -1
	s_mov_b64 s[20:21], 0
	s_cbranch_execnz .LBB23_1111
.LBB23_1101:
	v_cmp_lt_i16_e32 vcc, 14, v3
	s_cbranch_vccz .LBB23_1104
; %bb.1102:
	v_cmp_eq_u16_e32 vcc, 15, v3
	s_cbranch_vccz .LBB23_1107
; %bb.1103:
	global_load_ushort v4, v[0:1], off
	s_mov_b64 s[4:5], 0
	s_mov_b64 s[22:23], -1
	s_waitcnt vmcnt(0)
	v_lshlrev_b32_e32 v4, 16, v4
	v_cvt_f16_f32_e32 v4, v4
	s_branch .LBB23_1108
.LBB23_1104:
	s_mov_b64 s[18:19], -1
                                        ; implicit-def: $vgpr4
	s_branch .LBB23_1109
.LBB23_1105:
	s_or_saveexec_b64 s[20:21], s[20:21]
	v_mov_b32_e32 v4, s24
	s_xor_b64 exec, exec, s[20:21]
	s_cbranch_execz .LBB23_1087
.LBB23_1106:
	v_cmp_ne_u16_e32 vcc, 0, v6
	s_andn2_b64 s[18:19], s[18:19], exec
	s_and_b64 s[22:23], vcc, exec
	s_or_b64 s[18:19], s[18:19], s[22:23]
	v_mov_b32_e32 v4, v6
	s_or_b64 exec, exec, s[20:21]
	s_and_saveexec_b64 s[20:21], s[18:19]
	s_cbranch_execnz .LBB23_1088
	s_branch .LBB23_1089
.LBB23_1107:
	s_mov_b64 s[4:5], -1
                                        ; implicit-def: $vgpr4
.LBB23_1108:
	s_mov_b64 s[18:19], 0
.LBB23_1109:
	s_and_b64 vcc, exec, s[18:19]
	s_cbranch_vccz .LBB23_1111
; %bb.1110:
	v_cmp_ne_u16_e64 s[4:5], 11, v3
	s_mov_b64 s[20:21], -1
                                        ; implicit-def: $vgpr4
.LBB23_1111:
	s_and_b64 vcc, exec, s[4:5]
	s_mov_b64 s[18:19], s[16:17]
	s_cbranch_vccnz .LBB23_1174
; %bb.1112:
	s_andn2_b64 vcc, exec, s[20:21]
	s_cbranch_vccnz .LBB23_1114
.LBB23_1113:
	global_load_ubyte v4, v[0:1], off
	v_mov_b32_e32 v6, 0x3c00
	s_mov_b64 s[22:23], -1
	s_waitcnt vmcnt(0)
	v_cmp_ne_u16_e32 vcc, 0, v4
	v_cndmask_b32_e32 v4, 0, v6, vcc
.LBB23_1114:
	s_branch .LBB23_1044
.LBB23_1115:
	v_cmp_gt_i16_e32 vcc, 5, v3
	s_cbranch_vccnz .LBB23_1120
; %bb.1116:
	v_cmp_gt_i16_e32 vcc, 8, v3
	s_cbranch_vccnz .LBB23_1121
; %bb.1117:
	v_cmp_gt_i16_e32 vcc, 9, v3
	s_cbranch_vccnz .LBB23_1122
; %bb.1118:
	v_cmp_lt_i16_e32 vcc, 9, v3
	s_cbranch_vccz .LBB23_1123
; %bb.1119:
	global_load_dwordx2 v[6:7], v[0:1], off
	s_mov_b64 s[4:5], 0
	s_waitcnt vmcnt(0)
	v_cvt_f32_f64_e32 v4, v[6:7]
	v_cvt_f16_f32_e32 v4, v4
	s_branch .LBB23_1124
.LBB23_1120:
                                        ; implicit-def: $vgpr4
	s_branch .LBB23_1141
.LBB23_1121:
                                        ; implicit-def: $vgpr4
	s_branch .LBB23_1130
.LBB23_1122:
	s_mov_b64 s[4:5], -1
                                        ; implicit-def: $vgpr4
	s_branch .LBB23_1127
.LBB23_1123:
	s_mov_b64 s[4:5], -1
                                        ; implicit-def: $vgpr4
.LBB23_1124:
	s_andn2_b64 vcc, exec, s[4:5]
	s_cbranch_vccnz .LBB23_1126
; %bb.1125:
	global_load_dword v4, v[0:1], off
	s_waitcnt vmcnt(0)
	v_cvt_f16_f32_e32 v4, v4
.LBB23_1126:
	s_mov_b64 s[4:5], 0
.LBB23_1127:
	s_andn2_b64 vcc, exec, s[4:5]
	s_cbranch_vccnz .LBB23_1129
; %bb.1128:
	global_load_dword v4, v[0:1], off
.LBB23_1129:
	s_cbranch_execnz .LBB23_1140
.LBB23_1130:
	v_cmp_gt_i16_e32 vcc, 6, v3
	s_cbranch_vccnz .LBB23_1133
; %bb.1131:
	v_cmp_lt_i16_e32 vcc, 6, v3
	s_cbranch_vccz .LBB23_1134
; %bb.1132:
	global_load_dwordx2 v[6:7], v[0:1], off
	s_mov_b64 s[4:5], 0
	s_waitcnt vmcnt(0)
	v_cvt_f32_f64_e32 v4, v[6:7]
	v_cvt_f16_f32_e32 v4, v4
	s_branch .LBB23_1135
.LBB23_1133:
	s_mov_b64 s[4:5], -1
                                        ; implicit-def: $vgpr4
	s_branch .LBB23_1138
.LBB23_1134:
	s_mov_b64 s[4:5], -1
                                        ; implicit-def: $vgpr4
.LBB23_1135:
	s_andn2_b64 vcc, exec, s[4:5]
	s_cbranch_vccnz .LBB23_1137
; %bb.1136:
	global_load_dword v4, v[0:1], off
	s_waitcnt vmcnt(0)
	v_cvt_f16_f32_e32 v4, v4
.LBB23_1137:
	s_mov_b64 s[4:5], 0
.LBB23_1138:
	s_andn2_b64 vcc, exec, s[4:5]
	s_cbranch_vccnz .LBB23_1140
; %bb.1139:
	global_load_ushort v4, v[0:1], off
.LBB23_1140:
	s_cbranch_execnz .LBB23_1159
.LBB23_1141:
	v_cmp_gt_i16_e32 vcc, 2, v3
	s_cbranch_vccnz .LBB23_1145
; %bb.1142:
	v_cmp_gt_i16_e32 vcc, 3, v3
	s_cbranch_vccnz .LBB23_1146
; %bb.1143:
	v_cmp_lt_i16_e32 vcc, 3, v3
	s_cbranch_vccz .LBB23_1147
; %bb.1144:
	global_load_dwordx2 v[6:7], v[0:1], off
	s_mov_b64 s[4:5], 0
	s_waitcnt vmcnt(0)
	v_xor_b32_e32 v8, v6, v7
	v_ffbh_i32_e32 v4, v7
	v_ashrrev_i32_e32 v8, 31, v8
	v_add_u32_e32 v4, -1, v4
	v_add_u32_e32 v8, 32, v8
	v_min_u32_e32 v4, v4, v8
	v_lshlrev_b64 v[6:7], v4, v[6:7]
	v_min_u32_e32 v6, 1, v6
	v_or_b32_e32 v6, v7, v6
	v_cvt_f32_i32_e32 v6, v6
	v_sub_u32_e32 v4, 32, v4
	v_ldexp_f32 v4, v6, v4
	v_cvt_f16_f32_e32 v4, v4
	s_branch .LBB23_1148
.LBB23_1145:
                                        ; implicit-def: $vgpr4
	s_branch .LBB23_1154
.LBB23_1146:
	s_mov_b64 s[4:5], -1
                                        ; implicit-def: $vgpr4
	s_branch .LBB23_1151
.LBB23_1147:
	s_mov_b64 s[4:5], -1
                                        ; implicit-def: $vgpr4
.LBB23_1148:
	s_andn2_b64 vcc, exec, s[4:5]
	s_cbranch_vccnz .LBB23_1150
; %bb.1149:
	global_load_dword v4, v[0:1], off
	s_waitcnt vmcnt(0)
	v_cvt_f32_i32_e32 v4, v4
	v_cvt_f16_f32_e32 v4, v4
.LBB23_1150:
	s_mov_b64 s[4:5], 0
.LBB23_1151:
	s_andn2_b64 vcc, exec, s[4:5]
	s_cbranch_vccnz .LBB23_1153
; %bb.1152:
	global_load_ushort v4, v[0:1], off
	s_waitcnt vmcnt(0)
	v_cvt_f16_i16_e32 v4, v4
.LBB23_1153:
	s_cbranch_execnz .LBB23_1159
.LBB23_1154:
	v_cmp_lt_i16_e32 vcc, 0, v3
	s_cbranch_vccz .LBB23_1156
; %bb.1155:
	global_load_sbyte v4, v[0:1], off
	s_mov_b64 s[4:5], 0
	s_waitcnt vmcnt(0)
	v_cvt_f16_i16_e32 v4, v4
	s_branch .LBB23_1157
.LBB23_1156:
	s_mov_b64 s[4:5], -1
                                        ; implicit-def: $vgpr4
.LBB23_1157:
	s_andn2_b64 vcc, exec, s[4:5]
	s_cbranch_vccnz .LBB23_1159
; %bb.1158:
	global_load_ubyte v0, v[0:1], off
	s_waitcnt vmcnt(0)
	v_cvt_f16_u16_e32 v4, v0
.LBB23_1159:
.LBB23_1160:
	s_waitcnt vmcnt(0)
	v_cvt_f32_f16_e32 v8, v4
	s_mov_b32 s4, 0x7f800000
	v_cmp_nlg_f32_e64 s[20:21], |v8|, s4
	s_and_saveexec_b64 s[4:5], s[20:21]
	s_cbranch_execz .LBB23_1162
; %bb.1161:
	v_mov_b32_e32 v0, 0
	v_mov_b32_e32 v1, 1.0
	global_store_dword v0, v1, s[12:13]
.LBB23_1162:
	s_or_b64 exec, exec, s[4:5]
	v_mov_b32_e32 v0, 0
	global_load_dword v9, v0, s[14:15]
	s_lshl_b32 s3, s3, 7
	v_add_u32_e32 v6, s3, v5
	v_ashrrev_i32_e32 v1, 31, v6
	v_mov_b32_e32 v5, s11
	v_add_co_u32_e32 v0, vcc, s10, v6
	v_addc_co_u32_e32 v1, vcc, v5, v1, vcc
	s_and_b64 vcc, exec, s[0:1]
	s_cbranch_vccnz .LBB23_1169
; %bb.1163:
	v_cmp_lt_i16_e32 vcc, 25, v3
	s_mov_b64 s[20:21], 0
	s_cbranch_vccz .LBB23_1171
; %bb.1164:
	v_cmp_lt_i16_e32 vcc, 28, v3
	s_cbranch_vccz .LBB23_1172
; %bb.1165:
	v_cmp_lt_i16_e32 vcc, 43, v3
	;; [unrolled: 3-line block ×3, first 2 shown]
	s_cbranch_vccz .LBB23_1175
; %bb.1167:
	v_cmp_eq_u16_e32 vcc, 46, v3
	s_mov_b64 s[24:25], 0
	s_cbranch_vccz .LBB23_1178
; %bb.1168:
	global_load_dword v5, v[0:1], off
	s_mov_b64 s[4:5], 0
	s_mov_b64 s[22:23], -1
	s_waitcnt vmcnt(0)
	v_lshlrev_b32_e32 v5, 16, v5
	v_cvt_f16_f32_e32 v5, v5
	s_branch .LBB23_1179
.LBB23_1169:
	s_mov_b64 s[22:23], 0
                                        ; implicit-def: $vgpr5
	s_cbranch_execnz .LBB23_1244
.LBB23_1170:
	s_andn2_b64 vcc, exec, s[22:23]
	s_cbranch_vccnz .LBB23_2009
	s_branch .LBB23_1291
.LBB23_1171:
	s_mov_b64 s[22:23], 0
	s_mov_b64 s[4:5], 0
                                        ; implicit-def: $vgpr5
	s_cbranch_execnz .LBB23_1208
	s_branch .LBB23_1240
.LBB23_1172:
	s_mov_b64 s[24:25], -1
	s_mov_b64 s[22:23], 0
	s_mov_b64 s[4:5], 0
                                        ; implicit-def: $vgpr5
	s_branch .LBB23_1189
.LBB23_1173:
	s_mov_b64 s[24:25], -1
	s_mov_b64 s[22:23], 0
	s_mov_b64 s[4:5], 0
                                        ; implicit-def: $vgpr5
	s_branch .LBB23_1184
.LBB23_1174:
	s_or_b64 s[18:19], s[16:17], exec
	s_trap 2
                                        ; implicit-def: $vgpr4
	s_cbranch_execz .LBB23_1113
	s_branch .LBB23_1114
.LBB23_1175:
	s_mov_b64 s[24:25], -1
	s_mov_b64 s[22:23], 0
	s_mov_b64 s[4:5], 0
                                        ; implicit-def: $vgpr5
	s_branch .LBB23_1179
.LBB23_1176:
	s_or_saveexec_b64 s[28:29], s[28:29]
                                        ; implicit-def: $sgpr30
	s_xor_b64 exec, exec, s[28:29]
	s_cbranch_execz .LBB23_960
.LBB23_1177:
	s_mov_b32 s30, 0x42800000
	v_add_f32_e64 v5, |v2|, s30
	v_and_b32_e32 v5, 0xff, v5
	v_cmp_ne_u32_e32 vcc, 0, v5
	s_andn2_b64 s[26:27], s[26:27], exec
	s_and_b64 s[34:35], vcc, exec
	s_mov_b32 s30, 0
	s_or_b64 s[26:27], s[26:27], s[34:35]
	s_or_b64 exec, exec, s[28:29]
	v_mov_b32_e32 v6, s30
	s_and_saveexec_b64 s[28:29], s[26:27]
	s_cbranch_execnz .LBB23_961
	s_branch .LBB23_962
.LBB23_1178:
	s_mov_b64 s[4:5], -1
                                        ; implicit-def: $vgpr5
	s_mov_b64 s[22:23], 0
.LBB23_1179:
	s_and_b64 vcc, exec, s[24:25]
	s_cbranch_vccz .LBB23_1183
; %bb.1180:
	v_cmp_eq_u16_e32 vcc, 44, v3
	s_cbranch_vccz .LBB23_1182
; %bb.1181:
	global_load_ubyte v5, v[0:1], off
	s_movk_i32 s22, 0xff
	v_mov_b32_e32 v10, 0x7e00
	s_mov_b64 s[4:5], 0
	s_waitcnt vmcnt(0)
	v_lshlrev_b32_e32 v7, 23, v5
	v_cvt_f16_f32_e32 v7, v7
	v_cmp_ne_u32_e32 vcc, s22, v5
	s_mov_b64 s[22:23], -1
	v_cndmask_b32_e32 v7, v10, v7, vcc
	v_cmp_ne_u32_e32 vcc, 0, v5
	v_cndmask_b32_e32 v5, 0, v7, vcc
	s_branch .LBB23_1183
.LBB23_1182:
	s_mov_b64 s[4:5], -1
                                        ; implicit-def: $vgpr5
.LBB23_1183:
	s_mov_b64 s[24:25], 0
.LBB23_1184:
	s_and_b64 vcc, exec, s[24:25]
	s_cbranch_vccz .LBB23_1188
; %bb.1185:
	v_cmp_eq_u16_e32 vcc, 29, v3
	s_cbranch_vccz .LBB23_1187
; %bb.1186:
	global_load_dwordx2 v[10:11], v[0:1], off
	s_mov_b64 s[4:5], 0
	s_mov_b64 s[22:23], -1
	s_mov_b64 s[24:25], 0
	s_waitcnt vmcnt(0)
	v_ffbh_u32_e32 v5, v11
	v_min_u32_e32 v5, 32, v5
	v_lshlrev_b64 v[10:11], v5, v[10:11]
	v_min_u32_e32 v7, 1, v10
	v_or_b32_e32 v7, v11, v7
	v_cvt_f32_u32_e32 v7, v7
	v_sub_u32_e32 v5, 32, v5
	v_ldexp_f32 v5, v7, v5
	v_cvt_f16_f32_e32 v5, v5
	s_branch .LBB23_1189
.LBB23_1187:
	s_mov_b64 s[4:5], -1
                                        ; implicit-def: $vgpr5
.LBB23_1188:
	s_mov_b64 s[24:25], 0
.LBB23_1189:
	s_and_b64 vcc, exec, s[24:25]
	s_cbranch_vccz .LBB23_1207
; %bb.1190:
	v_cmp_gt_i16_e32 vcc, 27, v3
	s_cbranch_vccnz .LBB23_1193
; %bb.1191:
	v_cmp_lt_i16_e32 vcc, 27, v3
	s_cbranch_vccz .LBB23_1194
; %bb.1192:
	global_load_dword v5, v[0:1], off
	s_mov_b64 s[22:23], 0
	s_waitcnt vmcnt(0)
	v_cvt_f32_u32_e32 v5, v5
	v_cvt_f16_f32_e32 v5, v5
	s_branch .LBB23_1195
.LBB23_1193:
	s_mov_b64 s[22:23], -1
                                        ; implicit-def: $vgpr5
	s_branch .LBB23_1198
.LBB23_1194:
	s_mov_b64 s[22:23], -1
                                        ; implicit-def: $vgpr5
.LBB23_1195:
	s_andn2_b64 vcc, exec, s[22:23]
	s_cbranch_vccnz .LBB23_1197
; %bb.1196:
	global_load_ushort v5, v[0:1], off
	s_waitcnt vmcnt(0)
	v_cvt_f16_u16_e32 v5, v5
.LBB23_1197:
	s_mov_b64 s[22:23], 0
.LBB23_1198:
	s_andn2_b64 vcc, exec, s[22:23]
	s_cbranch_vccnz .LBB23_1206
; %bb.1199:
	global_load_ubyte v7, v[0:1], off
	s_movk_i32 s22, 0x7f
                                        ; implicit-def: $sgpr28
	s_waitcnt vmcnt(0)
	v_cmp_lt_i16_e32 vcc, s22, v7
	s_mov_b64 s[22:23], 0
	s_and_saveexec_b64 s[24:25], vcc
	s_xor_b64 s[24:25], exec, s[24:25]
	s_cbranch_execz .LBB23_1219
; %bb.1200:
	s_movk_i32 s22, 0x80
	v_cmp_eq_u16_e32 vcc, s22, v7
	s_mov_b64 s[22:23], -1
                                        ; implicit-def: $sgpr28
	s_and_saveexec_b64 s[26:27], vcc
; %bb.1201:
	s_movk_i32 s28, 0x7e00
	s_xor_b64 s[22:23], exec, -1
; %bb.1202:
	s_or_b64 exec, exec, s[26:27]
	s_and_b64 s[22:23], s[22:23], exec
	s_or_saveexec_b64 s[24:25], s[24:25]
	v_mov_b32_e32 v5, s28
	s_xor_b64 exec, exec, s[24:25]
	s_cbranch_execnz .LBB23_1220
.LBB23_1203:
	s_or_b64 exec, exec, s[24:25]
	s_and_saveexec_b64 s[24:25], s[22:23]
	s_cbranch_execz .LBB23_1205
.LBB23_1204:
	v_lshlrev_b32_e32 v5, 24, v7
	v_and_b32_e32 v7, 0xffff, v7
	v_and_b32_e32 v10, 7, v7
	v_ffbh_u32_e32 v12, v10
	v_min_u32_e32 v12, 32, v12
	v_subrev_u32_e32 v13, 28, v12
	v_bfe_u32 v11, v7, 3, 4
	v_lshlrev_b32_e32 v7, v13, v7
	v_sub_u32_e32 v12, 29, v12
	v_and_b32_e32 v7, 7, v7
	v_cmp_eq_u32_e32 vcc, 0, v11
	v_cndmask_b32_e32 v11, v11, v12, vcc
	v_cndmask_b32_e32 v7, v10, v7, vcc
	v_mov_b32_e32 v10, 0x3b800000
	v_lshlrev_b32_e32 v7, 20, v7
	v_and_b32_e32 v5, 0x80000000, v5
	v_lshl_add_u32 v10, v11, 23, v10
	v_or3_b32 v5, v5, v10, v7
	v_cvt_f16_f32_e32 v5, v5
.LBB23_1205:
	s_or_b64 exec, exec, s[24:25]
.LBB23_1206:
	s_mov_b64 s[22:23], -1
.LBB23_1207:
	s_branch .LBB23_1240
.LBB23_1208:
	v_cmp_lt_i16_e32 vcc, 22, v3
	s_cbranch_vccz .LBB23_1218
; %bb.1209:
	v_cmp_gt_i16_e32 vcc, 24, v3
	s_cbranch_vccnz .LBB23_1221
; %bb.1210:
	v_cmp_lt_i16_e32 vcc, 24, v3
	s_cbranch_vccz .LBB23_1222
; %bb.1211:
	global_load_ubyte v7, v[0:1], off
	s_movk_i32 s20, 0x7f
                                        ; implicit-def: $sgpr26
	s_waitcnt vmcnt(0)
	v_cmp_lt_i16_e32 vcc, s20, v7
	s_mov_b64 s[20:21], 0
	s_and_saveexec_b64 s[22:23], vcc
	s_xor_b64 s[22:23], exec, s[22:23]
	s_cbranch_execz .LBB23_1234
; %bb.1212:
	s_movk_i32 s20, 0x80
	v_cmp_eq_u16_e32 vcc, s20, v7
	s_mov_b64 s[20:21], -1
                                        ; implicit-def: $sgpr26
	s_and_saveexec_b64 s[24:25], vcc
; %bb.1213:
	s_movk_i32 s26, 0x7e00
	s_xor_b64 s[20:21], exec, -1
; %bb.1214:
	s_or_b64 exec, exec, s[24:25]
	s_and_b64 s[20:21], s[20:21], exec
	s_or_saveexec_b64 s[22:23], s[22:23]
	v_mov_b32_e32 v5, s26
	s_xor_b64 exec, exec, s[22:23]
	s_cbranch_execnz .LBB23_1235
.LBB23_1215:
	s_or_b64 exec, exec, s[22:23]
	s_and_saveexec_b64 s[22:23], s[20:21]
	s_cbranch_execz .LBB23_1217
.LBB23_1216:
	v_lshlrev_b32_e32 v5, 24, v7
	v_and_b32_e32 v7, 0xffff, v7
	v_and_b32_e32 v10, 3, v7
	v_ffbh_u32_e32 v12, v10
	v_min_u32_e32 v12, 32, v12
	v_subrev_u32_e32 v13, 29, v12
	v_bfe_u32 v11, v7, 2, 5
	v_lshlrev_b32_e32 v7, v13, v7
	v_sub_u32_e32 v12, 30, v12
	v_and_b32_e32 v7, 3, v7
	v_cmp_eq_u32_e32 vcc, 0, v11
	v_cndmask_b32_e32 v11, v11, v12, vcc
	v_cndmask_b32_e32 v7, v10, v7, vcc
	v_mov_b32_e32 v10, 0x37800000
	v_lshlrev_b32_e32 v7, 21, v7
	v_and_b32_e32 v5, 0x80000000, v5
	v_lshl_add_u32 v10, v11, 23, v10
	v_or3_b32 v5, v5, v10, v7
	v_cvt_f16_f32_e32 v5, v5
.LBB23_1217:
	s_or_b64 exec, exec, s[22:23]
	s_mov_b64 s[20:21], 0
	s_branch .LBB23_1223
.LBB23_1218:
	s_mov_b64 s[20:21], -1
                                        ; implicit-def: $vgpr5
	s_branch .LBB23_1229
.LBB23_1219:
	s_or_saveexec_b64 s[24:25], s[24:25]
	v_mov_b32_e32 v5, s28
	s_xor_b64 exec, exec, s[24:25]
	s_cbranch_execz .LBB23_1203
.LBB23_1220:
	v_cmp_ne_u16_e32 vcc, 0, v7
	s_andn2_b64 s[22:23], s[22:23], exec
	s_and_b64 s[26:27], vcc, exec
	s_or_b64 s[22:23], s[22:23], s[26:27]
	v_mov_b32_e32 v5, v7
	s_or_b64 exec, exec, s[24:25]
	s_and_saveexec_b64 s[24:25], s[22:23]
	s_cbranch_execnz .LBB23_1204
	s_branch .LBB23_1205
.LBB23_1221:
	s_mov_b64 s[20:21], -1
                                        ; implicit-def: $vgpr5
	s_branch .LBB23_1226
.LBB23_1222:
	s_mov_b64 s[20:21], -1
                                        ; implicit-def: $vgpr5
.LBB23_1223:
	s_and_b64 vcc, exec, s[20:21]
	s_cbranch_vccz .LBB23_1225
; %bb.1224:
	global_load_ubyte v5, v[0:1], off
	s_mov_b32 s20, 0x7f800000
	s_waitcnt vmcnt(0)
	v_lshlrev_b32_e32 v5, 24, v5
	v_and_b32_e32 v7, 0x7f000000, v5
	v_ffbh_u32_e32 v10, v7
	v_min_u32_e32 v10, 32, v10
	v_sub_u32_e64 v10, v10, 4 clamp
	v_lshlrev_b32_e32 v12, v10, v7
	v_lshlrev_b32_e32 v10, 23, v10
	v_lshrrev_b32_e32 v12, 4, v12
	v_add_u32_e32 v11, 0x1000000, v7
	v_sub_u32_e32 v10, v12, v10
	v_ashrrev_i32_e32 v11, 8, v11
	v_add_u32_e32 v10, 0x3c000000, v10
	v_and_or_b32 v10, v11, s20, v10
	v_cmp_ne_u32_e32 vcc, 0, v7
	v_cndmask_b32_e32 v7, 0, v10, vcc
	s_brev_b32 s20, 1
	v_and_or_b32 v5, v5, s20, v7
	v_cvt_f16_f32_e32 v5, v5
.LBB23_1225:
	s_mov_b64 s[20:21], 0
.LBB23_1226:
	s_andn2_b64 vcc, exec, s[20:21]
	s_cbranch_vccnz .LBB23_1228
; %bb.1227:
	global_load_ubyte v5, v[0:1], off
	s_movk_i32 s20, 0x7f00
	s_brev_b32 s21, 16
	s_waitcnt vmcnt(0)
	v_lshlrev_b16_e32 v7, 8, v5
	v_lshlrev_b32_e32 v5, 25, v5
	v_lshrrev_b32_e32 v10, 4, v5
	v_and_or_b32 v11, v7, s20, 0.5
	v_or_b32_e32 v10, 0x70000000, v10
	v_add_f32_e32 v11, -0.5, v11
	v_mul_f32_e32 v10, 0x7800000, v10
	v_cmp_gt_u32_e32 vcc, s21, v5
	v_bfe_i32 v7, v7, 0, 16
	v_cndmask_b32_e32 v5, v10, v11, vcc
	s_brev_b32 s20, 1
	v_and_or_b32 v5, v7, s20, v5
	v_cvt_f16_f32_e32 v5, v5
.LBB23_1228:
	s_mov_b64 s[20:21], 0
	s_mov_b64 s[22:23], -1
.LBB23_1229:
	s_andn2_b64 vcc, exec, s[20:21]
	s_mov_b64 s[20:21], 0
	s_cbranch_vccnz .LBB23_1240
; %bb.1230:
	v_cmp_lt_i16_e32 vcc, 14, v3
	s_cbranch_vccz .LBB23_1233
; %bb.1231:
	v_cmp_eq_u16_e32 vcc, 15, v3
	s_cbranch_vccz .LBB23_1236
; %bb.1232:
	global_load_ushort v5, v[0:1], off
	s_mov_b64 s[4:5], 0
	s_mov_b64 s[22:23], -1
	s_waitcnt vmcnt(0)
	v_lshlrev_b32_e32 v5, 16, v5
	v_cvt_f16_f32_e32 v5, v5
	s_branch .LBB23_1237
.LBB23_1233:
	s_mov_b64 s[24:25], -1
                                        ; implicit-def: $vgpr5
	s_branch .LBB23_1238
.LBB23_1234:
	s_or_saveexec_b64 s[22:23], s[22:23]
	v_mov_b32_e32 v5, s26
	s_xor_b64 exec, exec, s[22:23]
	s_cbranch_execz .LBB23_1215
.LBB23_1235:
	v_cmp_ne_u16_e32 vcc, 0, v7
	s_andn2_b64 s[20:21], s[20:21], exec
	s_and_b64 s[24:25], vcc, exec
	s_or_b64 s[20:21], s[20:21], s[24:25]
	v_mov_b32_e32 v5, v7
	s_or_b64 exec, exec, s[22:23]
	s_and_saveexec_b64 s[22:23], s[20:21]
	s_cbranch_execnz .LBB23_1216
	s_branch .LBB23_1217
.LBB23_1236:
	s_mov_b64 s[4:5], -1
                                        ; implicit-def: $vgpr5
.LBB23_1237:
	s_mov_b64 s[24:25], 0
.LBB23_1238:
	s_and_b64 vcc, exec, s[24:25]
	s_cbranch_vccz .LBB23_1240
; %bb.1239:
	v_cmp_ne_u16_e64 s[4:5], 11, v3
	s_mov_b64 s[20:21], -1
                                        ; implicit-def: $vgpr5
.LBB23_1240:
	s_and_b64 vcc, exec, s[4:5]
	s_cbranch_vccnz .LBB23_1305
; %bb.1241:
	s_andn2_b64 vcc, exec, s[20:21]
	s_cbranch_vccnz .LBB23_1243
.LBB23_1242:
	global_load_ubyte v5, v[0:1], off
	v_mov_b32_e32 v7, 0x3c00
	s_mov_b64 s[22:23], -1
	s_waitcnt vmcnt(0)
	v_cmp_ne_u16_e32 vcc, 0, v5
	v_cndmask_b32_e32 v5, 0, v7, vcc
.LBB23_1243:
	s_branch .LBB23_1170
.LBB23_1244:
	v_cmp_gt_i16_e32 vcc, 5, v3
	s_cbranch_vccnz .LBB23_1249
; %bb.1245:
	v_cmp_gt_i16_e32 vcc, 8, v3
	s_cbranch_vccnz .LBB23_1250
; %bb.1246:
	;; [unrolled: 3-line block ×3, first 2 shown]
	v_cmp_lt_i16_e32 vcc, 9, v3
	s_cbranch_vccz .LBB23_1252
; %bb.1248:
	global_load_dwordx2 v[10:11], v[0:1], off
	s_mov_b64 s[4:5], 0
	s_waitcnt vmcnt(0)
	v_cvt_f32_f64_e32 v5, v[10:11]
	v_cvt_f16_f32_e32 v5, v5
	s_branch .LBB23_1253
.LBB23_1249:
                                        ; implicit-def: $vgpr5
	s_branch .LBB23_1271
.LBB23_1250:
	s_mov_b64 s[4:5], -1
                                        ; implicit-def: $vgpr5
	s_branch .LBB23_1259
.LBB23_1251:
	s_mov_b64 s[4:5], -1
                                        ; implicit-def: $vgpr5
	s_branch .LBB23_1256
.LBB23_1252:
	s_mov_b64 s[4:5], -1
                                        ; implicit-def: $vgpr5
.LBB23_1253:
	s_andn2_b64 vcc, exec, s[4:5]
	s_cbranch_vccnz .LBB23_1255
; %bb.1254:
	global_load_dword v5, v[0:1], off
	s_waitcnt vmcnt(0)
	v_cvt_f16_f32_e32 v5, v5
.LBB23_1255:
	s_mov_b64 s[4:5], 0
.LBB23_1256:
	s_andn2_b64 vcc, exec, s[4:5]
	s_cbranch_vccnz .LBB23_1258
; %bb.1257:
	global_load_dword v5, v[0:1], off
.LBB23_1258:
	s_mov_b64 s[4:5], 0
.LBB23_1259:
	s_andn2_b64 vcc, exec, s[4:5]
	s_cbranch_vccnz .LBB23_1270
; %bb.1260:
	v_cmp_gt_i16_e32 vcc, 6, v3
	s_cbranch_vccnz .LBB23_1263
; %bb.1261:
	v_cmp_lt_i16_e32 vcc, 6, v3
	s_cbranch_vccz .LBB23_1264
; %bb.1262:
	global_load_dwordx2 v[10:11], v[0:1], off
	s_mov_b64 s[4:5], 0
	s_waitcnt vmcnt(0)
	v_cvt_f32_f64_e32 v5, v[10:11]
	v_cvt_f16_f32_e32 v5, v5
	s_branch .LBB23_1265
.LBB23_1263:
	s_mov_b64 s[4:5], -1
                                        ; implicit-def: $vgpr5
	s_branch .LBB23_1268
.LBB23_1264:
	s_mov_b64 s[4:5], -1
                                        ; implicit-def: $vgpr5
.LBB23_1265:
	s_andn2_b64 vcc, exec, s[4:5]
	s_cbranch_vccnz .LBB23_1267
; %bb.1266:
	global_load_dword v5, v[0:1], off
	s_waitcnt vmcnt(0)
	v_cvt_f16_f32_e32 v5, v5
.LBB23_1267:
	s_mov_b64 s[4:5], 0
.LBB23_1268:
	s_andn2_b64 vcc, exec, s[4:5]
	s_cbranch_vccnz .LBB23_1270
; %bb.1269:
	global_load_ushort v5, v[0:1], off
.LBB23_1270:
	s_cbranch_execnz .LBB23_1290
.LBB23_1271:
	v_cmp_gt_i16_e32 vcc, 2, v3
	s_cbranch_vccnz .LBB23_1275
; %bb.1272:
	v_cmp_gt_i16_e32 vcc, 3, v3
	s_cbranch_vccnz .LBB23_1276
; %bb.1273:
	v_cmp_lt_i16_e32 vcc, 3, v3
	s_cbranch_vccz .LBB23_1277
; %bb.1274:
	global_load_dwordx2 v[10:11], v[0:1], off
	s_mov_b64 s[4:5], 0
	s_waitcnt vmcnt(0)
	v_xor_b32_e32 v7, v10, v11
	v_ffbh_i32_e32 v5, v11
	v_ashrrev_i32_e32 v7, 31, v7
	v_add_u32_e32 v5, -1, v5
	v_add_u32_e32 v7, 32, v7
	v_min_u32_e32 v5, v5, v7
	v_lshlrev_b64 v[10:11], v5, v[10:11]
	v_min_u32_e32 v7, 1, v10
	v_or_b32_e32 v7, v11, v7
	v_cvt_f32_i32_e32 v7, v7
	v_sub_u32_e32 v5, 32, v5
	v_ldexp_f32 v5, v7, v5
	v_cvt_f16_f32_e32 v5, v5
	s_branch .LBB23_1278
.LBB23_1275:
	s_mov_b64 s[4:5], -1
                                        ; implicit-def: $vgpr5
	s_branch .LBB23_1284
.LBB23_1276:
	s_mov_b64 s[4:5], -1
                                        ; implicit-def: $vgpr5
	s_branch .LBB23_1281
.LBB23_1277:
	s_mov_b64 s[4:5], -1
                                        ; implicit-def: $vgpr5
.LBB23_1278:
	s_andn2_b64 vcc, exec, s[4:5]
	s_cbranch_vccnz .LBB23_1280
; %bb.1279:
	global_load_dword v5, v[0:1], off
	s_waitcnt vmcnt(0)
	v_cvt_f32_i32_e32 v5, v5
	v_cvt_f16_f32_e32 v5, v5
.LBB23_1280:
	s_mov_b64 s[4:5], 0
.LBB23_1281:
	s_andn2_b64 vcc, exec, s[4:5]
	s_cbranch_vccnz .LBB23_1283
; %bb.1282:
	global_load_ushort v5, v[0:1], off
	s_waitcnt vmcnt(0)
	v_cvt_f16_i16_e32 v5, v5
.LBB23_1283:
	s_mov_b64 s[4:5], 0
.LBB23_1284:
	s_andn2_b64 vcc, exec, s[4:5]
	s_cbranch_vccnz .LBB23_1290
; %bb.1285:
	v_cmp_lt_i16_e32 vcc, 0, v3
	s_cbranch_vccz .LBB23_1287
; %bb.1286:
	global_load_sbyte v5, v[0:1], off
	s_mov_b64 s[4:5], 0
	s_waitcnt vmcnt(0)
	v_cvt_f16_i16_e32 v5, v5
	s_branch .LBB23_1288
.LBB23_1287:
	s_mov_b64 s[4:5], -1
                                        ; implicit-def: $vgpr5
.LBB23_1288:
	s_andn2_b64 vcc, exec, s[4:5]
	s_cbranch_vccnz .LBB23_1290
; %bb.1289:
	global_load_ubyte v0, v[0:1], off
	s_waitcnt vmcnt(0)
	v_cvt_f16_u16_e32 v5, v0
.LBB23_1290:
.LBB23_1291:
	s_waitcnt vmcnt(0)
	v_cvt_f32_f16_e32 v10, v5
	s_mov_b32 s4, 0x7f800000
	v_mov_b32_e32 v11, v9
	v_cmp_nlg_f32_e64 s[20:21], |v10|, s4
	s_and_saveexec_b64 s[4:5], s[20:21]
	s_cbranch_execz .LBB23_1293
; %bb.1292:
	v_mov_b32_e32 v0, 0
	v_mov_b32_e32 v1, 1.0
	global_store_dword v0, v1, s[12:13]
	global_load_dword v11, v0, s[14:15]
.LBB23_1293:
	s_or_b64 exec, exec, s[4:5]
	v_add_u32_e32 v7, s3, v6
	v_ashrrev_i32_e32 v1, 31, v7
	v_mov_b32_e32 v6, s11
	v_add_co_u32_e32 v0, vcc, s10, v7
	v_addc_co_u32_e32 v1, vcc, v6, v1, vcc
	s_and_b64 vcc, exec, s[0:1]
	s_cbranch_vccnz .LBB23_1300
; %bb.1294:
	v_cmp_lt_i16_e32 vcc, 25, v3
	s_mov_b64 s[20:21], 0
	s_cbranch_vccz .LBB23_1302
; %bb.1295:
	v_cmp_lt_i16_e32 vcc, 28, v3
	s_cbranch_vccz .LBB23_1303
; %bb.1296:
	v_cmp_lt_i16_e32 vcc, 43, v3
	;; [unrolled: 3-line block ×3, first 2 shown]
	s_cbranch_vccz .LBB23_1306
; %bb.1298:
	v_cmp_eq_u16_e32 vcc, 46, v3
	s_mov_b64 s[24:25], 0
	s_cbranch_vccz .LBB23_1307
; %bb.1299:
	global_load_dword v6, v[0:1], off
	s_mov_b64 s[4:5], 0
	s_mov_b64 s[22:23], -1
	s_waitcnt vmcnt(0)
	v_lshlrev_b32_e32 v6, 16, v6
	v_cvt_f16_f32_e32 v6, v6
	s_branch .LBB23_1308
.LBB23_1300:
	s_mov_b64 s[22:23], 0
                                        ; implicit-def: $vgpr6
	s_cbranch_execnz .LBB23_1374
.LBB23_1301:
	s_andn2_b64 vcc, exec, s[22:23]
	s_cbranch_vccnz .LBB23_2009
	s_branch .LBB23_1422
.LBB23_1302:
	s_mov_b64 s[24:25], -1
	s_mov_b64 s[22:23], 0
	s_mov_b64 s[4:5], 0
                                        ; implicit-def: $vgpr6
	s_branch .LBB23_1337
.LBB23_1303:
	s_mov_b64 s[24:25], -1
	s_mov_b64 s[22:23], 0
	s_mov_b64 s[4:5], 0
                                        ; implicit-def: $vgpr6
	s_branch .LBB23_1318
.LBB23_1304:
	s_mov_b64 s[24:25], -1
	s_mov_b64 s[22:23], 0
	s_mov_b64 s[4:5], 0
                                        ; implicit-def: $vgpr6
	s_branch .LBB23_1313
.LBB23_1305:
	s_trap 2
	s_or_b64 s[18:19], s[18:19], exec
                                        ; implicit-def: $vgpr5
	s_cbranch_execz .LBB23_1242
	s_branch .LBB23_1243
.LBB23_1306:
	s_mov_b64 s[24:25], -1
	s_mov_b64 s[22:23], 0
	s_mov_b64 s[4:5], 0
                                        ; implicit-def: $vgpr6
	s_branch .LBB23_1308
.LBB23_1307:
	s_mov_b64 s[4:5], -1
                                        ; implicit-def: $vgpr6
	s_mov_b64 s[22:23], 0
.LBB23_1308:
	s_and_b64 vcc, exec, s[24:25]
	s_cbranch_vccz .LBB23_1312
; %bb.1309:
	v_cmp_eq_u16_e32 vcc, 44, v3
	s_cbranch_vccz .LBB23_1311
; %bb.1310:
	global_load_ubyte v6, v[0:1], off
	s_movk_i32 s22, 0xff
	v_mov_b32_e32 v13, 0x7e00
	s_mov_b64 s[4:5], 0
	s_waitcnt vmcnt(0)
	v_lshlrev_b32_e32 v12, 23, v6
	v_cvt_f16_f32_e32 v12, v12
	v_cmp_ne_u32_e32 vcc, s22, v6
	s_mov_b64 s[22:23], -1
	v_cndmask_b32_e32 v12, v13, v12, vcc
	v_cmp_ne_u32_e32 vcc, 0, v6
	v_cndmask_b32_e32 v6, 0, v12, vcc
	s_branch .LBB23_1312
.LBB23_1311:
	s_mov_b64 s[4:5], -1
                                        ; implicit-def: $vgpr6
.LBB23_1312:
	s_mov_b64 s[24:25], 0
.LBB23_1313:
	s_and_b64 vcc, exec, s[24:25]
	s_cbranch_vccz .LBB23_1317
; %bb.1314:
	v_cmp_eq_u16_e32 vcc, 29, v3
	s_cbranch_vccz .LBB23_1316
; %bb.1315:
	global_load_dwordx2 v[12:13], v[0:1], off
	s_mov_b64 s[4:5], 0
	s_mov_b64 s[22:23], -1
	s_mov_b64 s[24:25], 0
	s_waitcnt vmcnt(0)
	v_ffbh_u32_e32 v6, v13
	v_min_u32_e32 v6, 32, v6
	v_lshlrev_b64 v[12:13], v6, v[12:13]
	v_min_u32_e32 v12, 1, v12
	v_or_b32_e32 v12, v13, v12
	v_cvt_f32_u32_e32 v12, v12
	v_sub_u32_e32 v6, 32, v6
	v_ldexp_f32 v6, v12, v6
	v_cvt_f16_f32_e32 v6, v6
	s_branch .LBB23_1318
.LBB23_1316:
	s_mov_b64 s[4:5], -1
                                        ; implicit-def: $vgpr6
.LBB23_1317:
	s_mov_b64 s[24:25], 0
.LBB23_1318:
	s_and_b64 vcc, exec, s[24:25]
	s_cbranch_vccz .LBB23_1336
; %bb.1319:
	v_cmp_gt_i16_e32 vcc, 27, v3
	s_cbranch_vccnz .LBB23_1322
; %bb.1320:
	v_cmp_lt_i16_e32 vcc, 27, v3
	s_cbranch_vccz .LBB23_1323
; %bb.1321:
	global_load_dword v6, v[0:1], off
	s_mov_b64 s[22:23], 0
	s_waitcnt vmcnt(0)
	v_cvt_f32_u32_e32 v6, v6
	v_cvt_f16_f32_e32 v6, v6
	s_branch .LBB23_1324
.LBB23_1322:
	s_mov_b64 s[22:23], -1
                                        ; implicit-def: $vgpr6
	s_branch .LBB23_1327
.LBB23_1323:
	s_mov_b64 s[22:23], -1
                                        ; implicit-def: $vgpr6
.LBB23_1324:
	s_andn2_b64 vcc, exec, s[22:23]
	s_cbranch_vccnz .LBB23_1326
; %bb.1325:
	global_load_ushort v6, v[0:1], off
	s_waitcnt vmcnt(0)
	v_cvt_f16_u16_e32 v6, v6
.LBB23_1326:
	s_mov_b64 s[22:23], 0
.LBB23_1327:
	s_andn2_b64 vcc, exec, s[22:23]
	s_cbranch_vccnz .LBB23_1335
; %bb.1328:
	global_load_ubyte v12, v[0:1], off
	s_movk_i32 s22, 0x7f
                                        ; implicit-def: $sgpr28
	s_waitcnt vmcnt(0)
	v_cmp_lt_i16_e32 vcc, s22, v12
	s_mov_b64 s[22:23], 0
	s_and_saveexec_b64 s[24:25], vcc
	s_xor_b64 s[24:25], exec, s[24:25]
	s_cbranch_execz .LBB23_1349
; %bb.1329:
	s_movk_i32 s22, 0x80
	v_cmp_eq_u16_e32 vcc, s22, v12
	s_mov_b64 s[22:23], -1
                                        ; implicit-def: $sgpr28
	s_and_saveexec_b64 s[26:27], vcc
; %bb.1330:
	s_movk_i32 s28, 0x7e00
	s_xor_b64 s[22:23], exec, -1
; %bb.1331:
	s_or_b64 exec, exec, s[26:27]
	s_and_b64 s[22:23], s[22:23], exec
	s_or_saveexec_b64 s[24:25], s[24:25]
	v_mov_b32_e32 v6, s28
	s_xor_b64 exec, exec, s[24:25]
	s_cbranch_execnz .LBB23_1350
.LBB23_1332:
	s_or_b64 exec, exec, s[24:25]
	s_and_saveexec_b64 s[24:25], s[22:23]
	s_cbranch_execz .LBB23_1334
.LBB23_1333:
	v_lshlrev_b32_e32 v6, 24, v12
	v_and_b32_e32 v12, 0xffff, v12
	v_and_b32_e32 v13, 7, v12
	v_ffbh_u32_e32 v15, v13
	v_min_u32_e32 v15, 32, v15
	v_subrev_u32_e32 v16, 28, v15
	v_bfe_u32 v14, v12, 3, 4
	v_lshlrev_b32_e32 v12, v16, v12
	v_sub_u32_e32 v15, 29, v15
	v_and_b32_e32 v12, 7, v12
	v_cmp_eq_u32_e32 vcc, 0, v14
	v_cndmask_b32_e32 v14, v14, v15, vcc
	v_cndmask_b32_e32 v12, v13, v12, vcc
	v_mov_b32_e32 v13, 0x3b800000
	v_lshlrev_b32_e32 v12, 20, v12
	v_and_b32_e32 v6, 0x80000000, v6
	v_lshl_add_u32 v13, v14, 23, v13
	v_or3_b32 v6, v6, v13, v12
	v_cvt_f16_f32_e32 v6, v6
.LBB23_1334:
	s_or_b64 exec, exec, s[24:25]
.LBB23_1335:
	s_mov_b64 s[22:23], -1
.LBB23_1336:
	s_mov_b64 s[24:25], 0
.LBB23_1337:
	s_and_b64 vcc, exec, s[24:25]
	s_cbranch_vccz .LBB23_1370
; %bb.1338:
	v_cmp_lt_i16_e32 vcc, 22, v3
	s_cbranch_vccz .LBB23_1348
; %bb.1339:
	v_cmp_gt_i16_e32 vcc, 24, v3
	s_cbranch_vccnz .LBB23_1351
; %bb.1340:
	v_cmp_lt_i16_e32 vcc, 24, v3
	s_cbranch_vccz .LBB23_1352
; %bb.1341:
	global_load_ubyte v12, v[0:1], off
	s_movk_i32 s20, 0x7f
                                        ; implicit-def: $sgpr26
	s_waitcnt vmcnt(0)
	v_cmp_lt_i16_e32 vcc, s20, v12
	s_mov_b64 s[20:21], 0
	s_and_saveexec_b64 s[22:23], vcc
	s_xor_b64 s[22:23], exec, s[22:23]
	s_cbranch_execz .LBB23_1364
; %bb.1342:
	s_movk_i32 s20, 0x80
	v_cmp_eq_u16_e32 vcc, s20, v12
	s_mov_b64 s[20:21], -1
                                        ; implicit-def: $sgpr26
	s_and_saveexec_b64 s[24:25], vcc
; %bb.1343:
	s_movk_i32 s26, 0x7e00
	s_xor_b64 s[20:21], exec, -1
; %bb.1344:
	s_or_b64 exec, exec, s[24:25]
	s_and_b64 s[20:21], s[20:21], exec
	s_or_saveexec_b64 s[22:23], s[22:23]
	v_mov_b32_e32 v6, s26
	s_xor_b64 exec, exec, s[22:23]
	s_cbranch_execnz .LBB23_1365
.LBB23_1345:
	s_or_b64 exec, exec, s[22:23]
	s_and_saveexec_b64 s[22:23], s[20:21]
	s_cbranch_execz .LBB23_1347
.LBB23_1346:
	v_lshlrev_b32_e32 v6, 24, v12
	v_and_b32_e32 v12, 0xffff, v12
	v_and_b32_e32 v13, 3, v12
	v_ffbh_u32_e32 v15, v13
	v_min_u32_e32 v15, 32, v15
	v_subrev_u32_e32 v16, 29, v15
	v_bfe_u32 v14, v12, 2, 5
	v_lshlrev_b32_e32 v12, v16, v12
	v_sub_u32_e32 v15, 30, v15
	v_and_b32_e32 v12, 3, v12
	v_cmp_eq_u32_e32 vcc, 0, v14
	v_cndmask_b32_e32 v14, v14, v15, vcc
	v_cndmask_b32_e32 v12, v13, v12, vcc
	v_mov_b32_e32 v13, 0x37800000
	v_lshlrev_b32_e32 v12, 21, v12
	v_and_b32_e32 v6, 0x80000000, v6
	v_lshl_add_u32 v13, v14, 23, v13
	v_or3_b32 v6, v6, v13, v12
	v_cvt_f16_f32_e32 v6, v6
.LBB23_1347:
	s_or_b64 exec, exec, s[22:23]
	s_mov_b64 s[20:21], 0
	s_branch .LBB23_1353
.LBB23_1348:
	s_mov_b64 s[20:21], -1
                                        ; implicit-def: $vgpr6
	s_branch .LBB23_1359
.LBB23_1349:
	s_or_saveexec_b64 s[24:25], s[24:25]
	v_mov_b32_e32 v6, s28
	s_xor_b64 exec, exec, s[24:25]
	s_cbranch_execz .LBB23_1332
.LBB23_1350:
	v_cmp_ne_u16_e32 vcc, 0, v12
	s_andn2_b64 s[22:23], s[22:23], exec
	s_and_b64 s[26:27], vcc, exec
	s_or_b64 s[22:23], s[22:23], s[26:27]
	v_mov_b32_e32 v6, v12
	s_or_b64 exec, exec, s[24:25]
	s_and_saveexec_b64 s[24:25], s[22:23]
	s_cbranch_execnz .LBB23_1333
	s_branch .LBB23_1334
.LBB23_1351:
	s_mov_b64 s[20:21], -1
                                        ; implicit-def: $vgpr6
	s_branch .LBB23_1356
.LBB23_1352:
	s_mov_b64 s[20:21], -1
                                        ; implicit-def: $vgpr6
.LBB23_1353:
	s_and_b64 vcc, exec, s[20:21]
	s_cbranch_vccz .LBB23_1355
; %bb.1354:
	global_load_ubyte v6, v[0:1], off
	s_mov_b32 s20, 0x7f800000
	s_waitcnt vmcnt(0)
	v_lshlrev_b32_e32 v6, 24, v6
	v_and_b32_e32 v12, 0x7f000000, v6
	v_ffbh_u32_e32 v13, v12
	v_min_u32_e32 v13, 32, v13
	v_sub_u32_e64 v13, v13, 4 clamp
	v_lshlrev_b32_e32 v15, v13, v12
	v_lshlrev_b32_e32 v13, 23, v13
	v_lshrrev_b32_e32 v15, 4, v15
	v_add_u32_e32 v14, 0x1000000, v12
	v_sub_u32_e32 v13, v15, v13
	v_ashrrev_i32_e32 v14, 8, v14
	v_add_u32_e32 v13, 0x3c000000, v13
	v_and_or_b32 v13, v14, s20, v13
	v_cmp_ne_u32_e32 vcc, 0, v12
	v_cndmask_b32_e32 v12, 0, v13, vcc
	s_brev_b32 s20, 1
	v_and_or_b32 v6, v6, s20, v12
	v_cvt_f16_f32_e32 v6, v6
.LBB23_1355:
	s_mov_b64 s[20:21], 0
.LBB23_1356:
	s_andn2_b64 vcc, exec, s[20:21]
	s_cbranch_vccnz .LBB23_1358
; %bb.1357:
	global_load_ubyte v6, v[0:1], off
	s_movk_i32 s20, 0x7f00
	s_brev_b32 s21, 16
	s_waitcnt vmcnt(0)
	v_lshlrev_b16_e32 v12, 8, v6
	v_lshlrev_b32_e32 v6, 25, v6
	v_lshrrev_b32_e32 v13, 4, v6
	v_and_or_b32 v14, v12, s20, 0.5
	v_or_b32_e32 v13, 0x70000000, v13
	v_add_f32_e32 v14, -0.5, v14
	v_mul_f32_e32 v13, 0x7800000, v13
	v_cmp_gt_u32_e32 vcc, s21, v6
	v_bfe_i32 v12, v12, 0, 16
	v_cndmask_b32_e32 v6, v13, v14, vcc
	s_brev_b32 s20, 1
	v_and_or_b32 v6, v12, s20, v6
	v_cvt_f16_f32_e32 v6, v6
.LBB23_1358:
	s_mov_b64 s[20:21], 0
	s_mov_b64 s[22:23], -1
.LBB23_1359:
	s_andn2_b64 vcc, exec, s[20:21]
	s_mov_b64 s[20:21], 0
	s_cbranch_vccnz .LBB23_1370
; %bb.1360:
	v_cmp_lt_i16_e32 vcc, 14, v3
	s_cbranch_vccz .LBB23_1363
; %bb.1361:
	v_cmp_eq_u16_e32 vcc, 15, v3
	s_cbranch_vccz .LBB23_1366
; %bb.1362:
	global_load_ushort v6, v[0:1], off
	s_mov_b64 s[4:5], 0
	s_mov_b64 s[22:23], -1
	s_waitcnt vmcnt(0)
	v_lshlrev_b32_e32 v6, 16, v6
	v_cvt_f16_f32_e32 v6, v6
	s_branch .LBB23_1367
.LBB23_1363:
	s_mov_b64 s[24:25], -1
                                        ; implicit-def: $vgpr6
	s_branch .LBB23_1368
.LBB23_1364:
	s_or_saveexec_b64 s[22:23], s[22:23]
	v_mov_b32_e32 v6, s26
	s_xor_b64 exec, exec, s[22:23]
	s_cbranch_execz .LBB23_1345
.LBB23_1365:
	v_cmp_ne_u16_e32 vcc, 0, v12
	s_andn2_b64 s[20:21], s[20:21], exec
	s_and_b64 s[24:25], vcc, exec
	s_or_b64 s[20:21], s[20:21], s[24:25]
	v_mov_b32_e32 v6, v12
	s_or_b64 exec, exec, s[22:23]
	s_and_saveexec_b64 s[22:23], s[20:21]
	s_cbranch_execnz .LBB23_1346
	s_branch .LBB23_1347
.LBB23_1366:
	s_mov_b64 s[4:5], -1
                                        ; implicit-def: $vgpr6
.LBB23_1367:
	s_mov_b64 s[24:25], 0
.LBB23_1368:
	s_and_b64 vcc, exec, s[24:25]
	s_cbranch_vccz .LBB23_1370
; %bb.1369:
	v_cmp_ne_u16_e64 s[4:5], 11, v3
	s_mov_b64 s[20:21], -1
                                        ; implicit-def: $vgpr6
.LBB23_1370:
	s_and_b64 vcc, exec, s[4:5]
	s_cbranch_vccnz .LBB23_1435
; %bb.1371:
	s_andn2_b64 vcc, exec, s[20:21]
	s_cbranch_vccnz .LBB23_1373
.LBB23_1372:
	global_load_ubyte v6, v[0:1], off
	v_mov_b32_e32 v12, 0x3c00
	s_mov_b64 s[22:23], -1
	s_waitcnt vmcnt(0)
	v_cmp_ne_u16_e32 vcc, 0, v6
	v_cndmask_b32_e32 v6, 0, v12, vcc
.LBB23_1373:
	s_branch .LBB23_1301
.LBB23_1374:
	v_cmp_gt_i16_e32 vcc, 5, v3
	s_cbranch_vccnz .LBB23_1379
; %bb.1375:
	v_cmp_gt_i16_e32 vcc, 8, v3
	s_cbranch_vccnz .LBB23_1380
; %bb.1376:
	;; [unrolled: 3-line block ×3, first 2 shown]
	v_cmp_lt_i16_e32 vcc, 9, v3
	s_cbranch_vccz .LBB23_1382
; %bb.1378:
	global_load_dwordx2 v[12:13], v[0:1], off
	s_mov_b64 s[4:5], 0
	s_waitcnt vmcnt(0)
	v_cvt_f32_f64_e32 v6, v[12:13]
	v_cvt_f16_f32_e32 v6, v6
	s_branch .LBB23_1383
.LBB23_1379:
	s_mov_b64 s[4:5], -1
                                        ; implicit-def: $vgpr6
	s_branch .LBB23_1401
.LBB23_1380:
	s_mov_b64 s[4:5], -1
                                        ; implicit-def: $vgpr6
	s_branch .LBB23_1389
.LBB23_1381:
	s_mov_b64 s[4:5], -1
                                        ; implicit-def: $vgpr6
	s_branch .LBB23_1386
.LBB23_1382:
	s_mov_b64 s[4:5], -1
                                        ; implicit-def: $vgpr6
.LBB23_1383:
	s_andn2_b64 vcc, exec, s[4:5]
	s_cbranch_vccnz .LBB23_1385
; %bb.1384:
	global_load_dword v6, v[0:1], off
	s_waitcnt vmcnt(0)
	v_cvt_f16_f32_e32 v6, v6
.LBB23_1385:
	s_mov_b64 s[4:5], 0
.LBB23_1386:
	s_andn2_b64 vcc, exec, s[4:5]
	s_cbranch_vccnz .LBB23_1388
; %bb.1387:
	global_load_dword v6, v[0:1], off
.LBB23_1388:
	s_mov_b64 s[4:5], 0
.LBB23_1389:
	s_andn2_b64 vcc, exec, s[4:5]
	s_cbranch_vccnz .LBB23_1400
; %bb.1390:
	v_cmp_gt_i16_e32 vcc, 6, v3
	s_cbranch_vccnz .LBB23_1393
; %bb.1391:
	v_cmp_lt_i16_e32 vcc, 6, v3
	s_cbranch_vccz .LBB23_1394
; %bb.1392:
	global_load_dwordx2 v[12:13], v[0:1], off
	s_mov_b64 s[4:5], 0
	s_waitcnt vmcnt(0)
	v_cvt_f32_f64_e32 v6, v[12:13]
	v_cvt_f16_f32_e32 v6, v6
	s_branch .LBB23_1395
.LBB23_1393:
	s_mov_b64 s[4:5], -1
                                        ; implicit-def: $vgpr6
	s_branch .LBB23_1398
.LBB23_1394:
	s_mov_b64 s[4:5], -1
                                        ; implicit-def: $vgpr6
.LBB23_1395:
	s_andn2_b64 vcc, exec, s[4:5]
	s_cbranch_vccnz .LBB23_1397
; %bb.1396:
	global_load_dword v6, v[0:1], off
	s_waitcnt vmcnt(0)
	v_cvt_f16_f32_e32 v6, v6
.LBB23_1397:
	s_mov_b64 s[4:5], 0
.LBB23_1398:
	s_andn2_b64 vcc, exec, s[4:5]
	s_cbranch_vccnz .LBB23_1400
; %bb.1399:
	global_load_ushort v6, v[0:1], off
.LBB23_1400:
	s_mov_b64 s[4:5], 0
.LBB23_1401:
	s_andn2_b64 vcc, exec, s[4:5]
	s_cbranch_vccnz .LBB23_1421
; %bb.1402:
	v_cmp_gt_i16_e32 vcc, 2, v3
	s_cbranch_vccnz .LBB23_1406
; %bb.1403:
	v_cmp_gt_i16_e32 vcc, 3, v3
	s_cbranch_vccnz .LBB23_1407
; %bb.1404:
	v_cmp_lt_i16_e32 vcc, 3, v3
	s_cbranch_vccz .LBB23_1408
; %bb.1405:
	global_load_dwordx2 v[12:13], v[0:1], off
	s_mov_b64 s[4:5], 0
	s_waitcnt vmcnt(0)
	v_xor_b32_e32 v14, v12, v13
	v_ffbh_i32_e32 v6, v13
	v_ashrrev_i32_e32 v14, 31, v14
	v_add_u32_e32 v6, -1, v6
	v_add_u32_e32 v14, 32, v14
	v_min_u32_e32 v6, v6, v14
	v_lshlrev_b64 v[12:13], v6, v[12:13]
	v_min_u32_e32 v12, 1, v12
	v_or_b32_e32 v12, v13, v12
	v_cvt_f32_i32_e32 v12, v12
	v_sub_u32_e32 v6, 32, v6
	v_ldexp_f32 v6, v12, v6
	v_cvt_f16_f32_e32 v6, v6
	s_branch .LBB23_1409
.LBB23_1406:
	s_mov_b64 s[4:5], -1
                                        ; implicit-def: $vgpr6
	s_branch .LBB23_1415
.LBB23_1407:
	s_mov_b64 s[4:5], -1
                                        ; implicit-def: $vgpr6
	s_branch .LBB23_1412
.LBB23_1408:
	s_mov_b64 s[4:5], -1
                                        ; implicit-def: $vgpr6
.LBB23_1409:
	s_andn2_b64 vcc, exec, s[4:5]
	s_cbranch_vccnz .LBB23_1411
; %bb.1410:
	global_load_dword v6, v[0:1], off
	s_waitcnt vmcnt(0)
	v_cvt_f32_i32_e32 v6, v6
	v_cvt_f16_f32_e32 v6, v6
.LBB23_1411:
	s_mov_b64 s[4:5], 0
.LBB23_1412:
	s_andn2_b64 vcc, exec, s[4:5]
	s_cbranch_vccnz .LBB23_1414
; %bb.1413:
	global_load_ushort v6, v[0:1], off
	s_waitcnt vmcnt(0)
	v_cvt_f16_i16_e32 v6, v6
.LBB23_1414:
	s_mov_b64 s[4:5], 0
.LBB23_1415:
	s_andn2_b64 vcc, exec, s[4:5]
	s_cbranch_vccnz .LBB23_1421
; %bb.1416:
	v_cmp_lt_i16_e32 vcc, 0, v3
	s_cbranch_vccz .LBB23_1418
; %bb.1417:
	global_load_sbyte v6, v[0:1], off
	s_mov_b64 s[4:5], 0
	s_waitcnt vmcnt(0)
	v_cvt_f16_i16_e32 v6, v6
	s_branch .LBB23_1419
.LBB23_1418:
	s_mov_b64 s[4:5], -1
                                        ; implicit-def: $vgpr6
.LBB23_1419:
	s_andn2_b64 vcc, exec, s[4:5]
	s_cbranch_vccnz .LBB23_1421
; %bb.1420:
	global_load_ubyte v0, v[0:1], off
	s_waitcnt vmcnt(0)
	v_cvt_f16_u16_e32 v6, v0
.LBB23_1421:
.LBB23_1422:
	s_waitcnt vmcnt(0)
	v_cvt_f32_f16_e32 v12, v6
	s_mov_b32 s4, 0x7f800000
	v_mov_b32_e32 v13, v11
	v_cmp_nlg_f32_e64 s[20:21], |v12|, s4
	s_and_saveexec_b64 s[4:5], s[20:21]
	s_cbranch_execz .LBB23_1424
; %bb.1423:
	v_mov_b32_e32 v0, 0
	v_mov_b32_e32 v1, 1.0
	global_store_dword v0, v1, s[12:13]
	global_load_dword v13, v0, s[14:15]
.LBB23_1424:
	s_or_b64 exec, exec, s[4:5]
	v_add_u32_e32 v0, s3, v7
	v_ashrrev_i32_e32 v1, 31, v0
	v_mov_b32_e32 v7, s11
	v_add_co_u32_e32 v0, vcc, s10, v0
	v_addc_co_u32_e32 v1, vcc, v7, v1, vcc
	s_and_b64 vcc, exec, s[0:1]
	s_cbranch_vccnz .LBB23_1431
; %bb.1425:
	v_cmp_lt_i16_e32 vcc, 25, v3
	s_mov_b64 s[4:5], 0
	s_cbranch_vccz .LBB23_1432
; %bb.1426:
	v_cmp_lt_i16_e32 vcc, 28, v3
	s_cbranch_vccz .LBB23_1433
; %bb.1427:
	v_cmp_lt_i16_e32 vcc, 43, v3
	s_cbranch_vccz .LBB23_1434
; %bb.1428:
	v_cmp_lt_i16_e32 vcc, 45, v3
	s_cbranch_vccz .LBB23_1436
; %bb.1429:
	v_cmp_eq_u16_e32 vcc, 46, v3
	s_mov_b64 s[20:21], 0
	s_cbranch_vccz .LBB23_1437
; %bb.1430:
	global_load_dword v7, v[0:1], off
	s_mov_b64 s[0:1], 0
	s_mov_b64 s[10:11], -1
	s_waitcnt vmcnt(0)
	v_lshlrev_b32_e32 v7, 16, v7
	v_cvt_f16_f32_e32 v7, v7
	s_branch .LBB23_1438
.LBB23_1431:
	s_mov_b64 s[0:1], -1
	s_mov_b64 s[10:11], 0
                                        ; implicit-def: $vgpr7
	s_branch .LBB23_1504
.LBB23_1432:
	s_mov_b64 s[20:21], -1
	s_mov_b64 s[10:11], 0
	s_mov_b64 s[0:1], 0
                                        ; implicit-def: $vgpr7
	s_branch .LBB23_1467
.LBB23_1433:
	s_mov_b64 s[20:21], -1
	s_mov_b64 s[10:11], 0
	s_mov_b64 s[0:1], 0
                                        ; implicit-def: $vgpr7
	s_branch .LBB23_1448
.LBB23_1434:
	s_mov_b64 s[20:21], -1
	s_mov_b64 s[10:11], 0
	s_mov_b64 s[0:1], 0
                                        ; implicit-def: $vgpr7
	s_branch .LBB23_1443
.LBB23_1435:
	s_trap 2
	s_or_b64 s[18:19], s[18:19], exec
                                        ; implicit-def: $vgpr6
	s_cbranch_execz .LBB23_1372
	s_branch .LBB23_1373
.LBB23_1436:
	s_mov_b64 s[20:21], -1
	s_mov_b64 s[10:11], 0
	s_mov_b64 s[0:1], 0
                                        ; implicit-def: $vgpr7
	s_branch .LBB23_1438
.LBB23_1437:
	s_mov_b64 s[0:1], -1
                                        ; implicit-def: $vgpr7
	s_mov_b64 s[10:11], 0
.LBB23_1438:
	s_and_b64 vcc, exec, s[20:21]
	s_cbranch_vccz .LBB23_1442
; %bb.1439:
	v_cmp_eq_u16_e32 vcc, 44, v3
	s_cbranch_vccz .LBB23_1441
; %bb.1440:
	global_load_ubyte v7, v[0:1], off
	s_movk_i32 s3, 0xff
	v_mov_b32_e32 v15, 0x7e00
	s_mov_b64 s[0:1], 0
	s_mov_b64 s[10:11], -1
	s_waitcnt vmcnt(0)
	v_lshlrev_b32_e32 v14, 23, v7
	v_cvt_f16_f32_e32 v14, v14
	v_cmp_ne_u32_e32 vcc, s3, v7
	v_cndmask_b32_e32 v14, v15, v14, vcc
	v_cmp_ne_u32_e32 vcc, 0, v7
	v_cndmask_b32_e32 v7, 0, v14, vcc
	s_branch .LBB23_1442
.LBB23_1441:
	s_mov_b64 s[0:1], -1
                                        ; implicit-def: $vgpr7
.LBB23_1442:
	s_mov_b64 s[20:21], 0
.LBB23_1443:
	s_and_b64 vcc, exec, s[20:21]
	s_cbranch_vccz .LBB23_1447
; %bb.1444:
	v_cmp_eq_u16_e32 vcc, 29, v3
	s_cbranch_vccz .LBB23_1446
; %bb.1445:
	global_load_dwordx2 v[14:15], v[0:1], off
	s_mov_b64 s[0:1], 0
	s_mov_b64 s[10:11], -1
	s_mov_b64 s[20:21], 0
	s_waitcnt vmcnt(0)
	v_ffbh_u32_e32 v7, v15
	v_min_u32_e32 v7, 32, v7
	v_lshlrev_b64 v[14:15], v7, v[14:15]
	v_min_u32_e32 v14, 1, v14
	v_or_b32_e32 v14, v15, v14
	v_cvt_f32_u32_e32 v14, v14
	v_sub_u32_e32 v7, 32, v7
	v_ldexp_f32 v7, v14, v7
	v_cvt_f16_f32_e32 v7, v7
	s_branch .LBB23_1448
.LBB23_1446:
	s_mov_b64 s[0:1], -1
                                        ; implicit-def: $vgpr7
.LBB23_1447:
	s_mov_b64 s[20:21], 0
.LBB23_1448:
	s_and_b64 vcc, exec, s[20:21]
	s_cbranch_vccz .LBB23_1466
; %bb.1449:
	v_cmp_gt_i16_e32 vcc, 27, v3
	s_cbranch_vccnz .LBB23_1452
; %bb.1450:
	v_cmp_lt_i16_e32 vcc, 27, v3
	s_cbranch_vccz .LBB23_1453
; %bb.1451:
	global_load_dword v7, v[0:1], off
	s_mov_b64 s[10:11], 0
	s_waitcnt vmcnt(0)
	v_cvt_f32_u32_e32 v7, v7
	v_cvt_f16_f32_e32 v7, v7
	s_branch .LBB23_1454
.LBB23_1452:
	s_mov_b64 s[10:11], -1
                                        ; implicit-def: $vgpr7
	s_branch .LBB23_1457
.LBB23_1453:
	s_mov_b64 s[10:11], -1
                                        ; implicit-def: $vgpr7
.LBB23_1454:
	s_andn2_b64 vcc, exec, s[10:11]
	s_cbranch_vccnz .LBB23_1456
; %bb.1455:
	global_load_ushort v7, v[0:1], off
	s_waitcnt vmcnt(0)
	v_cvt_f16_u16_e32 v7, v7
.LBB23_1456:
	s_mov_b64 s[10:11], 0
.LBB23_1457:
	s_andn2_b64 vcc, exec, s[10:11]
	s_cbranch_vccnz .LBB23_1465
; %bb.1458:
	global_load_ubyte v14, v[0:1], off
	s_movk_i32 s3, 0x7f
	s_mov_b64 s[10:11], 0
	s_waitcnt vmcnt(0)
	v_cmp_lt_i16_e32 vcc, s3, v14
                                        ; implicit-def: $sgpr3
	s_and_saveexec_b64 s[20:21], vcc
	s_xor_b64 s[20:21], exec, s[20:21]
	s_cbranch_execz .LBB23_1479
; %bb.1459:
	s_movk_i32 s3, 0x80
	v_cmp_eq_u16_e32 vcc, s3, v14
	s_mov_b64 s[10:11], -1
                                        ; implicit-def: $sgpr3
	s_and_saveexec_b64 s[22:23], vcc
; %bb.1460:
	s_movk_i32 s3, 0x7e00
	s_xor_b64 s[10:11], exec, -1
; %bb.1461:
	s_or_b64 exec, exec, s[22:23]
	s_and_b64 s[10:11], s[10:11], exec
	s_or_saveexec_b64 s[20:21], s[20:21]
	v_mov_b32_e32 v7, s3
	s_xor_b64 exec, exec, s[20:21]
	s_cbranch_execnz .LBB23_1480
.LBB23_1462:
	s_or_b64 exec, exec, s[20:21]
	s_and_saveexec_b64 s[20:21], s[10:11]
	s_cbranch_execz .LBB23_1464
.LBB23_1463:
	v_lshlrev_b32_e32 v7, 24, v14
	v_and_b32_e32 v14, 0xffff, v14
	v_and_b32_e32 v15, 7, v14
	v_ffbh_u32_e32 v17, v15
	v_min_u32_e32 v17, 32, v17
	v_subrev_u32_e32 v18, 28, v17
	v_bfe_u32 v16, v14, 3, 4
	v_lshlrev_b32_e32 v14, v18, v14
	v_sub_u32_e32 v17, 29, v17
	v_and_b32_e32 v14, 7, v14
	v_cmp_eq_u32_e32 vcc, 0, v16
	v_cndmask_b32_e32 v16, v16, v17, vcc
	v_cndmask_b32_e32 v14, v15, v14, vcc
	v_mov_b32_e32 v15, 0x3b800000
	v_lshlrev_b32_e32 v14, 20, v14
	v_and_b32_e32 v7, 0x80000000, v7
	v_lshl_add_u32 v15, v16, 23, v15
	v_or3_b32 v7, v7, v15, v14
	v_cvt_f16_f32_e32 v7, v7
.LBB23_1464:
	s_or_b64 exec, exec, s[20:21]
.LBB23_1465:
	s_mov_b64 s[10:11], -1
.LBB23_1466:
	s_mov_b64 s[20:21], 0
.LBB23_1467:
	s_and_b64 vcc, exec, s[20:21]
	s_cbranch_vccz .LBB23_1500
; %bb.1468:
	v_cmp_lt_i16_e32 vcc, 22, v3
	s_cbranch_vccz .LBB23_1478
; %bb.1469:
	v_cmp_gt_i16_e32 vcc, 24, v3
	s_cbranch_vccnz .LBB23_1481
; %bb.1470:
	v_cmp_lt_i16_e32 vcc, 24, v3
	s_cbranch_vccz .LBB23_1482
; %bb.1471:
	global_load_ubyte v14, v[0:1], off
	s_movk_i32 s3, 0x7f
	s_waitcnt vmcnt(0)
	v_cmp_lt_i16_e32 vcc, s3, v14
                                        ; implicit-def: $sgpr3
	s_and_saveexec_b64 s[10:11], vcc
	s_xor_b64 s[10:11], exec, s[10:11]
	s_cbranch_execz .LBB23_1494
; %bb.1472:
	s_movk_i32 s3, 0x80
	v_cmp_eq_u16_e32 vcc, s3, v14
	s_mov_b64 s[4:5], -1
                                        ; implicit-def: $sgpr3
	s_and_saveexec_b64 s[20:21], vcc
; %bb.1473:
	s_movk_i32 s3, 0x7e00
	s_xor_b64 s[4:5], exec, -1
; %bb.1474:
	s_or_b64 exec, exec, s[20:21]
	s_and_b64 s[4:5], s[4:5], exec
	s_or_saveexec_b64 s[10:11], s[10:11]
	v_mov_b32_e32 v7, s3
	s_xor_b64 exec, exec, s[10:11]
	s_cbranch_execnz .LBB23_1495
.LBB23_1475:
	s_or_b64 exec, exec, s[10:11]
	s_and_saveexec_b64 s[10:11], s[4:5]
	s_cbranch_execz .LBB23_1477
.LBB23_1476:
	v_lshlrev_b32_e32 v7, 24, v14
	v_and_b32_e32 v14, 0xffff, v14
	v_and_b32_e32 v15, 3, v14
	v_ffbh_u32_e32 v17, v15
	v_min_u32_e32 v17, 32, v17
	v_subrev_u32_e32 v18, 29, v17
	v_bfe_u32 v16, v14, 2, 5
	v_lshlrev_b32_e32 v14, v18, v14
	v_sub_u32_e32 v17, 30, v17
	v_and_b32_e32 v14, 3, v14
	v_cmp_eq_u32_e32 vcc, 0, v16
	v_cndmask_b32_e32 v16, v16, v17, vcc
	v_cndmask_b32_e32 v14, v15, v14, vcc
	v_mov_b32_e32 v15, 0x37800000
	v_lshlrev_b32_e32 v14, 21, v14
	v_and_b32_e32 v7, 0x80000000, v7
	v_lshl_add_u32 v15, v16, 23, v15
	v_or3_b32 v7, v7, v15, v14
	v_cvt_f16_f32_e32 v7, v7
.LBB23_1477:
	s_or_b64 exec, exec, s[10:11]
	s_mov_b64 s[4:5], 0
	s_branch .LBB23_1483
.LBB23_1478:
	s_mov_b64 s[4:5], -1
                                        ; implicit-def: $vgpr7
	s_branch .LBB23_1489
.LBB23_1479:
	s_or_saveexec_b64 s[20:21], s[20:21]
	v_mov_b32_e32 v7, s3
	s_xor_b64 exec, exec, s[20:21]
	s_cbranch_execz .LBB23_1462
.LBB23_1480:
	v_cmp_ne_u16_e32 vcc, 0, v14
	s_andn2_b64 s[10:11], s[10:11], exec
	s_and_b64 s[22:23], vcc, exec
	s_or_b64 s[10:11], s[10:11], s[22:23]
	v_mov_b32_e32 v7, v14
	s_or_b64 exec, exec, s[20:21]
	s_and_saveexec_b64 s[20:21], s[10:11]
	s_cbranch_execnz .LBB23_1463
	s_branch .LBB23_1464
.LBB23_1481:
	s_mov_b64 s[4:5], -1
                                        ; implicit-def: $vgpr7
	s_branch .LBB23_1486
.LBB23_1482:
	s_mov_b64 s[4:5], -1
                                        ; implicit-def: $vgpr7
.LBB23_1483:
	s_and_b64 vcc, exec, s[4:5]
	s_cbranch_vccz .LBB23_1485
; %bb.1484:
	global_load_ubyte v7, v[0:1], off
	s_mov_b32 s3, 0x7f800000
	s_waitcnt vmcnt(0)
	v_lshlrev_b32_e32 v7, 24, v7
	v_and_b32_e32 v14, 0x7f000000, v7
	v_ffbh_u32_e32 v15, v14
	v_min_u32_e32 v15, 32, v15
	v_sub_u32_e64 v15, v15, 4 clamp
	v_lshlrev_b32_e32 v17, v15, v14
	v_lshlrev_b32_e32 v15, 23, v15
	v_lshrrev_b32_e32 v17, 4, v17
	v_add_u32_e32 v16, 0x1000000, v14
	v_sub_u32_e32 v15, v17, v15
	v_ashrrev_i32_e32 v16, 8, v16
	v_add_u32_e32 v15, 0x3c000000, v15
	v_and_or_b32 v15, v16, s3, v15
	v_cmp_ne_u32_e32 vcc, 0, v14
	v_cndmask_b32_e32 v14, 0, v15, vcc
	s_brev_b32 s3, 1
	v_and_or_b32 v7, v7, s3, v14
	v_cvt_f16_f32_e32 v7, v7
.LBB23_1485:
	s_mov_b64 s[4:5], 0
.LBB23_1486:
	s_andn2_b64 vcc, exec, s[4:5]
	s_cbranch_vccnz .LBB23_1488
; %bb.1487:
	global_load_ubyte v7, v[0:1], off
	s_movk_i32 s3, 0x7f00
	s_brev_b32 s4, 16
	s_waitcnt vmcnt(0)
	v_lshlrev_b16_e32 v14, 8, v7
	v_lshlrev_b32_e32 v7, 25, v7
	v_lshrrev_b32_e32 v15, 4, v7
	v_and_or_b32 v16, v14, s3, 0.5
	v_or_b32_e32 v15, 0x70000000, v15
	v_add_f32_e32 v16, -0.5, v16
	v_mul_f32_e32 v15, 0x7800000, v15
	v_cmp_gt_u32_e32 vcc, s4, v7
	v_bfe_i32 v14, v14, 0, 16
	v_cndmask_b32_e32 v7, v15, v16, vcc
	s_brev_b32 s3, 1
	v_and_or_b32 v7, v14, s3, v7
	v_cvt_f16_f32_e32 v7, v7
.LBB23_1488:
	s_mov_b64 s[4:5], 0
	s_mov_b64 s[10:11], -1
.LBB23_1489:
	s_andn2_b64 vcc, exec, s[4:5]
	s_mov_b64 s[4:5], 0
	s_cbranch_vccnz .LBB23_1500
; %bb.1490:
	v_cmp_lt_i16_e32 vcc, 14, v3
	s_cbranch_vccz .LBB23_1493
; %bb.1491:
	v_cmp_eq_u16_e32 vcc, 15, v3
	s_cbranch_vccz .LBB23_1496
; %bb.1492:
	global_load_ushort v7, v[0:1], off
	s_mov_b64 s[0:1], 0
	s_mov_b64 s[10:11], -1
	s_waitcnt vmcnt(0)
	v_lshlrev_b32_e32 v7, 16, v7
	v_cvt_f16_f32_e32 v7, v7
	s_branch .LBB23_1497
.LBB23_1493:
	s_mov_b64 s[20:21], -1
                                        ; implicit-def: $vgpr7
	s_branch .LBB23_1498
.LBB23_1494:
	s_or_saveexec_b64 s[10:11], s[10:11]
	v_mov_b32_e32 v7, s3
	s_xor_b64 exec, exec, s[10:11]
	s_cbranch_execz .LBB23_1475
.LBB23_1495:
	v_cmp_ne_u16_e32 vcc, 0, v14
	s_andn2_b64 s[4:5], s[4:5], exec
	s_and_b64 s[20:21], vcc, exec
	s_or_b64 s[4:5], s[4:5], s[20:21]
	v_mov_b32_e32 v7, v14
	s_or_b64 exec, exec, s[10:11]
	s_and_saveexec_b64 s[10:11], s[4:5]
	s_cbranch_execnz .LBB23_1476
	s_branch .LBB23_1477
.LBB23_1496:
	s_mov_b64 s[0:1], -1
                                        ; implicit-def: $vgpr7
.LBB23_1497:
	s_mov_b64 s[20:21], 0
.LBB23_1498:
	s_and_b64 vcc, exec, s[20:21]
	s_cbranch_vccz .LBB23_1500
; %bb.1499:
	v_cmp_ne_u16_e64 s[0:1], 11, v3
	s_mov_b64 s[4:5], -1
                                        ; implicit-def: $vgpr7
.LBB23_1500:
	s_and_b64 vcc, exec, s[0:1]
	s_cbranch_vccnz .LBB23_1566
; %bb.1501:
	s_andn2_b64 vcc, exec, s[4:5]
	s_cbranch_vccnz .LBB23_1503
.LBB23_1502:
	global_load_ubyte v7, v[0:1], off
	v_mov_b32_e32 v14, 0x3c00
	s_mov_b64 s[10:11], -1
	s_waitcnt vmcnt(0)
	v_cmp_ne_u16_e32 vcc, 0, v7
	v_cndmask_b32_e32 v7, 0, v14, vcc
.LBB23_1503:
	s_mov_b64 s[0:1], 0
.LBB23_1504:
	s_and_b64 vcc, exec, s[0:1]
	s_cbranch_vccz .LBB23_1553
; %bb.1505:
	v_cmp_gt_i16_e32 vcc, 5, v3
	s_cbranch_vccnz .LBB23_1510
; %bb.1506:
	v_cmp_gt_i16_e32 vcc, 8, v3
	s_cbranch_vccnz .LBB23_1511
	;; [unrolled: 3-line block ×3, first 2 shown]
; %bb.1508:
	v_cmp_lt_i16_e32 vcc, 9, v3
	s_cbranch_vccz .LBB23_1513
; %bb.1509:
	global_load_dwordx2 v[14:15], v[0:1], off
	s_mov_b64 s[0:1], 0
	s_waitcnt vmcnt(0)
	v_cvt_f32_f64_e32 v7, v[14:15]
	v_cvt_f16_f32_e32 v7, v7
	s_branch .LBB23_1514
.LBB23_1510:
	s_mov_b64 s[0:1], -1
                                        ; implicit-def: $vgpr7
	s_branch .LBB23_1532
.LBB23_1511:
	s_mov_b64 s[0:1], -1
                                        ; implicit-def: $vgpr7
	s_branch .LBB23_1520
.LBB23_1512:
	s_mov_b64 s[0:1], -1
                                        ; implicit-def: $vgpr7
	s_branch .LBB23_1517
.LBB23_1513:
	s_mov_b64 s[0:1], -1
                                        ; implicit-def: $vgpr7
.LBB23_1514:
	s_andn2_b64 vcc, exec, s[0:1]
	s_cbranch_vccnz .LBB23_1516
; %bb.1515:
	global_load_dword v7, v[0:1], off
	s_waitcnt vmcnt(0)
	v_cvt_f16_f32_e32 v7, v7
.LBB23_1516:
	s_mov_b64 s[0:1], 0
.LBB23_1517:
	s_andn2_b64 vcc, exec, s[0:1]
	s_cbranch_vccnz .LBB23_1519
; %bb.1518:
	global_load_dword v7, v[0:1], off
.LBB23_1519:
	s_mov_b64 s[0:1], 0
.LBB23_1520:
	s_andn2_b64 vcc, exec, s[0:1]
	s_cbranch_vccnz .LBB23_1531
; %bb.1521:
	v_cmp_gt_i16_e32 vcc, 6, v3
	s_cbranch_vccnz .LBB23_1524
; %bb.1522:
	v_cmp_lt_i16_e32 vcc, 6, v3
	s_cbranch_vccz .LBB23_1525
; %bb.1523:
	global_load_dwordx2 v[14:15], v[0:1], off
	s_mov_b64 s[0:1], 0
	s_waitcnt vmcnt(0)
	v_cvt_f32_f64_e32 v7, v[14:15]
	v_cvt_f16_f32_e32 v7, v7
	s_branch .LBB23_1526
.LBB23_1524:
	s_mov_b64 s[0:1], -1
                                        ; implicit-def: $vgpr7
	s_branch .LBB23_1529
.LBB23_1525:
	s_mov_b64 s[0:1], -1
                                        ; implicit-def: $vgpr7
.LBB23_1526:
	s_andn2_b64 vcc, exec, s[0:1]
	s_cbranch_vccnz .LBB23_1528
; %bb.1527:
	global_load_dword v7, v[0:1], off
	s_waitcnt vmcnt(0)
	v_cvt_f16_f32_e32 v7, v7
.LBB23_1528:
	s_mov_b64 s[0:1], 0
.LBB23_1529:
	s_andn2_b64 vcc, exec, s[0:1]
	s_cbranch_vccnz .LBB23_1531
; %bb.1530:
	global_load_ushort v7, v[0:1], off
.LBB23_1531:
	s_mov_b64 s[0:1], 0
.LBB23_1532:
	s_andn2_b64 vcc, exec, s[0:1]
	s_cbranch_vccnz .LBB23_1552
; %bb.1533:
	v_cmp_gt_i16_e32 vcc, 2, v3
	s_cbranch_vccnz .LBB23_1537
; %bb.1534:
	v_cmp_gt_i16_e32 vcc, 3, v3
	s_cbranch_vccnz .LBB23_1538
; %bb.1535:
	v_cmp_lt_i16_e32 vcc, 3, v3
	s_cbranch_vccz .LBB23_1539
; %bb.1536:
	global_load_dwordx2 v[14:15], v[0:1], off
	s_mov_b64 s[0:1], 0
	s_waitcnt vmcnt(0)
	v_xor_b32_e32 v16, v14, v15
	v_ffbh_i32_e32 v7, v15
	v_ashrrev_i32_e32 v16, 31, v16
	v_add_u32_e32 v7, -1, v7
	v_add_u32_e32 v16, 32, v16
	v_min_u32_e32 v7, v7, v16
	v_lshlrev_b64 v[14:15], v7, v[14:15]
	v_min_u32_e32 v14, 1, v14
	v_or_b32_e32 v14, v15, v14
	v_cvt_f32_i32_e32 v14, v14
	v_sub_u32_e32 v7, 32, v7
	v_ldexp_f32 v7, v14, v7
	v_cvt_f16_f32_e32 v7, v7
	s_branch .LBB23_1540
.LBB23_1537:
	s_mov_b64 s[0:1], -1
                                        ; implicit-def: $vgpr7
	s_branch .LBB23_1546
.LBB23_1538:
	s_mov_b64 s[0:1], -1
                                        ; implicit-def: $vgpr7
	s_branch .LBB23_1543
.LBB23_1539:
	s_mov_b64 s[0:1], -1
                                        ; implicit-def: $vgpr7
.LBB23_1540:
	s_andn2_b64 vcc, exec, s[0:1]
	s_cbranch_vccnz .LBB23_1542
; %bb.1541:
	global_load_dword v7, v[0:1], off
	s_waitcnt vmcnt(0)
	v_cvt_f32_i32_e32 v7, v7
	v_cvt_f16_f32_e32 v7, v7
.LBB23_1542:
	s_mov_b64 s[0:1], 0
.LBB23_1543:
	s_andn2_b64 vcc, exec, s[0:1]
	s_cbranch_vccnz .LBB23_1545
; %bb.1544:
	global_load_ushort v7, v[0:1], off
	s_waitcnt vmcnt(0)
	v_cvt_f16_i16_e32 v7, v7
.LBB23_1545:
	s_mov_b64 s[0:1], 0
.LBB23_1546:
	s_andn2_b64 vcc, exec, s[0:1]
	s_cbranch_vccnz .LBB23_1552
; %bb.1547:
	v_cmp_lt_i16_e32 vcc, 0, v3
	s_cbranch_vccz .LBB23_1549
; %bb.1548:
	global_load_sbyte v3, v[0:1], off
	s_mov_b64 s[0:1], 0
	s_waitcnt vmcnt(0)
	v_cvt_f16_i16_e32 v7, v3
	s_branch .LBB23_1550
.LBB23_1549:
	s_mov_b64 s[0:1], -1
                                        ; implicit-def: $vgpr7
.LBB23_1550:
	s_andn2_b64 vcc, exec, s[0:1]
	s_cbranch_vccnz .LBB23_1552
; %bb.1551:
	global_load_ubyte v0, v[0:1], off
	s_waitcnt vmcnt(0)
	v_cvt_f16_u16_e32 v7, v0
.LBB23_1552:
	s_mov_b64 s[10:11], -1
.LBB23_1553:
	s_andn2_b64 vcc, exec, s[10:11]
	s_cbranch_vccnz .LBB23_2009
; %bb.1554:
	s_waitcnt vmcnt(0)
	v_cvt_f32_f16_e32 v3, v7
	s_mov_b32 s0, 0x7f800000
	v_mov_b32_e32 v14, v13
	v_cmp_nlg_f32_e64 s[4:5], |v3|, s0
	s_and_saveexec_b64 s[0:1], s[4:5]
	s_cbranch_execz .LBB23_1556
; %bb.1555:
	v_mov_b32_e32 v0, 0
	v_mov_b32_e32 v1, 1.0
	global_store_dword v0, v1, s[12:13]
	global_load_dword v14, v0, s[14:15]
.LBB23_1556:
	s_or_b64 exec, exec, s[0:1]
	v_fma_mixlo_f16 v0, v9, v8, 0
	v_cmp_eq_f32_e32 vcc, 1.0, v9
	v_mul_lo_u32 v2, s2, v2
	v_cndmask_b32_e32 v4, v0, v4, vcc
	v_ashrrev_i32_e32 v1, 31, v2
	v_mov_b32_e32 v8, s9
	v_add_co_u32_e32 v0, vcc, s8, v2
	v_addc_co_u32_e32 v1, vcc, v8, v1, vcc
	v_mov_b32_e32 v8, 11
	v_cmp_lt_i16_sdwa s[0:1], s33, v8 src0_sel:BYTE_0 src1_sel:DWORD
	s_and_b64 vcc, exec, s[0:1]
	s_cbranch_vccnz .LBB23_1563
; %bb.1557:
	v_mov_b32_e32 v8, 25
	v_cmp_gt_i16_sdwa s[0:1], s33, v8 src0_sel:BYTE_0 src1_sel:DWORD
	s_mov_b64 s[12:13], -1
	s_mov_b64 s[4:5], 0
	s_and_b64 vcc, exec, s[0:1]
	s_mov_b64 s[10:11], 0
	s_mov_b64 s[0:1], 0
	s_cbranch_vccz .LBB23_1595
; %bb.1558:
	v_mov_b32_e32 v8, 28
	v_cmp_gt_i16_sdwa s[0:1], s33, v8 src0_sel:BYTE_0 src1_sel:DWORD
	s_and_b64 vcc, exec, s[0:1]
	s_cbranch_vccz .LBB23_1564
; %bb.1559:
	v_mov_b32_e32 v8, 43
	v_cmp_gt_i16_sdwa s[0:1], s33, v8 src0_sel:BYTE_0 src1_sel:DWORD
	s_and_b64 vcc, exec, s[0:1]
	;; [unrolled: 5-line block ×3, first 2 shown]
	s_cbranch_vccz .LBB23_1567
; %bb.1561:
	v_mov_b32_e32 v8, 46
	v_cmp_eq_u16_sdwa s[10:11], s33, v8 src0_sel:BYTE_0 src1_sel:DWORD
	s_mov_b64 s[0:1], -1
	s_mov_b64 s[12:13], 0
	s_and_b64 vcc, exec, s[10:11]
	s_mov_b64 s[10:11], 0
	s_cbranch_vccz .LBB23_1568
; %bb.1562:
	v_cvt_f32_f16_e32 v8, v4
	s_movk_i32 s0, 0x7fff
	v_mov_b32_e32 v9, 0x7fc0
	v_cmp_o_f16_e32 vcc, v4, v4
	v_bfe_u32 v15, v8, 16, 1
	v_add3_u32 v8, v8, v15, s0
	v_lshrrev_b32_e32 v8, 16, v8
	v_cndmask_b32_e32 v8, v9, v8, vcc
	global_store_dword v[0:1], v8, off
	s_mov_b64 s[0:1], 0
	s_mov_b64 s[10:11], -1
	s_branch .LBB23_1568
.LBB23_1563:
	s_mov_b64 s[0:1], -1
	s_mov_b64 s[10:11], 0
	s_branch .LBB23_1639
.LBB23_1564:
	s_mov_b64 s[0:1], 0
	s_branch .LBB23_1578
.LBB23_1565:
	s_mov_b64 s[0:1], 0
	s_branch .LBB23_1574
.LBB23_1566:
	s_trap 2
	s_or_b64 s[18:19], s[18:19], exec
                                        ; implicit-def: $vgpr7
	s_cbranch_execz .LBB23_1502
	s_branch .LBB23_1503
.LBB23_1567:
	s_mov_b64 s[0:1], 0
.LBB23_1568:
	s_and_b64 vcc, exec, s[12:13]
	s_cbranch_vccz .LBB23_1573
; %bb.1569:
	v_mov_b32_e32 v8, 44
	v_cmp_eq_u16_sdwa s[12:13], s33, v8 src0_sel:BYTE_0 src1_sel:DWORD
	s_mov_b64 s[0:1], -1
	s_and_b64 vcc, exec, s[12:13]
	s_cbranch_vccz .LBB23_1573
; %bb.1570:
	v_cvt_f32_f16_e32 v8, v4
	s_movk_i32 s0, 0xff
	v_mov_b32_e32 v15, 0xff
	v_bfe_u32 v9, v8, 23, 8
	v_cmp_ne_u32_e32 vcc, s0, v9
	s_and_saveexec_b64 s[10:11], vcc
; %bb.1571:
	s_mov_b32 s0, 0x3fffff
	v_lshrrev_b32_e32 v15, 23, v8
	v_and_b32_e32 v16, 0x400000, v8
	v_and_or_b32 v8, v8, s0, v9
	v_cmp_ne_u32_e32 vcc, 0, v16
	v_cmp_ne_u32_e64 s[0:1], 0, v8
	s_and_b64 s[0:1], vcc, s[0:1]
	v_cndmask_b32_e64 v8, 0, 1, s[0:1]
	v_add_u32_e32 v15, v15, v8
; %bb.1572:
	s_or_b64 exec, exec, s[10:11]
	s_mov_b64 s[0:1], 0
	s_mov_b64 s[10:11], -1
	global_store_byte v[0:1], v15, off
.LBB23_1573:
	s_mov_b64 s[12:13], 0
.LBB23_1574:
	s_and_b64 vcc, exec, s[12:13]
	s_cbranch_vccz .LBB23_1577
; %bb.1575:
	v_mov_b32_e32 v8, 29
	v_cmp_eq_u16_sdwa s[12:13], s33, v8 src0_sel:BYTE_0 src1_sel:DWORD
	s_mov_b64 s[0:1], -1
	s_and_b64 vcc, exec, s[12:13]
	s_cbranch_vccz .LBB23_1577
; %bb.1576:
	v_cvt_f32_f16_e32 v8, v4
	v_mov_b32_e32 v9, 0
	s_mov_b64 s[0:1], 0
	s_mov_b64 s[10:11], -1
	v_cvt_u32_f32_e32 v8, v8
	s_mov_b64 s[12:13], 0
	global_store_dwordx2 v[0:1], v[8:9], off
	s_branch .LBB23_1578
.LBB23_1577:
	s_mov_b64 s[12:13], 0
.LBB23_1578:
	s_and_b64 vcc, exec, s[12:13]
	s_cbranch_vccz .LBB23_1594
; %bb.1579:
	v_mov_b32_e32 v8, 27
	v_cmp_lt_i16_sdwa s[12:13], s33, v8 src0_sel:BYTE_0 src1_sel:DWORD
	s_mov_b64 s[10:11], -1
	s_and_b64 vcc, exec, s[12:13]
	s_cbranch_vccnz .LBB23_1585
; %bb.1580:
	v_cmp_gt_i16_sdwa s[12:13], s33, v8 src0_sel:BYTE_0 src1_sel:DWORD
	s_and_b64 vcc, exec, s[12:13]
	s_cbranch_vccz .LBB23_1582
; %bb.1581:
	v_cvt_f32_f16_e32 v8, v4
	s_mov_b64 s[10:11], 0
	v_cvt_u32_f32_e32 v8, v8
	global_store_dword v[0:1], v8, off
.LBB23_1582:
	s_andn2_b64 vcc, exec, s[10:11]
	s_cbranch_vccnz .LBB23_1584
; %bb.1583:
	v_cvt_u16_f16_e32 v8, v4
	global_store_short v[0:1], v8, off
.LBB23_1584:
	s_mov_b64 s[10:11], 0
.LBB23_1585:
	s_andn2_b64 vcc, exec, s[10:11]
	s_cbranch_vccnz .LBB23_1593
; %bb.1586:
	v_cvt_f32_f16_e32 v8, v4
	s_mov_b32 s3, 0x43800000
	v_mov_b32_e32 v15, 0x80
	v_and_b32_e32 v9, 0x7fffffff, v8
	v_cmp_gt_u32_e32 vcc, s3, v9
	s_and_saveexec_b64 s[10:11], vcc
	s_cbranch_execz .LBB23_1592
; %bb.1587:
	s_mov_b32 s3, 0x3bffffff
	v_cmp_lt_u32_e32 vcc, s3, v9
	s_mov_b64 s[12:13], 0
                                        ; implicit-def: $vgpr9
	s_and_saveexec_b64 s[14:15], vcc
	s_xor_b64 s[14:15], exec, s[14:15]
	s_cbranch_execz .LBB23_1688
; %bb.1588:
	v_bfe_u32 v9, v8, 20, 1
	s_mov_b32 s3, 0x487ffff
	v_add3_u32 v9, v8, v9, s3
	s_mov_b64 s[12:13], exec
	v_lshrrev_b32_e32 v9, 20, v9
	s_or_saveexec_b64 s[14:15], s[14:15]
                                        ; implicit-def: $sgpr3
	s_xor_b64 exec, exec, s[14:15]
	s_cbranch_execnz .LBB23_1689
.LBB23_1589:
	s_or_b64 exec, exec, s[14:15]
	v_mov_b32_e32 v15, s3
	s_and_saveexec_b64 s[14:15], s[12:13]
.LBB23_1590:
	v_lshrrev_b32_e32 v8, 24, v8
	s_movk_i32 s3, 0x80
	v_and_or_b32 v15, v8, s3, v9
.LBB23_1591:
	s_or_b64 exec, exec, s[14:15]
.LBB23_1592:
	s_or_b64 exec, exec, s[10:11]
	global_store_byte v[0:1], v15, off
.LBB23_1593:
	s_mov_b64 s[10:11], -1
.LBB23_1594:
	s_mov_b64 s[12:13], 0
.LBB23_1595:
	s_and_b64 vcc, exec, s[12:13]
	s_cbranch_vccz .LBB23_1635
; %bb.1596:
	v_mov_b32_e32 v8, 22
	v_cmp_gt_i16_sdwa s[12:13], s33, v8 src0_sel:BYTE_0 src1_sel:DWORD
	s_mov_b64 s[4:5], -1
	s_and_b64 vcc, exec, s[12:13]
	s_cbranch_vccz .LBB23_1628
; %bb.1597:
	v_mov_b32_e32 v8, 24
	v_cmp_lt_i16_sdwa s[10:11], s33, v8 src0_sel:BYTE_0 src1_sel:DWORD
	s_and_b64 vcc, exec, s[10:11]
	s_cbranch_vccnz .LBB23_1617
; %bb.1598:
	v_cmp_gt_i16_sdwa s[10:11], s33, v8 src0_sel:BYTE_0 src1_sel:DWORD
	s_and_b64 vcc, exec, s[10:11]
	s_cbranch_vccz .LBB23_1606
; %bb.1599:
	v_cvt_f32_f16_e32 v8, v4
	s_mov_b32 s3, 0x47800000
	v_mov_b32_e32 v15, 0x80
	v_and_b32_e32 v9, 0x7fffffff, v8
	v_cmp_gt_u32_e32 vcc, s3, v9
	s_and_saveexec_b64 s[4:5], vcc
	s_cbranch_execz .LBB23_1605
; %bb.1600:
	s_mov_b32 s3, 0x37ffffff
	v_cmp_lt_u32_e32 vcc, s3, v9
	s_mov_b64 s[10:11], 0
                                        ; implicit-def: $vgpr9
	s_and_saveexec_b64 s[12:13], vcc
	s_xor_b64 s[12:13], exec, s[12:13]
	s_cbranch_execz .LBB23_1692
; %bb.1601:
	v_bfe_u32 v9, v8, 21, 1
	s_mov_b32 s3, 0x88fffff
	v_add3_u32 v9, v8, v9, s3
	s_mov_b64 s[10:11], exec
	v_lshrrev_b32_e32 v9, 21, v9
	s_or_saveexec_b64 s[12:13], s[12:13]
                                        ; implicit-def: $sgpr3
	s_xor_b64 exec, exec, s[12:13]
	s_cbranch_execnz .LBB23_1693
.LBB23_1602:
	s_or_b64 exec, exec, s[12:13]
	v_mov_b32_e32 v15, s3
	s_and_saveexec_b64 s[12:13], s[10:11]
.LBB23_1603:
	v_lshrrev_b32_e32 v8, 24, v8
	s_movk_i32 s3, 0x80
	v_and_or_b32 v15, v8, s3, v9
.LBB23_1604:
	s_or_b64 exec, exec, s[12:13]
.LBB23_1605:
	s_or_b64 exec, exec, s[4:5]
	s_mov_b64 s[4:5], 0
	global_store_byte v[0:1], v15, off
.LBB23_1606:
	s_and_b64 vcc, exec, s[4:5]
	s_cbranch_vccz .LBB23_1616
; %bb.1607:
	v_cvt_f32_f16_e32 v8, v4
	s_mov_b32 s3, 0x43f00000
                                        ; implicit-def: $vgpr9
	v_and_b32_e32 v15, 0x7fffffff, v8
	v_cmp_gt_u32_e32 vcc, s3, v15
	s_and_saveexec_b64 s[4:5], vcc
	s_xor_b64 s[4:5], exec, s[4:5]
	s_cbranch_execz .LBB23_1613
; %bb.1608:
	s_mov_b32 s3, 0x3c7fffff
	v_cmp_lt_u32_e32 vcc, s3, v15
                                        ; implicit-def: $vgpr9
	s_and_saveexec_b64 s[10:11], vcc
	s_xor_b64 s[10:11], exec, s[10:11]
; %bb.1609:
	v_bfe_u32 v9, v8, 20, 1
	s_mov_b32 s3, 0x407ffff
	v_add3_u32 v9, v8, v9, s3
	v_lshrrev_b32_e32 v15, 20, v9
	v_and_b32_e32 v9, 0xff00000, v9
	s_mov_b32 s3, 0x7f00000
	v_mov_b32_e32 v16, 0x7e
	v_cmp_ne_u32_e32 vcc, s3, v9
	v_cndmask_b32_e32 v9, v16, v15, vcc
; %bb.1610:
	s_andn2_saveexec_b64 s[10:11], s[10:11]
; %bb.1611:
	s_mov_b32 s3, 0x46800000
	v_add_f32_e64 v9, |v8|, s3
; %bb.1612:
	s_or_b64 exec, exec, s[10:11]
                                        ; implicit-def: $vgpr15
.LBB23_1613:
	s_andn2_saveexec_b64 s[4:5], s[4:5]
; %bb.1614:
	s_mov_b32 s3, 0x7f800000
	v_mov_b32_e32 v9, 0x7e
	v_mov_b32_e32 v16, 0x7f
	v_cmp_lt_u32_e32 vcc, s3, v15
	v_cndmask_b32_e32 v9, v9, v16, vcc
; %bb.1615:
	s_or_b64 exec, exec, s[4:5]
	v_lshrrev_b32_e32 v8, 24, v8
	s_movk_i32 s3, 0x80
	v_and_or_b32 v8, v8, s3, v9
	global_store_byte v[0:1], v8, off
.LBB23_1616:
	s_mov_b64 s[4:5], 0
.LBB23_1617:
	s_andn2_b64 vcc, exec, s[4:5]
	s_cbranch_vccnz .LBB23_1627
; %bb.1618:
	v_cvt_f32_f16_e32 v8, v4
	s_mov_b32 s3, 0x47800000
                                        ; implicit-def: $vgpr9
	v_and_b32_e32 v15, 0x7fffffff, v8
	v_cmp_gt_u32_e32 vcc, s3, v15
	s_and_saveexec_b64 s[4:5], vcc
	s_xor_b64 s[4:5], exec, s[4:5]
	s_cbranch_execz .LBB23_1624
; %bb.1619:
	s_mov_b32 s3, 0x387fffff
	v_cmp_lt_u32_e32 vcc, s3, v15
                                        ; implicit-def: $vgpr9
	s_and_saveexec_b64 s[10:11], vcc
	s_xor_b64 s[10:11], exec, s[10:11]
; %bb.1620:
	v_bfe_u32 v9, v8, 21, 1
	s_mov_b32 s3, 0x80fffff
	v_add3_u32 v9, v8, v9, s3
	v_lshrrev_b32_e32 v9, 21, v9
; %bb.1621:
	s_andn2_saveexec_b64 s[10:11], s[10:11]
; %bb.1622:
	s_mov_b32 s3, 0x43000000
	v_add_f32_e64 v9, |v8|, s3
; %bb.1623:
	s_or_b64 exec, exec, s[10:11]
                                        ; implicit-def: $vgpr15
.LBB23_1624:
	s_andn2_saveexec_b64 s[4:5], s[4:5]
; %bb.1625:
	s_mov_b32 s3, 0x7f800000
	v_mov_b32_e32 v9, 0x7c
	v_mov_b32_e32 v16, 0x7f
	v_cmp_lt_u32_e32 vcc, s3, v15
	v_cndmask_b32_e32 v9, v9, v16, vcc
; %bb.1626:
	s_or_b64 exec, exec, s[4:5]
	v_lshrrev_b32_e32 v8, 24, v8
	s_movk_i32 s3, 0x80
	v_and_or_b32 v8, v8, s3, v9
	global_store_byte v[0:1], v8, off
.LBB23_1627:
	s_mov_b64 s[4:5], 0
	s_mov_b64 s[10:11], -1
.LBB23_1628:
	s_andn2_b64 vcc, exec, s[4:5]
	s_mov_b64 s[4:5], 0
	s_cbranch_vccnz .LBB23_1635
; %bb.1629:
	v_mov_b32_e32 v8, 14
	v_cmp_gt_i16_sdwa s[4:5], s33, v8 src0_sel:BYTE_0 src1_sel:DWORD
	s_mov_b64 s[12:13], -1
	s_and_b64 vcc, exec, s[4:5]
	s_cbranch_vccz .LBB23_1633
; %bb.1630:
	v_mov_b32_e32 v8, 15
	v_cmp_eq_u16_sdwa s[4:5], s33, v8 src0_sel:BYTE_0 src1_sel:DWORD
	s_mov_b64 s[0:1], -1
	s_and_b64 vcc, exec, s[4:5]
	s_cbranch_vccz .LBB23_1632
; %bb.1631:
	v_cvt_f32_f16_e32 v8, v4
	s_movk_i32 s0, 0x7fff
	v_mov_b32_e32 v9, 0x7fc0
	v_cmp_o_f16_e32 vcc, v4, v4
	v_bfe_u32 v15, v8, 16, 1
	v_add3_u32 v8, v8, v15, s0
	v_lshrrev_b32_e32 v8, 16, v8
	v_cndmask_b32_e32 v8, v9, v8, vcc
	global_store_short v[0:1], v8, off
	s_mov_b64 s[0:1], 0
	s_mov_b64 s[10:11], -1
.LBB23_1632:
	s_mov_b64 s[12:13], 0
.LBB23_1633:
	s_mov_b64 s[4:5], 0
	s_and_b64 vcc, exec, s[12:13]
	s_cbranch_vccz .LBB23_1635
; %bb.1634:
	v_mov_b32_e32 v8, 11
	v_cmp_ne_u16_sdwa s[0:1], s33, v8 src0_sel:BYTE_0 src1_sel:DWORD
	s_mov_b64 s[4:5], -1
.LBB23_1635:
	s_and_b64 vcc, exec, s[0:1]
	s_cbranch_vccnz .LBB23_1691
; %bb.1636:
	s_andn2_b64 vcc, exec, s[4:5]
	s_cbranch_vccnz .LBB23_1638
.LBB23_1637:
	v_cmp_neq_f16_e32 vcc, 0, v4
	v_cndmask_b32_e64 v8, 0, 1, vcc
	s_mov_b64 s[10:11], -1
	global_store_byte v[0:1], v8, off
.LBB23_1638:
	s_mov_b64 s[0:1], 0
.LBB23_1639:
	s_and_b64 vcc, exec, s[0:1]
	s_cbranch_vccz .LBB23_1678
; %bb.1640:
	v_mov_b32_e32 v8, 5
	v_cmp_lt_i16_sdwa s[4:5], s33, v8 src0_sel:BYTE_0 src1_sel:DWORD
	s_mov_b64 s[0:1], -1
	s_and_b64 vcc, exec, s[4:5]
	s_cbranch_vccnz .LBB23_1661
; %bb.1641:
	v_mov_b32_e32 v8, 8
	v_cmp_lt_i16_sdwa s[4:5], s33, v8 src0_sel:BYTE_0 src1_sel:DWORD
	s_and_b64 vcc, exec, s[4:5]
	s_cbranch_vccnz .LBB23_1651
; %bb.1642:
	v_mov_b32_e32 v8, 9
	v_cmp_lt_i16_sdwa s[4:5], s33, v8 src0_sel:BYTE_0 src1_sel:DWORD
	s_and_b64 vcc, exec, s[4:5]
	s_cbranch_vccnz .LBB23_1648
; %bb.1643:
	v_cmp_gt_i16_sdwa s[4:5], s33, v8 src0_sel:BYTE_0 src1_sel:DWORD
	s_and_b64 vcc, exec, s[4:5]
	s_cbranch_vccz .LBB23_1645
; %bb.1644:
	v_cvt_f32_f16_e32 v8, v4
	v_mov_b32_e32 v18, 0
	v_mov_b32_e32 v19, v18
	s_mov_b64 s[0:1], 0
	v_cvt_f64_f32_e32 v[16:17], v8
	global_store_dwordx4 v[0:1], v[16:19], off
.LBB23_1645:
	s_andn2_b64 vcc, exec, s[0:1]
	s_cbranch_vccnz .LBB23_1647
; %bb.1646:
	v_cvt_f32_f16_e32 v8, v4
	v_mov_b32_e32 v9, 0
	global_store_dwordx2 v[0:1], v[8:9], off
.LBB23_1647:
	s_mov_b64 s[0:1], 0
.LBB23_1648:
	s_andn2_b64 vcc, exec, s[0:1]
	s_cbranch_vccnz .LBB23_1650
; %bb.1649:
	v_and_b32_e32 v8, 0xffff, v4
	global_store_dword v[0:1], v8, off
.LBB23_1650:
	s_mov_b64 s[0:1], 0
.LBB23_1651:
	s_andn2_b64 vcc, exec, s[0:1]
	s_cbranch_vccnz .LBB23_1660
; %bb.1652:
	v_mov_b32_e32 v8, 6
	v_cmp_lt_i16_sdwa s[4:5], s33, v8 src0_sel:BYTE_0 src1_sel:DWORD
	s_mov_b64 s[0:1], -1
	s_and_b64 vcc, exec, s[4:5]
	s_cbranch_vccnz .LBB23_1658
; %bb.1653:
	v_cmp_gt_i16_sdwa s[4:5], s33, v8 src0_sel:BYTE_0 src1_sel:DWORD
	s_and_b64 vcc, exec, s[4:5]
	s_cbranch_vccz .LBB23_1655
; %bb.1654:
	v_cvt_f32_f16_e32 v8, v4
	s_mov_b64 s[0:1], 0
	v_cvt_f64_f32_e32 v[8:9], v8
	global_store_dwordx2 v[0:1], v[8:9], off
.LBB23_1655:
	s_andn2_b64 vcc, exec, s[0:1]
	s_cbranch_vccnz .LBB23_1657
; %bb.1656:
	v_cvt_f32_f16_e32 v8, v4
	global_store_dword v[0:1], v8, off
.LBB23_1657:
	s_mov_b64 s[0:1], 0
.LBB23_1658:
	s_andn2_b64 vcc, exec, s[0:1]
	s_cbranch_vccnz .LBB23_1660
; %bb.1659:
	global_store_short v[0:1], v4, off
.LBB23_1660:
	s_mov_b64 s[0:1], 0
.LBB23_1661:
	s_andn2_b64 vcc, exec, s[0:1]
	s_cbranch_vccnz .LBB23_1677
; %bb.1662:
	v_mov_b32_e32 v8, 2
	v_cmp_lt_i16_sdwa s[4:5], s33, v8 src0_sel:BYTE_0 src1_sel:DWORD
	s_mov_b64 s[0:1], -1
	s_and_b64 vcc, exec, s[4:5]
	s_cbranch_vccnz .LBB23_1672
; %bb.1663:
	v_mov_b32_e32 v8, 3
	v_cmp_lt_i16_sdwa s[4:5], s33, v8 src0_sel:BYTE_0 src1_sel:DWORD
	s_and_b64 vcc, exec, s[4:5]
	s_cbranch_vccnz .LBB23_1669
; %bb.1664:
	v_cmp_gt_i16_sdwa s[4:5], s33, v8 src0_sel:BYTE_0 src1_sel:DWORD
	s_and_b64 vcc, exec, s[4:5]
	s_cbranch_vccz .LBB23_1666
; %bb.1665:
	v_cvt_f32_f16_e32 v8, v4
	s_mov_b64 s[0:1], 0
	v_cvt_i32_f32_e32 v8, v8
	v_ashrrev_i32_e32 v9, 31, v8
	global_store_dwordx2 v[0:1], v[8:9], off
.LBB23_1666:
	s_andn2_b64 vcc, exec, s[0:1]
	s_cbranch_vccnz .LBB23_1668
; %bb.1667:
	v_cvt_f32_f16_e32 v8, v4
	v_cvt_i32_f32_e32 v8, v8
	global_store_dword v[0:1], v8, off
.LBB23_1668:
	s_mov_b64 s[0:1], 0
.LBB23_1669:
	s_andn2_b64 vcc, exec, s[0:1]
	s_cbranch_vccnz .LBB23_1671
; %bb.1670:
	v_cvt_i16_f16_e32 v8, v4
	global_store_short v[0:1], v8, off
.LBB23_1671:
	s_mov_b64 s[0:1], 0
.LBB23_1672:
	s_andn2_b64 vcc, exec, s[0:1]
	s_cbranch_vccnz .LBB23_1677
; %bb.1673:
	v_mov_b32_e32 v8, 0
	v_cmp_gt_i16_sdwa s[4:5], s33, v8 src0_sel:BYTE_0 src1_sel:DWORD
	s_mov_b64 s[0:1], -1
	s_and_b64 vcc, exec, s[4:5]
	s_cbranch_vccz .LBB23_1675
; %bb.1674:
	v_cvt_i16_f16_e32 v8, v4
	global_store_byte v[0:1], v8, off
	s_mov_b64 s[0:1], 0
.LBB23_1675:
	s_andn2_b64 vcc, exec, s[0:1]
	s_cbranch_vccnz .LBB23_1677
; %bb.1676:
	v_cvt_f32_f16_e32 v4, v4
	v_cvt_i32_f32_e32 v4, v4
	global_store_byte v[0:1], v4, off
.LBB23_1677:
	s_mov_b64 s[10:11], -1
.LBB23_1678:
	s_andn2_b64 vcc, exec, s[10:11]
	s_cbranch_vccnz .LBB23_2009
; %bb.1679:
	s_lshl_b32 s14, s2, 7
	v_fma_mixlo_f16 v0, v11, v10, 0
	v_cmp_eq_f32_e32 vcc, 1.0, v11
	v_add_u32_e32 v2, s14, v2
	v_cndmask_b32_e32 v4, v0, v5, vcc
	v_ashrrev_i32_e32 v1, 31, v2
	v_mov_b32_e32 v5, s9
	v_add_co_u32_e32 v0, vcc, s8, v2
	v_addc_co_u32_e32 v1, vcc, v5, v1, vcc
	v_mov_b32_e32 v5, 11
	v_cmp_lt_i16_sdwa s[0:1], s33, v5 src0_sel:BYTE_0 src1_sel:DWORD
	s_and_b64 vcc, exec, s[0:1]
	s_cbranch_vccnz .LBB23_1686
; %bb.1680:
	v_mov_b32_e32 v5, 25
	v_cmp_gt_i16_sdwa s[0:1], s33, v5 src0_sel:BYTE_0 src1_sel:DWORD
	s_mov_b64 s[10:11], -1
	s_mov_b64 s[2:3], 0
	s_and_b64 vcc, exec, s[0:1]
	s_mov_b64 s[4:5], 0
	s_mov_b64 s[0:1], 0
	s_cbranch_vccz .LBB23_1722
; %bb.1681:
	v_mov_b32_e32 v5, 28
	v_cmp_gt_i16_sdwa s[0:1], s33, v5 src0_sel:BYTE_0 src1_sel:DWORD
	s_and_b64 vcc, exec, s[0:1]
	s_cbranch_vccz .LBB23_1687
; %bb.1682:
	v_mov_b32_e32 v5, 43
	v_cmp_gt_i16_sdwa s[0:1], s33, v5 src0_sel:BYTE_0 src1_sel:DWORD
	s_and_b64 vcc, exec, s[0:1]
	s_cbranch_vccz .LBB23_1690
; %bb.1683:
	v_mov_b32_e32 v5, 45
	v_cmp_gt_i16_sdwa s[0:1], s33, v5 src0_sel:BYTE_0 src1_sel:DWORD
	s_and_b64 vcc, exec, s[0:1]
	s_cbranch_vccz .LBB23_1694
; %bb.1684:
	v_mov_b32_e32 v5, 46
	v_cmp_eq_u16_sdwa s[4:5], s33, v5 src0_sel:BYTE_0 src1_sel:DWORD
	s_mov_b64 s[0:1], -1
	s_mov_b64 s[10:11], 0
	s_and_b64 vcc, exec, s[4:5]
	s_mov_b64 s[4:5], 0
	s_cbranch_vccz .LBB23_1695
; %bb.1685:
	v_cvt_f32_f16_e32 v5, v4
	s_movk_i32 s0, 0x7fff
	v_mov_b32_e32 v8, 0x7fc0
	v_cmp_o_f16_e32 vcc, v4, v4
	v_bfe_u32 v9, v5, 16, 1
	v_add3_u32 v5, v5, v9, s0
	v_lshrrev_b32_e32 v5, 16, v5
	v_cndmask_b32_e32 v5, v8, v5, vcc
	global_store_dword v[0:1], v5, off
	s_mov_b64 s[0:1], 0
	s_mov_b64 s[4:5], -1
	s_branch .LBB23_1695
.LBB23_1686:
	s_mov_b64 s[0:1], -1
	s_mov_b64 s[4:5], 0
	s_branch .LBB23_1766
.LBB23_1687:
	s_mov_b64 s[0:1], 0
	s_branch .LBB23_1705
.LBB23_1688:
	s_or_saveexec_b64 s[14:15], s[14:15]
                                        ; implicit-def: $sgpr3
	s_xor_b64 exec, exec, s[14:15]
	s_cbranch_execz .LBB23_1589
.LBB23_1689:
	s_mov_b32 s3, 0x46000000
	v_add_f32_e64 v9, |v8|, s3
	v_and_b32_e32 v9, 0xff, v9
	v_cmp_ne_u32_e32 vcc, 0, v9
	s_andn2_b64 s[12:13], s[12:13], exec
	s_and_b64 s[20:21], vcc, exec
	s_mov_b32 s3, 0
	s_or_b64 s[12:13], s[12:13], s[20:21]
	s_or_b64 exec, exec, s[14:15]
	v_mov_b32_e32 v15, s3
	s_and_saveexec_b64 s[14:15], s[12:13]
	s_cbranch_execnz .LBB23_1590
	s_branch .LBB23_1591
.LBB23_1690:
	s_mov_b64 s[0:1], 0
	s_branch .LBB23_1701
.LBB23_1691:
	s_trap 2
	s_or_b64 s[18:19], s[18:19], exec
	s_cbranch_execz .LBB23_1637
	s_branch .LBB23_1638
.LBB23_1692:
	s_or_saveexec_b64 s[12:13], s[12:13]
                                        ; implicit-def: $sgpr3
	s_xor_b64 exec, exec, s[12:13]
	s_cbranch_execz .LBB23_1602
.LBB23_1693:
	s_mov_b32 s3, 0x42800000
	v_add_f32_e64 v9, |v8|, s3
	v_and_b32_e32 v9, 0xff, v9
	v_cmp_ne_u32_e32 vcc, 0, v9
	s_andn2_b64 s[10:11], s[10:11], exec
	s_and_b64 s[14:15], vcc, exec
	s_mov_b32 s3, 0
	s_or_b64 s[10:11], s[10:11], s[14:15]
	s_or_b64 exec, exec, s[12:13]
	v_mov_b32_e32 v15, s3
	s_and_saveexec_b64 s[12:13], s[10:11]
	s_cbranch_execnz .LBB23_1603
	s_branch .LBB23_1604
.LBB23_1694:
	s_mov_b64 s[0:1], 0
.LBB23_1695:
	s_and_b64 vcc, exec, s[10:11]
	s_cbranch_vccz .LBB23_1700
; %bb.1696:
	v_mov_b32_e32 v5, 44
	v_cmp_eq_u16_sdwa s[10:11], s33, v5 src0_sel:BYTE_0 src1_sel:DWORD
	s_mov_b64 s[0:1], -1
	s_and_b64 vcc, exec, s[10:11]
	s_cbranch_vccz .LBB23_1700
; %bb.1697:
	v_cvt_f32_f16_e32 v5, v4
	s_movk_i32 s0, 0xff
	v_mov_b32_e32 v9, 0xff
	v_bfe_u32 v8, v5, 23, 8
	v_cmp_ne_u32_e32 vcc, s0, v8
	s_and_saveexec_b64 s[4:5], vcc
; %bb.1698:
	s_mov_b32 s0, 0x3fffff
	v_lshrrev_b32_e32 v9, 23, v5
	v_and_b32_e32 v10, 0x400000, v5
	v_and_or_b32 v5, v5, s0, v8
	v_cmp_ne_u32_e32 vcc, 0, v10
	v_cmp_ne_u32_e64 s[0:1], 0, v5
	s_and_b64 s[0:1], vcc, s[0:1]
	v_cndmask_b32_e64 v5, 0, 1, s[0:1]
	v_add_u32_e32 v9, v9, v5
; %bb.1699:
	s_or_b64 exec, exec, s[4:5]
	s_mov_b64 s[0:1], 0
	s_mov_b64 s[4:5], -1
	global_store_byte v[0:1], v9, off
.LBB23_1700:
	s_mov_b64 s[10:11], 0
.LBB23_1701:
	s_and_b64 vcc, exec, s[10:11]
	s_cbranch_vccz .LBB23_1704
; %bb.1702:
	v_mov_b32_e32 v5, 29
	v_cmp_eq_u16_sdwa s[10:11], s33, v5 src0_sel:BYTE_0 src1_sel:DWORD
	s_mov_b64 s[0:1], -1
	s_and_b64 vcc, exec, s[10:11]
	s_cbranch_vccz .LBB23_1704
; %bb.1703:
	v_cvt_f32_f16_e32 v5, v4
	v_mov_b32_e32 v9, 0
	s_mov_b64 s[0:1], 0
	s_mov_b64 s[4:5], -1
	v_cvt_u32_f32_e32 v8, v5
	s_mov_b64 s[10:11], 0
	global_store_dwordx2 v[0:1], v[8:9], off
	s_branch .LBB23_1705
.LBB23_1704:
	s_mov_b64 s[10:11], 0
.LBB23_1705:
	s_and_b64 vcc, exec, s[10:11]
	s_cbranch_vccz .LBB23_1721
; %bb.1706:
	v_mov_b32_e32 v5, 27
	v_cmp_lt_i16_sdwa s[10:11], s33, v5 src0_sel:BYTE_0 src1_sel:DWORD
	s_mov_b64 s[4:5], -1
	s_and_b64 vcc, exec, s[10:11]
	s_cbranch_vccnz .LBB23_1712
; %bb.1707:
	v_cmp_gt_i16_sdwa s[10:11], s33, v5 src0_sel:BYTE_0 src1_sel:DWORD
	s_and_b64 vcc, exec, s[10:11]
	s_cbranch_vccz .LBB23_1709
; %bb.1708:
	v_cvt_f32_f16_e32 v5, v4
	s_mov_b64 s[4:5], 0
	v_cvt_u32_f32_e32 v5, v5
	global_store_dword v[0:1], v5, off
.LBB23_1709:
	s_andn2_b64 vcc, exec, s[4:5]
	s_cbranch_vccnz .LBB23_1711
; %bb.1710:
	v_cvt_u16_f16_e32 v5, v4
	global_store_short v[0:1], v5, off
.LBB23_1711:
	s_mov_b64 s[4:5], 0
.LBB23_1712:
	s_andn2_b64 vcc, exec, s[4:5]
	s_cbranch_vccnz .LBB23_1720
; %bb.1713:
	v_cvt_f32_f16_e32 v5, v4
	s_mov_b32 s4, 0x43800000
	v_mov_b32_e32 v9, 0x80
	v_and_b32_e32 v8, 0x7fffffff, v5
	v_cmp_gt_u32_e32 vcc, s4, v8
	s_and_saveexec_b64 s[4:5], vcc
	s_cbranch_execz .LBB23_1719
; %bb.1714:
	s_mov_b32 s10, 0x3bffffff
	v_cmp_lt_u32_e32 vcc, s10, v8
	s_mov_b64 s[10:11], 0
                                        ; implicit-def: $vgpr8
	s_and_saveexec_b64 s[12:13], vcc
	s_xor_b64 s[12:13], exec, s[12:13]
	s_cbranch_execz .LBB23_1815
; %bb.1715:
	v_bfe_u32 v8, v5, 20, 1
	s_mov_b32 s15, 0x487ffff
	v_add3_u32 v8, v5, v8, s15
	s_mov_b64 s[10:11], exec
	v_lshrrev_b32_e32 v8, 20, v8
	s_or_saveexec_b64 s[12:13], s[12:13]
                                        ; implicit-def: $sgpr15
	s_xor_b64 exec, exec, s[12:13]
	s_cbranch_execnz .LBB23_1816
.LBB23_1716:
	s_or_b64 exec, exec, s[12:13]
	v_mov_b32_e32 v9, s15
	s_and_saveexec_b64 s[12:13], s[10:11]
.LBB23_1717:
	v_lshrrev_b32_e32 v5, 24, v5
	s_movk_i32 s10, 0x80
	v_and_or_b32 v9, v5, s10, v8
.LBB23_1718:
	s_or_b64 exec, exec, s[12:13]
.LBB23_1719:
	s_or_b64 exec, exec, s[4:5]
	global_store_byte v[0:1], v9, off
.LBB23_1720:
	s_mov_b64 s[4:5], -1
.LBB23_1721:
	s_mov_b64 s[10:11], 0
.LBB23_1722:
	s_and_b64 vcc, exec, s[10:11]
	s_cbranch_vccz .LBB23_1762
; %bb.1723:
	v_mov_b32_e32 v5, 22
	v_cmp_gt_i16_sdwa s[10:11], s33, v5 src0_sel:BYTE_0 src1_sel:DWORD
	s_mov_b64 s[2:3], -1
	s_and_b64 vcc, exec, s[10:11]
	s_cbranch_vccz .LBB23_1755
; %bb.1724:
	v_mov_b32_e32 v5, 24
	v_cmp_lt_i16_sdwa s[4:5], s33, v5 src0_sel:BYTE_0 src1_sel:DWORD
	s_and_b64 vcc, exec, s[4:5]
	s_cbranch_vccnz .LBB23_1744
; %bb.1725:
	v_cmp_gt_i16_sdwa s[4:5], s33, v5 src0_sel:BYTE_0 src1_sel:DWORD
	s_and_b64 vcc, exec, s[4:5]
	s_cbranch_vccz .LBB23_1733
; %bb.1726:
	v_cvt_f32_f16_e32 v5, v4
	s_mov_b32 s2, 0x47800000
	v_mov_b32_e32 v9, 0x80
	v_and_b32_e32 v8, 0x7fffffff, v5
	v_cmp_gt_u32_e32 vcc, s2, v8
	s_and_saveexec_b64 s[2:3], vcc
	s_cbranch_execz .LBB23_1732
; %bb.1727:
	s_mov_b32 s4, 0x37ffffff
	v_cmp_lt_u32_e32 vcc, s4, v8
	s_mov_b64 s[4:5], 0
                                        ; implicit-def: $vgpr8
	s_and_saveexec_b64 s[10:11], vcc
	s_xor_b64 s[10:11], exec, s[10:11]
	s_cbranch_execz .LBB23_1819
; %bb.1728:
	v_bfe_u32 v8, v5, 21, 1
	s_mov_b32 s12, 0x88fffff
	v_add3_u32 v8, v5, v8, s12
	s_mov_b64 s[4:5], exec
	v_lshrrev_b32_e32 v8, 21, v8
	s_or_saveexec_b64 s[10:11], s[10:11]
                                        ; implicit-def: $sgpr12
	s_xor_b64 exec, exec, s[10:11]
	s_cbranch_execnz .LBB23_1820
.LBB23_1729:
	s_or_b64 exec, exec, s[10:11]
	v_mov_b32_e32 v9, s12
	s_and_saveexec_b64 s[10:11], s[4:5]
.LBB23_1730:
	v_lshrrev_b32_e32 v5, 24, v5
	s_movk_i32 s4, 0x80
	v_and_or_b32 v9, v5, s4, v8
.LBB23_1731:
	s_or_b64 exec, exec, s[10:11]
.LBB23_1732:
	s_or_b64 exec, exec, s[2:3]
	s_mov_b64 s[2:3], 0
	global_store_byte v[0:1], v9, off
.LBB23_1733:
	s_and_b64 vcc, exec, s[2:3]
	s_cbranch_vccz .LBB23_1743
; %bb.1734:
	v_cvt_f32_f16_e32 v5, v4
	s_mov_b32 s2, 0x43f00000
                                        ; implicit-def: $vgpr8
	v_and_b32_e32 v9, 0x7fffffff, v5
	v_cmp_gt_u32_e32 vcc, s2, v9
	s_and_saveexec_b64 s[2:3], vcc
	s_xor_b64 s[2:3], exec, s[2:3]
	s_cbranch_execz .LBB23_1740
; %bb.1735:
	s_mov_b32 s4, 0x3c7fffff
	v_cmp_lt_u32_e32 vcc, s4, v9
                                        ; implicit-def: $vgpr8
	s_and_saveexec_b64 s[4:5], vcc
	s_xor_b64 s[4:5], exec, s[4:5]
; %bb.1736:
	v_bfe_u32 v8, v5, 20, 1
	s_mov_b32 s10, 0x407ffff
	v_add3_u32 v8, v5, v8, s10
	v_lshrrev_b32_e32 v9, 20, v8
	v_and_b32_e32 v8, 0xff00000, v8
	s_mov_b32 s10, 0x7f00000
	v_mov_b32_e32 v10, 0x7e
	v_cmp_ne_u32_e32 vcc, s10, v8
	v_cndmask_b32_e32 v8, v10, v9, vcc
; %bb.1737:
	s_andn2_saveexec_b64 s[4:5], s[4:5]
; %bb.1738:
	s_mov_b32 s10, 0x46800000
	v_add_f32_e64 v8, |v5|, s10
; %bb.1739:
	s_or_b64 exec, exec, s[4:5]
                                        ; implicit-def: $vgpr9
.LBB23_1740:
	s_andn2_saveexec_b64 s[2:3], s[2:3]
; %bb.1741:
	s_mov_b32 s4, 0x7f800000
	v_mov_b32_e32 v8, 0x7e
	v_mov_b32_e32 v10, 0x7f
	v_cmp_lt_u32_e32 vcc, s4, v9
	v_cndmask_b32_e32 v8, v8, v10, vcc
; %bb.1742:
	s_or_b64 exec, exec, s[2:3]
	v_lshrrev_b32_e32 v5, 24, v5
	s_movk_i32 s2, 0x80
	v_and_or_b32 v5, v5, s2, v8
	global_store_byte v[0:1], v5, off
.LBB23_1743:
	s_mov_b64 s[2:3], 0
.LBB23_1744:
	s_andn2_b64 vcc, exec, s[2:3]
	s_cbranch_vccnz .LBB23_1754
; %bb.1745:
	v_cvt_f32_f16_e32 v5, v4
	s_mov_b32 s2, 0x47800000
                                        ; implicit-def: $vgpr8
	v_and_b32_e32 v9, 0x7fffffff, v5
	v_cmp_gt_u32_e32 vcc, s2, v9
	s_and_saveexec_b64 s[2:3], vcc
	s_xor_b64 s[2:3], exec, s[2:3]
	s_cbranch_execz .LBB23_1751
; %bb.1746:
	s_mov_b32 s4, 0x387fffff
	v_cmp_lt_u32_e32 vcc, s4, v9
                                        ; implicit-def: $vgpr8
	s_and_saveexec_b64 s[4:5], vcc
	s_xor_b64 s[4:5], exec, s[4:5]
; %bb.1747:
	v_bfe_u32 v8, v5, 21, 1
	s_mov_b32 s10, 0x80fffff
	v_add3_u32 v8, v5, v8, s10
	v_lshrrev_b32_e32 v8, 21, v8
; %bb.1748:
	s_andn2_saveexec_b64 s[4:5], s[4:5]
; %bb.1749:
	s_mov_b32 s10, 0x43000000
	v_add_f32_e64 v8, |v5|, s10
; %bb.1750:
	s_or_b64 exec, exec, s[4:5]
                                        ; implicit-def: $vgpr9
.LBB23_1751:
	s_andn2_saveexec_b64 s[2:3], s[2:3]
; %bb.1752:
	s_mov_b32 s4, 0x7f800000
	v_mov_b32_e32 v8, 0x7c
	v_mov_b32_e32 v10, 0x7f
	v_cmp_lt_u32_e32 vcc, s4, v9
	v_cndmask_b32_e32 v8, v8, v10, vcc
; %bb.1753:
	s_or_b64 exec, exec, s[2:3]
	v_lshrrev_b32_e32 v5, 24, v5
	s_movk_i32 s2, 0x80
	v_and_or_b32 v5, v5, s2, v8
	global_store_byte v[0:1], v5, off
.LBB23_1754:
	s_mov_b64 s[2:3], 0
	s_mov_b64 s[4:5], -1
.LBB23_1755:
	s_andn2_b64 vcc, exec, s[2:3]
	s_mov_b64 s[2:3], 0
	s_cbranch_vccnz .LBB23_1762
; %bb.1756:
	v_mov_b32_e32 v5, 14
	v_cmp_gt_i16_sdwa s[2:3], s33, v5 src0_sel:BYTE_0 src1_sel:DWORD
	s_mov_b64 s[10:11], -1
	s_and_b64 vcc, exec, s[2:3]
	s_cbranch_vccz .LBB23_1760
; %bb.1757:
	v_mov_b32_e32 v5, 15
	v_cmp_eq_u16_sdwa s[2:3], s33, v5 src0_sel:BYTE_0 src1_sel:DWORD
	s_mov_b64 s[0:1], -1
	s_and_b64 vcc, exec, s[2:3]
	s_cbranch_vccz .LBB23_1759
; %bb.1758:
	v_cvt_f32_f16_e32 v5, v4
	s_movk_i32 s0, 0x7fff
	v_mov_b32_e32 v8, 0x7fc0
	v_cmp_o_f16_e32 vcc, v4, v4
	v_bfe_u32 v9, v5, 16, 1
	v_add3_u32 v5, v5, v9, s0
	v_lshrrev_b32_e32 v5, 16, v5
	v_cndmask_b32_e32 v5, v8, v5, vcc
	global_store_short v[0:1], v5, off
	s_mov_b64 s[0:1], 0
	s_mov_b64 s[4:5], -1
.LBB23_1759:
	s_mov_b64 s[10:11], 0
.LBB23_1760:
	s_mov_b64 s[2:3], 0
	s_and_b64 vcc, exec, s[10:11]
	s_cbranch_vccz .LBB23_1762
; %bb.1761:
	v_mov_b32_e32 v5, 11
	v_cmp_ne_u16_sdwa s[0:1], s33, v5 src0_sel:BYTE_0 src1_sel:DWORD
	s_mov_b64 s[2:3], -1
.LBB23_1762:
	s_and_b64 vcc, exec, s[0:1]
	s_cbranch_vccnz .LBB23_1818
; %bb.1763:
	s_andn2_b64 vcc, exec, s[2:3]
	s_cbranch_vccnz .LBB23_1765
.LBB23_1764:
	v_cmp_neq_f16_e32 vcc, 0, v4
	v_cndmask_b32_e64 v5, 0, 1, vcc
	s_mov_b64 s[4:5], -1
	global_store_byte v[0:1], v5, off
.LBB23_1765:
	s_mov_b64 s[0:1], 0
.LBB23_1766:
	s_and_b64 vcc, exec, s[0:1]
	s_cbranch_vccz .LBB23_1805
; %bb.1767:
	v_mov_b32_e32 v5, 5
	v_cmp_lt_i16_sdwa s[2:3], s33, v5 src0_sel:BYTE_0 src1_sel:DWORD
	s_mov_b64 s[0:1], -1
	s_and_b64 vcc, exec, s[2:3]
	s_cbranch_vccnz .LBB23_1788
; %bb.1768:
	v_mov_b32_e32 v5, 8
	v_cmp_lt_i16_sdwa s[2:3], s33, v5 src0_sel:BYTE_0 src1_sel:DWORD
	s_and_b64 vcc, exec, s[2:3]
	s_cbranch_vccnz .LBB23_1778
; %bb.1769:
	v_mov_b32_e32 v5, 9
	v_cmp_lt_i16_sdwa s[2:3], s33, v5 src0_sel:BYTE_0 src1_sel:DWORD
	s_and_b64 vcc, exec, s[2:3]
	s_cbranch_vccnz .LBB23_1775
; %bb.1770:
	v_cmp_gt_i16_sdwa s[2:3], s33, v5 src0_sel:BYTE_0 src1_sel:DWORD
	s_and_b64 vcc, exec, s[2:3]
	s_cbranch_vccz .LBB23_1772
; %bb.1771:
	v_cvt_f32_f16_e32 v5, v4
	v_mov_b32_e32 v10, 0
	v_mov_b32_e32 v11, v10
	s_mov_b64 s[0:1], 0
	v_cvt_f64_f32_e32 v[8:9], v5
	global_store_dwordx4 v[0:1], v[8:11], off
.LBB23_1772:
	s_andn2_b64 vcc, exec, s[0:1]
	s_cbranch_vccnz .LBB23_1774
; %bb.1773:
	v_cvt_f32_f16_e32 v8, v4
	v_mov_b32_e32 v9, 0
	global_store_dwordx2 v[0:1], v[8:9], off
.LBB23_1774:
	s_mov_b64 s[0:1], 0
.LBB23_1775:
	s_andn2_b64 vcc, exec, s[0:1]
	s_cbranch_vccnz .LBB23_1777
; %bb.1776:
	v_and_b32_e32 v5, 0xffff, v4
	global_store_dword v[0:1], v5, off
.LBB23_1777:
	s_mov_b64 s[0:1], 0
.LBB23_1778:
	s_andn2_b64 vcc, exec, s[0:1]
	s_cbranch_vccnz .LBB23_1787
; %bb.1779:
	v_mov_b32_e32 v5, 6
	v_cmp_lt_i16_sdwa s[2:3], s33, v5 src0_sel:BYTE_0 src1_sel:DWORD
	s_mov_b64 s[0:1], -1
	s_and_b64 vcc, exec, s[2:3]
	s_cbranch_vccnz .LBB23_1785
; %bb.1780:
	v_cmp_gt_i16_sdwa s[2:3], s33, v5 src0_sel:BYTE_0 src1_sel:DWORD
	s_and_b64 vcc, exec, s[2:3]
	s_cbranch_vccz .LBB23_1782
; %bb.1781:
	v_cvt_f32_f16_e32 v5, v4
	s_mov_b64 s[0:1], 0
	v_cvt_f64_f32_e32 v[8:9], v5
	global_store_dwordx2 v[0:1], v[8:9], off
.LBB23_1782:
	s_andn2_b64 vcc, exec, s[0:1]
	s_cbranch_vccnz .LBB23_1784
; %bb.1783:
	v_cvt_f32_f16_e32 v5, v4
	global_store_dword v[0:1], v5, off
.LBB23_1784:
	s_mov_b64 s[0:1], 0
.LBB23_1785:
	s_andn2_b64 vcc, exec, s[0:1]
	s_cbranch_vccnz .LBB23_1787
; %bb.1786:
	global_store_short v[0:1], v4, off
.LBB23_1787:
	s_mov_b64 s[0:1], 0
.LBB23_1788:
	s_andn2_b64 vcc, exec, s[0:1]
	s_cbranch_vccnz .LBB23_1804
; %bb.1789:
	v_mov_b32_e32 v5, 2
	v_cmp_lt_i16_sdwa s[2:3], s33, v5 src0_sel:BYTE_0 src1_sel:DWORD
	s_mov_b64 s[0:1], -1
	s_and_b64 vcc, exec, s[2:3]
	s_cbranch_vccnz .LBB23_1799
; %bb.1790:
	v_mov_b32_e32 v5, 3
	v_cmp_lt_i16_sdwa s[2:3], s33, v5 src0_sel:BYTE_0 src1_sel:DWORD
	s_and_b64 vcc, exec, s[2:3]
	s_cbranch_vccnz .LBB23_1796
; %bb.1791:
	v_cmp_gt_i16_sdwa s[2:3], s33, v5 src0_sel:BYTE_0 src1_sel:DWORD
	s_and_b64 vcc, exec, s[2:3]
	s_cbranch_vccz .LBB23_1793
; %bb.1792:
	v_cvt_f32_f16_e32 v5, v4
	s_mov_b64 s[0:1], 0
	v_cvt_i32_f32_e32 v8, v5
	v_ashrrev_i32_e32 v9, 31, v8
	global_store_dwordx2 v[0:1], v[8:9], off
.LBB23_1793:
	s_andn2_b64 vcc, exec, s[0:1]
	s_cbranch_vccnz .LBB23_1795
; %bb.1794:
	v_cvt_f32_f16_e32 v5, v4
	v_cvt_i32_f32_e32 v5, v5
	global_store_dword v[0:1], v5, off
.LBB23_1795:
	s_mov_b64 s[0:1], 0
.LBB23_1796:
	s_andn2_b64 vcc, exec, s[0:1]
	s_cbranch_vccnz .LBB23_1798
; %bb.1797:
	v_cvt_i16_f16_e32 v5, v4
	global_store_short v[0:1], v5, off
.LBB23_1798:
	s_mov_b64 s[0:1], 0
.LBB23_1799:
	s_andn2_b64 vcc, exec, s[0:1]
	s_cbranch_vccnz .LBB23_1804
; %bb.1800:
	v_mov_b32_e32 v5, 0
	v_cmp_gt_i16_sdwa s[2:3], s33, v5 src0_sel:BYTE_0 src1_sel:DWORD
	s_mov_b64 s[0:1], -1
	s_and_b64 vcc, exec, s[2:3]
	s_cbranch_vccz .LBB23_1802
; %bb.1801:
	v_cvt_i16_f16_e32 v5, v4
	global_store_byte v[0:1], v5, off
	s_mov_b64 s[0:1], 0
.LBB23_1802:
	s_andn2_b64 vcc, exec, s[0:1]
	s_cbranch_vccnz .LBB23_1804
; %bb.1803:
	v_cvt_f32_f16_e32 v4, v4
	v_cvt_i32_f32_e32 v4, v4
	global_store_byte v[0:1], v4, off
.LBB23_1804:
	s_mov_b64 s[4:5], -1
.LBB23_1805:
	s_andn2_b64 vcc, exec, s[4:5]
	s_cbranch_vccnz .LBB23_2009
; %bb.1806:
	v_fma_mixlo_f16 v0, v13, v12, 0
	v_cmp_eq_f32_e32 vcc, 1.0, v13
	v_add_u32_e32 v2, s14, v2
	v_cndmask_b32_e32 v4, v0, v6, vcc
	v_ashrrev_i32_e32 v1, 31, v2
	v_mov_b32_e32 v5, s9
	v_add_co_u32_e32 v0, vcc, s8, v2
	v_addc_co_u32_e32 v1, vcc, v5, v1, vcc
	v_mov_b32_e32 v5, 11
	v_cmp_lt_i16_sdwa s[0:1], s33, v5 src0_sel:BYTE_0 src1_sel:DWORD
	s_and_b64 vcc, exec, s[0:1]
	s_cbranch_vccnz .LBB23_1813
; %bb.1807:
	v_mov_b32_e32 v5, 25
	v_cmp_gt_i16_sdwa s[0:1], s33, v5 src0_sel:BYTE_0 src1_sel:DWORD
	s_mov_b64 s[10:11], -1
	s_mov_b64 s[2:3], 0
	s_and_b64 vcc, exec, s[0:1]
	s_mov_b64 s[4:5], 0
	s_mov_b64 s[0:1], 0
	s_cbranch_vccz .LBB23_1849
; %bb.1808:
	v_mov_b32_e32 v5, 28
	v_cmp_gt_i16_sdwa s[0:1], s33, v5 src0_sel:BYTE_0 src1_sel:DWORD
	s_and_b64 vcc, exec, s[0:1]
	s_cbranch_vccz .LBB23_1814
; %bb.1809:
	v_mov_b32_e32 v5, 43
	v_cmp_gt_i16_sdwa s[0:1], s33, v5 src0_sel:BYTE_0 src1_sel:DWORD
	s_and_b64 vcc, exec, s[0:1]
	;; [unrolled: 5-line block ×3, first 2 shown]
	s_cbranch_vccz .LBB23_1821
; %bb.1811:
	v_mov_b32_e32 v5, 46
	v_cmp_eq_u16_sdwa s[4:5], s33, v5 src0_sel:BYTE_0 src1_sel:DWORD
	s_mov_b64 s[0:1], -1
	s_mov_b64 s[10:11], 0
	s_and_b64 vcc, exec, s[4:5]
	s_mov_b64 s[4:5], 0
	s_cbranch_vccz .LBB23_1822
; %bb.1812:
	v_cvt_f32_f16_e32 v5, v4
	s_movk_i32 s0, 0x7fff
	v_mov_b32_e32 v6, 0x7fc0
	v_cmp_o_f16_e32 vcc, v4, v4
	v_bfe_u32 v8, v5, 16, 1
	v_add3_u32 v5, v5, v8, s0
	v_lshrrev_b32_e32 v5, 16, v5
	v_cndmask_b32_e32 v5, v6, v5, vcc
	global_store_dword v[0:1], v5, off
	s_mov_b64 s[0:1], 0
	s_mov_b64 s[4:5], -1
	s_branch .LBB23_1822
.LBB23_1813:
	s_mov_b64 s[0:1], -1
	s_mov_b64 s[4:5], 0
	s_branch .LBB23_1893
.LBB23_1814:
	s_mov_b64 s[0:1], 0
	s_branch .LBB23_1832
.LBB23_1815:
	s_or_saveexec_b64 s[12:13], s[12:13]
                                        ; implicit-def: $sgpr15
	s_xor_b64 exec, exec, s[12:13]
	s_cbranch_execz .LBB23_1716
.LBB23_1816:
	s_mov_b32 s15, 0x46000000
	v_add_f32_e64 v8, |v5|, s15
	v_and_b32_e32 v8, 0xff, v8
	v_cmp_ne_u32_e32 vcc, 0, v8
	s_andn2_b64 s[10:11], s[10:11], exec
	s_and_b64 s[20:21], vcc, exec
	s_mov_b32 s15, 0
	s_or_b64 s[10:11], s[10:11], s[20:21]
	s_or_b64 exec, exec, s[12:13]
	v_mov_b32_e32 v9, s15
	s_and_saveexec_b64 s[12:13], s[10:11]
	s_cbranch_execnz .LBB23_1717
	s_branch .LBB23_1718
.LBB23_1817:
	s_mov_b64 s[0:1], 0
	s_branch .LBB23_1828
.LBB23_1818:
	s_trap 2
	s_or_b64 s[18:19], s[18:19], exec
	s_cbranch_execz .LBB23_1764
	s_branch .LBB23_1765
.LBB23_1819:
	s_or_saveexec_b64 s[10:11], s[10:11]
                                        ; implicit-def: $sgpr12
	s_xor_b64 exec, exec, s[10:11]
	s_cbranch_execz .LBB23_1729
.LBB23_1820:
	s_mov_b32 s12, 0x42800000
	v_add_f32_e64 v8, |v5|, s12
	v_and_b32_e32 v8, 0xff, v8
	v_cmp_ne_u32_e32 vcc, 0, v8
	s_andn2_b64 s[4:5], s[4:5], exec
	s_and_b64 s[20:21], vcc, exec
	s_mov_b32 s12, 0
	s_or_b64 s[4:5], s[4:5], s[20:21]
	s_or_b64 exec, exec, s[10:11]
	v_mov_b32_e32 v9, s12
	s_and_saveexec_b64 s[10:11], s[4:5]
	s_cbranch_execnz .LBB23_1730
	s_branch .LBB23_1731
.LBB23_1821:
	s_mov_b64 s[0:1], 0
.LBB23_1822:
	s_and_b64 vcc, exec, s[10:11]
	s_cbranch_vccz .LBB23_1827
; %bb.1823:
	v_mov_b32_e32 v5, 44
	v_cmp_eq_u16_sdwa s[10:11], s33, v5 src0_sel:BYTE_0 src1_sel:DWORD
	s_mov_b64 s[0:1], -1
	s_and_b64 vcc, exec, s[10:11]
	s_cbranch_vccz .LBB23_1827
; %bb.1824:
	v_cvt_f32_f16_e32 v5, v4
	s_movk_i32 s0, 0xff
	v_mov_b32_e32 v8, 0xff
	v_bfe_u32 v6, v5, 23, 8
	v_cmp_ne_u32_e32 vcc, s0, v6
	s_and_saveexec_b64 s[4:5], vcc
; %bb.1825:
	s_mov_b32 s0, 0x3fffff
	v_lshrrev_b32_e32 v8, 23, v5
	v_and_b32_e32 v9, 0x400000, v5
	v_and_or_b32 v5, v5, s0, v6
	v_cmp_ne_u32_e32 vcc, 0, v9
	v_cmp_ne_u32_e64 s[0:1], 0, v5
	s_and_b64 s[0:1], vcc, s[0:1]
	v_cndmask_b32_e64 v5, 0, 1, s[0:1]
	v_add_u32_e32 v8, v8, v5
; %bb.1826:
	s_or_b64 exec, exec, s[4:5]
	s_mov_b64 s[0:1], 0
	s_mov_b64 s[4:5], -1
	global_store_byte v[0:1], v8, off
.LBB23_1827:
	s_mov_b64 s[10:11], 0
.LBB23_1828:
	s_and_b64 vcc, exec, s[10:11]
	s_cbranch_vccz .LBB23_1831
; %bb.1829:
	v_mov_b32_e32 v5, 29
	v_cmp_eq_u16_sdwa s[10:11], s33, v5 src0_sel:BYTE_0 src1_sel:DWORD
	s_mov_b64 s[0:1], -1
	s_and_b64 vcc, exec, s[10:11]
	s_cbranch_vccz .LBB23_1831
; %bb.1830:
	v_cvt_f32_f16_e32 v5, v4
	v_mov_b32_e32 v9, 0
	s_mov_b64 s[0:1], 0
	s_mov_b64 s[4:5], -1
	v_cvt_u32_f32_e32 v8, v5
	s_mov_b64 s[10:11], 0
	global_store_dwordx2 v[0:1], v[8:9], off
	s_branch .LBB23_1832
.LBB23_1831:
	s_mov_b64 s[10:11], 0
.LBB23_1832:
	s_and_b64 vcc, exec, s[10:11]
	s_cbranch_vccz .LBB23_1848
; %bb.1833:
	v_mov_b32_e32 v5, 27
	v_cmp_lt_i16_sdwa s[10:11], s33, v5 src0_sel:BYTE_0 src1_sel:DWORD
	s_mov_b64 s[4:5], -1
	s_and_b64 vcc, exec, s[10:11]
	s_cbranch_vccnz .LBB23_1839
; %bb.1834:
	v_cmp_gt_i16_sdwa s[10:11], s33, v5 src0_sel:BYTE_0 src1_sel:DWORD
	s_and_b64 vcc, exec, s[10:11]
	s_cbranch_vccz .LBB23_1836
; %bb.1835:
	v_cvt_f32_f16_e32 v5, v4
	s_mov_b64 s[4:5], 0
	v_cvt_u32_f32_e32 v5, v5
	global_store_dword v[0:1], v5, off
.LBB23_1836:
	s_andn2_b64 vcc, exec, s[4:5]
	s_cbranch_vccnz .LBB23_1838
; %bb.1837:
	v_cvt_u16_f16_e32 v5, v4
	global_store_short v[0:1], v5, off
.LBB23_1838:
	s_mov_b64 s[4:5], 0
.LBB23_1839:
	s_andn2_b64 vcc, exec, s[4:5]
	s_cbranch_vccnz .LBB23_1847
; %bb.1840:
	v_cvt_f32_f16_e32 v5, v4
	s_mov_b32 s4, 0x43800000
	v_mov_b32_e32 v8, 0x80
	v_and_b32_e32 v6, 0x7fffffff, v5
	v_cmp_gt_u32_e32 vcc, s4, v6
	s_and_saveexec_b64 s[4:5], vcc
	s_cbranch_execz .LBB23_1846
; %bb.1841:
	s_mov_b32 s10, 0x3bffffff
	v_cmp_lt_u32_e32 vcc, s10, v6
	s_mov_b64 s[10:11], 0
                                        ; implicit-def: $vgpr6
	s_and_saveexec_b64 s[12:13], vcc
	s_xor_b64 s[12:13], exec, s[12:13]
	s_cbranch_execz .LBB23_2055
; %bb.1842:
	v_bfe_u32 v6, v5, 20, 1
	s_mov_b32 s15, 0x487ffff
	v_add3_u32 v6, v5, v6, s15
	s_mov_b64 s[10:11], exec
	v_lshrrev_b32_e32 v6, 20, v6
	s_or_saveexec_b64 s[12:13], s[12:13]
                                        ; implicit-def: $sgpr15
	s_xor_b64 exec, exec, s[12:13]
	s_cbranch_execnz .LBB23_2056
.LBB23_1843:
	s_or_b64 exec, exec, s[12:13]
	v_mov_b32_e32 v8, s15
	s_and_saveexec_b64 s[12:13], s[10:11]
.LBB23_1844:
	v_lshrrev_b32_e32 v5, 24, v5
	s_movk_i32 s10, 0x80
	v_and_or_b32 v8, v5, s10, v6
.LBB23_1845:
	s_or_b64 exec, exec, s[12:13]
.LBB23_1846:
	s_or_b64 exec, exec, s[4:5]
	global_store_byte v[0:1], v8, off
.LBB23_1847:
	s_mov_b64 s[4:5], -1
.LBB23_1848:
	s_mov_b64 s[10:11], 0
.LBB23_1849:
	s_and_b64 vcc, exec, s[10:11]
	s_cbranch_vccz .LBB23_1889
; %bb.1850:
	v_mov_b32_e32 v5, 22
	v_cmp_gt_i16_sdwa s[10:11], s33, v5 src0_sel:BYTE_0 src1_sel:DWORD
	s_mov_b64 s[2:3], -1
	s_and_b64 vcc, exec, s[10:11]
	s_cbranch_vccz .LBB23_1882
; %bb.1851:
	v_mov_b32_e32 v5, 24
	v_cmp_lt_i16_sdwa s[4:5], s33, v5 src0_sel:BYTE_0 src1_sel:DWORD
	s_and_b64 vcc, exec, s[4:5]
	s_cbranch_vccnz .LBB23_1871
; %bb.1852:
	v_cmp_gt_i16_sdwa s[4:5], s33, v5 src0_sel:BYTE_0 src1_sel:DWORD
	s_and_b64 vcc, exec, s[4:5]
	s_cbranch_vccz .LBB23_1860
; %bb.1853:
	v_cvt_f32_f16_e32 v5, v4
	s_mov_b32 s2, 0x47800000
	v_mov_b32_e32 v8, 0x80
	v_and_b32_e32 v6, 0x7fffffff, v5
	v_cmp_gt_u32_e32 vcc, s2, v6
	s_and_saveexec_b64 s[2:3], vcc
	s_cbranch_execz .LBB23_1859
; %bb.1854:
	s_mov_b32 s4, 0x37ffffff
	v_cmp_lt_u32_e32 vcc, s4, v6
	s_mov_b64 s[4:5], 0
                                        ; implicit-def: $vgpr6
	s_and_saveexec_b64 s[10:11], vcc
	s_xor_b64 s[10:11], exec, s[10:11]
	s_cbranch_execz .LBB23_2058
; %bb.1855:
	v_bfe_u32 v6, v5, 21, 1
	s_mov_b32 s12, 0x88fffff
	v_add3_u32 v6, v5, v6, s12
	s_mov_b64 s[4:5], exec
	v_lshrrev_b32_e32 v6, 21, v6
	s_or_saveexec_b64 s[10:11], s[10:11]
                                        ; implicit-def: $sgpr12
	s_xor_b64 exec, exec, s[10:11]
	s_cbranch_execnz .LBB23_2059
.LBB23_1856:
	s_or_b64 exec, exec, s[10:11]
	v_mov_b32_e32 v8, s12
	s_and_saveexec_b64 s[10:11], s[4:5]
.LBB23_1857:
	v_lshrrev_b32_e32 v5, 24, v5
	s_movk_i32 s4, 0x80
	v_and_or_b32 v8, v5, s4, v6
.LBB23_1858:
	s_or_b64 exec, exec, s[10:11]
.LBB23_1859:
	s_or_b64 exec, exec, s[2:3]
	s_mov_b64 s[2:3], 0
	global_store_byte v[0:1], v8, off
.LBB23_1860:
	s_and_b64 vcc, exec, s[2:3]
	s_cbranch_vccz .LBB23_1870
; %bb.1861:
	v_cvt_f32_f16_e32 v5, v4
	s_mov_b32 s2, 0x43f00000
                                        ; implicit-def: $vgpr6
	v_and_b32_e32 v8, 0x7fffffff, v5
	v_cmp_gt_u32_e32 vcc, s2, v8
	s_and_saveexec_b64 s[2:3], vcc
	s_xor_b64 s[2:3], exec, s[2:3]
	s_cbranch_execz .LBB23_1867
; %bb.1862:
	s_mov_b32 s4, 0x3c7fffff
	v_cmp_lt_u32_e32 vcc, s4, v8
                                        ; implicit-def: $vgpr6
	s_and_saveexec_b64 s[4:5], vcc
	s_xor_b64 s[4:5], exec, s[4:5]
; %bb.1863:
	v_bfe_u32 v6, v5, 20, 1
	s_mov_b32 s10, 0x407ffff
	v_add3_u32 v6, v5, v6, s10
	v_lshrrev_b32_e32 v8, 20, v6
	v_and_b32_e32 v6, 0xff00000, v6
	s_mov_b32 s10, 0x7f00000
	v_mov_b32_e32 v9, 0x7e
	v_cmp_ne_u32_e32 vcc, s10, v6
	v_cndmask_b32_e32 v6, v9, v8, vcc
; %bb.1864:
	s_andn2_saveexec_b64 s[4:5], s[4:5]
; %bb.1865:
	s_mov_b32 s10, 0x46800000
	v_add_f32_e64 v6, |v5|, s10
; %bb.1866:
	s_or_b64 exec, exec, s[4:5]
                                        ; implicit-def: $vgpr8
.LBB23_1867:
	s_andn2_saveexec_b64 s[2:3], s[2:3]
; %bb.1868:
	s_mov_b32 s4, 0x7f800000
	v_mov_b32_e32 v6, 0x7e
	v_mov_b32_e32 v9, 0x7f
	v_cmp_lt_u32_e32 vcc, s4, v8
	v_cndmask_b32_e32 v6, v6, v9, vcc
; %bb.1869:
	s_or_b64 exec, exec, s[2:3]
	v_lshrrev_b32_e32 v5, 24, v5
	s_movk_i32 s2, 0x80
	v_and_or_b32 v5, v5, s2, v6
	global_store_byte v[0:1], v5, off
.LBB23_1870:
	s_mov_b64 s[2:3], 0
.LBB23_1871:
	s_andn2_b64 vcc, exec, s[2:3]
	s_cbranch_vccnz .LBB23_1881
; %bb.1872:
	v_cvt_f32_f16_e32 v5, v4
	s_mov_b32 s2, 0x47800000
                                        ; implicit-def: $vgpr6
	v_and_b32_e32 v8, 0x7fffffff, v5
	v_cmp_gt_u32_e32 vcc, s2, v8
	s_and_saveexec_b64 s[2:3], vcc
	s_xor_b64 s[2:3], exec, s[2:3]
	s_cbranch_execz .LBB23_1878
; %bb.1873:
	s_mov_b32 s4, 0x387fffff
	v_cmp_lt_u32_e32 vcc, s4, v8
                                        ; implicit-def: $vgpr6
	s_and_saveexec_b64 s[4:5], vcc
	s_xor_b64 s[4:5], exec, s[4:5]
; %bb.1874:
	v_bfe_u32 v6, v5, 21, 1
	s_mov_b32 s10, 0x80fffff
	v_add3_u32 v6, v5, v6, s10
	v_lshrrev_b32_e32 v6, 21, v6
; %bb.1875:
	s_andn2_saveexec_b64 s[4:5], s[4:5]
; %bb.1876:
	s_mov_b32 s10, 0x43000000
	v_add_f32_e64 v6, |v5|, s10
; %bb.1877:
	s_or_b64 exec, exec, s[4:5]
                                        ; implicit-def: $vgpr8
.LBB23_1878:
	s_andn2_saveexec_b64 s[2:3], s[2:3]
; %bb.1879:
	s_mov_b32 s4, 0x7f800000
	v_mov_b32_e32 v6, 0x7c
	v_mov_b32_e32 v9, 0x7f
	v_cmp_lt_u32_e32 vcc, s4, v8
	v_cndmask_b32_e32 v6, v6, v9, vcc
; %bb.1880:
	s_or_b64 exec, exec, s[2:3]
	v_lshrrev_b32_e32 v5, 24, v5
	s_movk_i32 s2, 0x80
	v_and_or_b32 v5, v5, s2, v6
	global_store_byte v[0:1], v5, off
.LBB23_1881:
	s_mov_b64 s[2:3], 0
	s_mov_b64 s[4:5], -1
.LBB23_1882:
	s_andn2_b64 vcc, exec, s[2:3]
	s_mov_b64 s[2:3], 0
	s_cbranch_vccnz .LBB23_1889
; %bb.1883:
	v_mov_b32_e32 v5, 14
	v_cmp_gt_i16_sdwa s[2:3], s33, v5 src0_sel:BYTE_0 src1_sel:DWORD
	s_mov_b64 s[10:11], -1
	s_and_b64 vcc, exec, s[2:3]
	s_cbranch_vccz .LBB23_1887
; %bb.1884:
	v_mov_b32_e32 v5, 15
	v_cmp_eq_u16_sdwa s[2:3], s33, v5 src0_sel:BYTE_0 src1_sel:DWORD
	s_mov_b64 s[0:1], -1
	s_and_b64 vcc, exec, s[2:3]
	s_cbranch_vccz .LBB23_1886
; %bb.1885:
	v_cvt_f32_f16_e32 v5, v4
	s_movk_i32 s0, 0x7fff
	v_mov_b32_e32 v6, 0x7fc0
	v_cmp_o_f16_e32 vcc, v4, v4
	v_bfe_u32 v8, v5, 16, 1
	v_add3_u32 v5, v5, v8, s0
	v_lshrrev_b32_e32 v5, 16, v5
	v_cndmask_b32_e32 v5, v6, v5, vcc
	global_store_short v[0:1], v5, off
	s_mov_b64 s[0:1], 0
	s_mov_b64 s[4:5], -1
.LBB23_1886:
	s_mov_b64 s[10:11], 0
.LBB23_1887:
	s_mov_b64 s[2:3], 0
	s_and_b64 vcc, exec, s[10:11]
	s_cbranch_vccz .LBB23_1889
; %bb.1888:
	v_mov_b32_e32 v5, 11
	v_cmp_ne_u16_sdwa s[0:1], s33, v5 src0_sel:BYTE_0 src1_sel:DWORD
	s_mov_b64 s[2:3], -1
.LBB23_1889:
	s_and_b64 vcc, exec, s[0:1]
	s_cbranch_vccnz .LBB23_2057
; %bb.1890:
	s_andn2_b64 vcc, exec, s[2:3]
	s_cbranch_vccnz .LBB23_1892
.LBB23_1891:
	v_cmp_neq_f16_e32 vcc, 0, v4
	v_cndmask_b32_e64 v5, 0, 1, vcc
	s_mov_b64 s[4:5], -1
	global_store_byte v[0:1], v5, off
.LBB23_1892:
	s_mov_b64 s[0:1], 0
.LBB23_1893:
	s_and_b64 vcc, exec, s[0:1]
	s_cbranch_vccz .LBB23_1932
; %bb.1894:
	v_mov_b32_e32 v5, 5
	v_cmp_lt_i16_sdwa s[2:3], s33, v5 src0_sel:BYTE_0 src1_sel:DWORD
	s_mov_b64 s[0:1], -1
	s_and_b64 vcc, exec, s[2:3]
	s_cbranch_vccnz .LBB23_1915
; %bb.1895:
	v_mov_b32_e32 v5, 8
	v_cmp_lt_i16_sdwa s[2:3], s33, v5 src0_sel:BYTE_0 src1_sel:DWORD
	s_and_b64 vcc, exec, s[2:3]
	s_cbranch_vccnz .LBB23_1905
; %bb.1896:
	v_mov_b32_e32 v5, 9
	v_cmp_lt_i16_sdwa s[2:3], s33, v5 src0_sel:BYTE_0 src1_sel:DWORD
	s_and_b64 vcc, exec, s[2:3]
	s_cbranch_vccnz .LBB23_1902
; %bb.1897:
	v_cmp_gt_i16_sdwa s[2:3], s33, v5 src0_sel:BYTE_0 src1_sel:DWORD
	s_and_b64 vcc, exec, s[2:3]
	s_cbranch_vccz .LBB23_1899
; %bb.1898:
	v_cvt_f32_f16_e32 v5, v4
	v_mov_b32_e32 v10, 0
	v_mov_b32_e32 v11, v10
	s_mov_b64 s[0:1], 0
	v_cvt_f64_f32_e32 v[8:9], v5
	global_store_dwordx4 v[0:1], v[8:11], off
.LBB23_1899:
	s_andn2_b64 vcc, exec, s[0:1]
	s_cbranch_vccnz .LBB23_1901
; %bb.1900:
	v_cvt_f32_f16_e32 v8, v4
	v_mov_b32_e32 v9, 0
	global_store_dwordx2 v[0:1], v[8:9], off
.LBB23_1901:
	s_mov_b64 s[0:1], 0
.LBB23_1902:
	s_andn2_b64 vcc, exec, s[0:1]
	s_cbranch_vccnz .LBB23_1904
; %bb.1903:
	v_and_b32_e32 v5, 0xffff, v4
	global_store_dword v[0:1], v5, off
.LBB23_1904:
	s_mov_b64 s[0:1], 0
.LBB23_1905:
	s_andn2_b64 vcc, exec, s[0:1]
	s_cbranch_vccnz .LBB23_1914
; %bb.1906:
	v_mov_b32_e32 v5, 6
	v_cmp_lt_i16_sdwa s[2:3], s33, v5 src0_sel:BYTE_0 src1_sel:DWORD
	s_mov_b64 s[0:1], -1
	s_and_b64 vcc, exec, s[2:3]
	s_cbranch_vccnz .LBB23_1912
; %bb.1907:
	v_cmp_gt_i16_sdwa s[2:3], s33, v5 src0_sel:BYTE_0 src1_sel:DWORD
	s_and_b64 vcc, exec, s[2:3]
	s_cbranch_vccz .LBB23_1909
; %bb.1908:
	v_cvt_f32_f16_e32 v5, v4
	s_mov_b64 s[0:1], 0
	v_cvt_f64_f32_e32 v[8:9], v5
	global_store_dwordx2 v[0:1], v[8:9], off
.LBB23_1909:
	s_andn2_b64 vcc, exec, s[0:1]
	s_cbranch_vccnz .LBB23_1911
; %bb.1910:
	v_cvt_f32_f16_e32 v5, v4
	global_store_dword v[0:1], v5, off
.LBB23_1911:
	s_mov_b64 s[0:1], 0
.LBB23_1912:
	s_andn2_b64 vcc, exec, s[0:1]
	s_cbranch_vccnz .LBB23_1914
; %bb.1913:
	global_store_short v[0:1], v4, off
.LBB23_1914:
	s_mov_b64 s[0:1], 0
.LBB23_1915:
	s_andn2_b64 vcc, exec, s[0:1]
	s_cbranch_vccnz .LBB23_1931
; %bb.1916:
	v_mov_b32_e32 v5, 2
	v_cmp_lt_i16_sdwa s[2:3], s33, v5 src0_sel:BYTE_0 src1_sel:DWORD
	s_mov_b64 s[0:1], -1
	s_and_b64 vcc, exec, s[2:3]
	s_cbranch_vccnz .LBB23_1926
; %bb.1917:
	v_mov_b32_e32 v5, 3
	v_cmp_lt_i16_sdwa s[2:3], s33, v5 src0_sel:BYTE_0 src1_sel:DWORD
	s_and_b64 vcc, exec, s[2:3]
	s_cbranch_vccnz .LBB23_1923
; %bb.1918:
	v_cmp_gt_i16_sdwa s[2:3], s33, v5 src0_sel:BYTE_0 src1_sel:DWORD
	s_and_b64 vcc, exec, s[2:3]
	s_cbranch_vccz .LBB23_1920
; %bb.1919:
	v_cvt_f32_f16_e32 v5, v4
	s_mov_b64 s[0:1], 0
	v_cvt_i32_f32_e32 v8, v5
	v_ashrrev_i32_e32 v9, 31, v8
	global_store_dwordx2 v[0:1], v[8:9], off
.LBB23_1920:
	s_andn2_b64 vcc, exec, s[0:1]
	s_cbranch_vccnz .LBB23_1922
; %bb.1921:
	v_cvt_f32_f16_e32 v5, v4
	v_cvt_i32_f32_e32 v5, v5
	global_store_dword v[0:1], v5, off
.LBB23_1922:
	s_mov_b64 s[0:1], 0
.LBB23_1923:
	s_andn2_b64 vcc, exec, s[0:1]
	s_cbranch_vccnz .LBB23_1925
; %bb.1924:
	v_cvt_i16_f16_e32 v5, v4
	global_store_short v[0:1], v5, off
.LBB23_1925:
	s_mov_b64 s[0:1], 0
.LBB23_1926:
	s_andn2_b64 vcc, exec, s[0:1]
	s_cbranch_vccnz .LBB23_1931
; %bb.1927:
	v_mov_b32_e32 v5, 0
	v_cmp_gt_i16_sdwa s[2:3], s33, v5 src0_sel:BYTE_0 src1_sel:DWORD
	s_mov_b64 s[0:1], -1
	s_and_b64 vcc, exec, s[2:3]
	s_cbranch_vccz .LBB23_1929
; %bb.1928:
	v_cvt_i16_f16_e32 v5, v4
	global_store_byte v[0:1], v5, off
	s_mov_b64 s[0:1], 0
.LBB23_1929:
	s_andn2_b64 vcc, exec, s[0:1]
	s_cbranch_vccnz .LBB23_1931
; %bb.1930:
	v_cvt_f32_f16_e32 v4, v4
	v_cvt_i32_f32_e32 v4, v4
	global_store_byte v[0:1], v4, off
.LBB23_1931:
	s_mov_b64 s[4:5], -1
.LBB23_1932:
	s_andn2_b64 vcc, exec, s[4:5]
	s_cbranch_vccnz .LBB23_2009
; %bb.1933:
	s_waitcnt vmcnt(0)
	v_fma_mixlo_f16 v0, v14, v3, 0
	v_cmp_eq_f32_e32 vcc, 1.0, v14
	v_cndmask_b32_e32 v4, v0, v7, vcc
	v_add_u32_e32 v0, s14, v2
	v_ashrrev_i32_e32 v1, 31, v0
	v_mov_b32_e32 v2, s9
	v_add_co_u32_e32 v0, vcc, s8, v0
	v_addc_co_u32_e32 v1, vcc, v2, v1, vcc
	v_mov_b32_e32 v2, 0xff
	v_and_b32_e32 v5, s33, v2
	v_cmp_gt_i16_e32 vcc, 11, v5
	s_cbranch_vccnz .LBB23_2054
; %bb.1934:
	v_cmp_lt_i16_e32 vcc, 25, v5
	s_mov_b64 s[4:5], -1
	s_mov_b64 s[2:3], 0
	s_mov_b64 s[0:1], 0
	s_cbranch_vccz .LBB23_1967
; %bb.1935:
	v_cmp_lt_i16_e32 vcc, 28, v5
	s_cbranch_vccz .LBB23_1951
; %bb.1936:
	v_cmp_lt_i16_e32 vcc, 43, v5
	;; [unrolled: 3-line block ×3, first 2 shown]
	s_cbranch_vccz .LBB23_1941
; %bb.1938:
	v_cmp_eq_u16_e32 vcc, 46, v5
	s_mov_b64 s[0:1], -1
	s_cbranch_vccz .LBB23_1940
; %bb.1939:
	v_cvt_f32_f16_e32 v2, v4
	s_movk_i32 s0, 0x7fff
	v_mov_b32_e32 v3, 0x7fc0
	v_cmp_o_f16_e32 vcc, v4, v4
	v_bfe_u32 v6, v2, 16, 1
	v_add3_u32 v2, v2, v6, s0
	v_lshrrev_b32_e32 v2, 16, v2
	v_cndmask_b32_e32 v2, v3, v2, vcc
	global_store_dword v[0:1], v2, off
	s_mov_b64 s[0:1], 0
.LBB23_1940:
	s_mov_b64 s[4:5], 0
.LBB23_1941:
	s_and_b64 vcc, exec, s[4:5]
	s_cbranch_vccz .LBB23_1946
; %bb.1942:
	v_cmp_eq_u16_e32 vcc, 44, v5
	s_mov_b64 s[0:1], -1
	s_cbranch_vccz .LBB23_1946
; %bb.1943:
	v_cvt_f32_f16_e32 v2, v4
	s_movk_i32 s0, 0xff
	v_mov_b32_e32 v6, 0xff
	v_bfe_u32 v3, v2, 23, 8
	v_cmp_ne_u32_e32 vcc, s0, v3
	s_and_saveexec_b64 s[4:5], vcc
; %bb.1944:
	s_mov_b32 s0, 0x3fffff
	v_lshrrev_b32_e32 v6, 23, v2
	v_and_b32_e32 v7, 0x400000, v2
	v_and_or_b32 v2, v2, s0, v3
	v_cmp_ne_u32_e32 vcc, 0, v7
	v_cmp_ne_u32_e64 s[0:1], 0, v2
	s_and_b64 s[0:1], vcc, s[0:1]
	v_cndmask_b32_e64 v2, 0, 1, s[0:1]
	v_add_u32_e32 v6, v6, v2
; %bb.1945:
	s_or_b64 exec, exec, s[4:5]
	s_mov_b64 s[0:1], 0
	global_store_byte v[0:1], v6, off
.LBB23_1946:
	s_mov_b64 s[4:5], 0
.LBB23_1947:
	s_and_b64 vcc, exec, s[4:5]
	s_cbranch_vccz .LBB23_1950
; %bb.1948:
	v_cmp_eq_u16_e32 vcc, 29, v5
	s_mov_b64 s[0:1], -1
	s_cbranch_vccz .LBB23_1950
; %bb.1949:
	v_cvt_f32_f16_e32 v2, v4
	v_mov_b32_e32 v3, 0
	s_mov_b64 s[0:1], 0
	v_cvt_u32_f32_e32 v2, v2
	global_store_dwordx2 v[0:1], v[2:3], off
.LBB23_1950:
	s_mov_b64 s[4:5], 0
.LBB23_1951:
	s_and_b64 vcc, exec, s[4:5]
	s_cbranch_vccz .LBB23_1966
; %bb.1952:
	v_cmp_gt_i16_e32 vcc, 27, v5
	s_mov_b64 s[4:5], -1
	s_cbranch_vccnz .LBB23_1958
; %bb.1953:
	v_cmp_lt_i16_e32 vcc, 27, v5
	s_cbranch_vccz .LBB23_1955
; %bb.1954:
	v_cvt_f32_f16_e32 v2, v4
	s_mov_b64 s[4:5], 0
	v_cvt_u32_f32_e32 v2, v2
	global_store_dword v[0:1], v2, off
.LBB23_1955:
	s_andn2_b64 vcc, exec, s[4:5]
	s_cbranch_vccnz .LBB23_1957
; %bb.1956:
	v_cvt_u16_f16_e32 v2, v4
	global_store_short v[0:1], v2, off
.LBB23_1957:
	s_mov_b64 s[4:5], 0
.LBB23_1958:
	s_andn2_b64 vcc, exec, s[4:5]
	s_cbranch_vccnz .LBB23_1966
; %bb.1959:
	v_cvt_f32_f16_e32 v2, v4
	s_mov_b32 s4, 0x43800000
	v_mov_b32_e32 v6, 0x80
	v_and_b32_e32 v3, 0x7fffffff, v2
	v_cmp_gt_u32_e32 vcc, s4, v3
	s_and_saveexec_b64 s[4:5], vcc
	s_cbranch_execz .LBB23_1965
; %bb.1960:
	s_mov_b32 s8, 0x3bffffff
	v_cmp_lt_u32_e32 vcc, s8, v3
	s_mov_b64 s[8:9], 0
                                        ; implicit-def: $vgpr3
	s_and_saveexec_b64 s[10:11], vcc
	s_xor_b64 s[10:11], exec, s[10:11]
	s_cbranch_execz .LBB23_2060
; %bb.1961:
	v_bfe_u32 v3, v2, 20, 1
	s_mov_b32 s12, 0x487ffff
	v_add3_u32 v3, v2, v3, s12
	s_mov_b64 s[8:9], exec
	v_lshrrev_b32_e32 v3, 20, v3
	s_or_saveexec_b64 s[10:11], s[10:11]
                                        ; implicit-def: $sgpr12
	s_xor_b64 exec, exec, s[10:11]
	s_cbranch_execnz .LBB23_2061
.LBB23_1962:
	s_or_b64 exec, exec, s[10:11]
	v_mov_b32_e32 v6, s12
	s_and_saveexec_b64 s[10:11], s[8:9]
.LBB23_1963:
	v_lshrrev_b32_e32 v2, 24, v2
	s_movk_i32 s8, 0x80
	v_and_or_b32 v6, v2, s8, v3
.LBB23_1964:
	s_or_b64 exec, exec, s[10:11]
.LBB23_1965:
	s_or_b64 exec, exec, s[4:5]
	global_store_byte v[0:1], v6, off
.LBB23_1966:
	s_mov_b64 s[4:5], 0
.LBB23_1967:
	s_and_b64 vcc, exec, s[4:5]
	s_cbranch_vccz .LBB23_2007
; %bb.1968:
	v_cmp_lt_i16_e32 vcc, 22, v5
	s_mov_b64 s[2:3], -1
	s_cbranch_vccz .LBB23_2000
; %bb.1969:
	v_cmp_gt_i16_e32 vcc, 24, v5
	s_cbranch_vccnz .LBB23_1989
; %bb.1970:
	v_cmp_lt_i16_e32 vcc, 24, v5
	s_cbranch_vccz .LBB23_1978
; %bb.1971:
	v_cvt_f32_f16_e32 v2, v4
	s_mov_b32 s2, 0x47800000
	v_mov_b32_e32 v6, 0x80
	v_and_b32_e32 v3, 0x7fffffff, v2
	v_cmp_gt_u32_e32 vcc, s2, v3
	s_and_saveexec_b64 s[2:3], vcc
	s_cbranch_execz .LBB23_1977
; %bb.1972:
	s_mov_b32 s4, 0x37ffffff
	v_cmp_lt_u32_e32 vcc, s4, v3
	s_mov_b64 s[4:5], 0
                                        ; implicit-def: $vgpr3
	s_and_saveexec_b64 s[8:9], vcc
	s_xor_b64 s[8:9], exec, s[8:9]
	s_cbranch_execz .LBB23_2063
; %bb.1973:
	v_bfe_u32 v3, v2, 21, 1
	s_mov_b32 s10, 0x88fffff
	v_add3_u32 v3, v2, v3, s10
	s_mov_b64 s[4:5], exec
	v_lshrrev_b32_e32 v3, 21, v3
	s_or_saveexec_b64 s[8:9], s[8:9]
                                        ; implicit-def: $sgpr10
	s_xor_b64 exec, exec, s[8:9]
	s_cbranch_execnz .LBB23_2064
.LBB23_1974:
	s_or_b64 exec, exec, s[8:9]
	v_mov_b32_e32 v6, s10
	s_and_saveexec_b64 s[8:9], s[4:5]
.LBB23_1975:
	v_lshrrev_b32_e32 v2, 24, v2
	s_movk_i32 s4, 0x80
	v_and_or_b32 v6, v2, s4, v3
.LBB23_1976:
	s_or_b64 exec, exec, s[8:9]
.LBB23_1977:
	s_or_b64 exec, exec, s[2:3]
	s_mov_b64 s[2:3], 0
	global_store_byte v[0:1], v6, off
.LBB23_1978:
	s_and_b64 vcc, exec, s[2:3]
	s_cbranch_vccz .LBB23_1988
; %bb.1979:
	v_cvt_f32_f16_e32 v2, v4
	s_mov_b32 s2, 0x43f00000
                                        ; implicit-def: $vgpr3
	v_and_b32_e32 v6, 0x7fffffff, v2
	v_cmp_gt_u32_e32 vcc, s2, v6
	s_and_saveexec_b64 s[2:3], vcc
	s_xor_b64 s[2:3], exec, s[2:3]
	s_cbranch_execz .LBB23_1985
; %bb.1980:
	s_mov_b32 s4, 0x3c7fffff
	v_cmp_lt_u32_e32 vcc, s4, v6
                                        ; implicit-def: $vgpr3
	s_and_saveexec_b64 s[4:5], vcc
	s_xor_b64 s[4:5], exec, s[4:5]
; %bb.1981:
	v_bfe_u32 v3, v2, 20, 1
	s_mov_b32 s8, 0x407ffff
	v_add3_u32 v3, v2, v3, s8
	v_lshrrev_b32_e32 v6, 20, v3
	v_and_b32_e32 v3, 0xff00000, v3
	s_mov_b32 s8, 0x7f00000
	v_mov_b32_e32 v7, 0x7e
	v_cmp_ne_u32_e32 vcc, s8, v3
	v_cndmask_b32_e32 v3, v7, v6, vcc
; %bb.1982:
	s_andn2_saveexec_b64 s[4:5], s[4:5]
; %bb.1983:
	s_mov_b32 s8, 0x46800000
	v_add_f32_e64 v3, |v2|, s8
; %bb.1984:
	s_or_b64 exec, exec, s[4:5]
                                        ; implicit-def: $vgpr6
.LBB23_1985:
	s_andn2_saveexec_b64 s[2:3], s[2:3]
; %bb.1986:
	s_mov_b32 s4, 0x7f800000
	v_mov_b32_e32 v3, 0x7e
	v_mov_b32_e32 v7, 0x7f
	v_cmp_lt_u32_e32 vcc, s4, v6
	v_cndmask_b32_e32 v3, v3, v7, vcc
; %bb.1987:
	s_or_b64 exec, exec, s[2:3]
	v_lshrrev_b32_e32 v2, 24, v2
	s_movk_i32 s2, 0x80
	v_and_or_b32 v2, v2, s2, v3
	global_store_byte v[0:1], v2, off
.LBB23_1988:
	s_mov_b64 s[2:3], 0
.LBB23_1989:
	s_andn2_b64 vcc, exec, s[2:3]
	s_cbranch_vccnz .LBB23_1999
; %bb.1990:
	v_cvt_f32_f16_e32 v2, v4
	s_mov_b32 s2, 0x47800000
                                        ; implicit-def: $vgpr3
	v_and_b32_e32 v6, 0x7fffffff, v2
	v_cmp_gt_u32_e32 vcc, s2, v6
	s_and_saveexec_b64 s[2:3], vcc
	s_xor_b64 s[2:3], exec, s[2:3]
	s_cbranch_execz .LBB23_1996
; %bb.1991:
	s_mov_b32 s4, 0x387fffff
	v_cmp_lt_u32_e32 vcc, s4, v6
                                        ; implicit-def: $vgpr3
	s_and_saveexec_b64 s[4:5], vcc
	s_xor_b64 s[4:5], exec, s[4:5]
; %bb.1992:
	v_bfe_u32 v3, v2, 21, 1
	s_mov_b32 s8, 0x80fffff
	v_add3_u32 v3, v2, v3, s8
	v_lshrrev_b32_e32 v3, 21, v3
; %bb.1993:
	s_andn2_saveexec_b64 s[4:5], s[4:5]
; %bb.1994:
	s_mov_b32 s8, 0x43000000
	v_add_f32_e64 v3, |v2|, s8
; %bb.1995:
	s_or_b64 exec, exec, s[4:5]
                                        ; implicit-def: $vgpr6
.LBB23_1996:
	s_andn2_saveexec_b64 s[2:3], s[2:3]
; %bb.1997:
	s_mov_b32 s4, 0x7f800000
	v_mov_b32_e32 v3, 0x7c
	v_mov_b32_e32 v7, 0x7f
	v_cmp_lt_u32_e32 vcc, s4, v6
	v_cndmask_b32_e32 v3, v3, v7, vcc
; %bb.1998:
	s_or_b64 exec, exec, s[2:3]
	v_lshrrev_b32_e32 v2, 24, v2
	s_movk_i32 s2, 0x80
	v_and_or_b32 v2, v2, s2, v3
	global_store_byte v[0:1], v2, off
.LBB23_1999:
	s_mov_b64 s[2:3], 0
.LBB23_2000:
	s_andn2_b64 vcc, exec, s[2:3]
	s_mov_b64 s[2:3], 0
	s_cbranch_vccnz .LBB23_2007
; %bb.2001:
	v_cmp_lt_i16_e32 vcc, 14, v5
	s_mov_b64 s[4:5], -1
	s_cbranch_vccz .LBB23_2005
; %bb.2002:
	v_cmp_eq_u16_e32 vcc, 15, v5
	s_mov_b64 s[0:1], -1
	s_cbranch_vccz .LBB23_2004
; %bb.2003:
	v_cvt_f32_f16_e32 v2, v4
	s_movk_i32 s0, 0x7fff
	v_mov_b32_e32 v3, 0x7fc0
	v_cmp_o_f16_e32 vcc, v4, v4
	v_bfe_u32 v6, v2, 16, 1
	v_add3_u32 v2, v2, v6, s0
	v_lshrrev_b32_e32 v2, 16, v2
	v_cndmask_b32_e32 v2, v3, v2, vcc
	global_store_short v[0:1], v2, off
	s_mov_b64 s[0:1], 0
.LBB23_2004:
	s_mov_b64 s[4:5], 0
.LBB23_2005:
	s_and_b64 vcc, exec, s[4:5]
	s_cbranch_vccz .LBB23_2007
; %bb.2006:
	v_cmp_ne_u16_e64 s[0:1], 11, v5
	s_mov_b64 s[2:3], -1
.LBB23_2007:
	s_and_b64 vcc, exec, s[0:1]
	s_cbranch_vccnz .LBB23_2062
.LBB23_2008:
	s_mov_b64 s[0:1], 0
	s_branch .LBB23_2010
.LBB23_2009:
	s_mov_b64 s[0:1], 0
	s_mov_b64 s[2:3], 0
                                        ; implicit-def: $vgpr5
                                        ; implicit-def: $vgpr0_vgpr1
                                        ; implicit-def: $vgpr4
.LBB23_2010:
	s_and_b64 s[4:5], s[2:3], exec
	s_andn2_b64 s[2:3], s[16:17], exec
	s_and_b64 s[8:9], s[18:19], exec
	s_and_b64 s[0:1], s[0:1], exec
	s_or_b64 s[16:17], s[2:3], s[8:9]
.LBB23_2011:
	s_or_b64 exec, exec, s[6:7]
	s_and_saveexec_b64 s[2:3], s[16:17]
	s_cbranch_execz .LBB23_2014
; %bb.2012:
	; divergent unreachable
	s_or_b64 exec, exec, s[2:3]
	s_and_saveexec_b64 s[2:3], s[4:5]
	s_xor_b64 s[2:3], exec, s[2:3]
	s_cbranch_execnz .LBB23_2015
.LBB23_2013:
	s_or_b64 exec, exec, s[2:3]
	s_and_saveexec_b64 s[2:3], s[0:1]
	s_cbranch_execnz .LBB23_2016
	s_branch .LBB23_2053
.LBB23_2014:
	s_or_b64 exec, exec, s[2:3]
	s_and_saveexec_b64 s[2:3], s[4:5]
	s_xor_b64 s[2:3], exec, s[2:3]
	s_cbranch_execz .LBB23_2013
.LBB23_2015:
	s_waitcnt vmcnt(0)
	v_cmp_neq_f16_e32 vcc, 0, v4
	v_cndmask_b32_e64 v2, 0, 1, vcc
	global_store_byte v[0:1], v2, off
	s_or_b64 exec, exec, s[2:3]
	s_and_saveexec_b64 s[2:3], s[0:1]
	s_cbranch_execz .LBB23_2053
.LBB23_2016:
	s_waitcnt vmcnt(0)
	v_cmp_gt_i16_e32 vcc, 5, v5
	s_mov_b64 s[0:1], -1
	s_cbranch_vccnz .LBB23_2037
; %bb.2017:
	v_cmp_gt_i16_e32 vcc, 8, v5
	s_cbranch_vccnz .LBB23_2027
; %bb.2018:
	v_cmp_gt_i16_e32 vcc, 9, v5
	s_cbranch_vccnz .LBB23_2024
; %bb.2019:
	v_cmp_lt_i16_e32 vcc, 9, v5
	s_cbranch_vccz .LBB23_2021
; %bb.2020:
	v_cvt_f32_f16_e32 v2, v4
	v_mov_b32_e32 v8, 0
	v_mov_b32_e32 v9, v8
	s_mov_b64 s[0:1], 0
	v_cvt_f64_f32_e32 v[6:7], v2
	global_store_dwordx4 v[0:1], v[6:9], off
.LBB23_2021:
	s_andn2_b64 vcc, exec, s[0:1]
	s_cbranch_vccnz .LBB23_2023
; %bb.2022:
	v_cvt_f32_f16_e32 v2, v4
	v_mov_b32_e32 v3, 0
	global_store_dwordx2 v[0:1], v[2:3], off
.LBB23_2023:
	s_mov_b64 s[0:1], 0
.LBB23_2024:
	s_andn2_b64 vcc, exec, s[0:1]
	s_cbranch_vccnz .LBB23_2026
; %bb.2025:
	v_and_b32_e32 v2, 0xffff, v4
	global_store_dword v[0:1], v2, off
.LBB23_2026:
	s_mov_b64 s[0:1], 0
.LBB23_2027:
	s_andn2_b64 vcc, exec, s[0:1]
	s_cbranch_vccnz .LBB23_2036
; %bb.2028:
	v_cmp_gt_i16_e32 vcc, 6, v5
	s_mov_b64 s[0:1], -1
	s_cbranch_vccnz .LBB23_2034
; %bb.2029:
	v_cmp_lt_i16_e32 vcc, 6, v5
	s_cbranch_vccz .LBB23_2031
; %bb.2030:
	v_cvt_f32_f16_e32 v2, v4
	s_mov_b64 s[0:1], 0
	v_cvt_f64_f32_e32 v[2:3], v2
	global_store_dwordx2 v[0:1], v[2:3], off
.LBB23_2031:
	s_andn2_b64 vcc, exec, s[0:1]
	s_cbranch_vccnz .LBB23_2033
; %bb.2032:
	v_cvt_f32_f16_e32 v2, v4
	global_store_dword v[0:1], v2, off
.LBB23_2033:
	s_mov_b64 s[0:1], 0
.LBB23_2034:
	s_andn2_b64 vcc, exec, s[0:1]
	s_cbranch_vccnz .LBB23_2036
; %bb.2035:
	global_store_short v[0:1], v4, off
.LBB23_2036:
	s_mov_b64 s[0:1], 0
.LBB23_2037:
	s_andn2_b64 vcc, exec, s[0:1]
	s_cbranch_vccnz .LBB23_2053
; %bb.2038:
	v_cmp_gt_i16_e32 vcc, 2, v5
	s_mov_b64 s[0:1], -1
	s_cbranch_vccnz .LBB23_2048
; %bb.2039:
	v_cmp_gt_i16_e32 vcc, 3, v5
	s_cbranch_vccnz .LBB23_2045
; %bb.2040:
	v_cmp_lt_i16_e32 vcc, 3, v5
	s_cbranch_vccz .LBB23_2042
; %bb.2041:
	v_cvt_f32_f16_e32 v2, v4
	s_mov_b64 s[0:1], 0
	v_cvt_i32_f32_e32 v2, v2
	v_ashrrev_i32_e32 v3, 31, v2
	global_store_dwordx2 v[0:1], v[2:3], off
.LBB23_2042:
	s_andn2_b64 vcc, exec, s[0:1]
	s_cbranch_vccnz .LBB23_2044
; %bb.2043:
	v_cvt_f32_f16_e32 v2, v4
	v_cvt_i32_f32_e32 v2, v2
	global_store_dword v[0:1], v2, off
.LBB23_2044:
	s_mov_b64 s[0:1], 0
.LBB23_2045:
	s_andn2_b64 vcc, exec, s[0:1]
	s_cbranch_vccnz .LBB23_2047
; %bb.2046:
	v_cvt_i16_f16_e32 v2, v4
	global_store_short v[0:1], v2, off
.LBB23_2047:
	s_mov_b64 s[0:1], 0
.LBB23_2048:
	s_andn2_b64 vcc, exec, s[0:1]
	s_cbranch_vccnz .LBB23_2053
; %bb.2049:
	v_cmp_lt_i16_e32 vcc, 0, v5
	s_mov_b64 s[0:1], -1
	s_cbranch_vccz .LBB23_2051
; %bb.2050:
	v_cvt_i16_f16_e32 v2, v4
	global_store_byte v[0:1], v2, off
	s_mov_b64 s[0:1], 0
.LBB23_2051:
	s_andn2_b64 vcc, exec, s[0:1]
	s_cbranch_vccnz .LBB23_2053
; %bb.2052:
	v_cvt_f32_f16_e32 v2, v4
	v_cvt_i32_f32_e32 v2, v2
	global_store_byte v[0:1], v2, off
	s_endpgm
.LBB23_2053:
	s_endpgm
.LBB23_2054:
	s_mov_b64 s[2:3], 0
	s_mov_b64 s[0:1], -1
	s_branch .LBB23_2010
.LBB23_2055:
	s_or_saveexec_b64 s[12:13], s[12:13]
                                        ; implicit-def: $sgpr15
	s_xor_b64 exec, exec, s[12:13]
	s_cbranch_execz .LBB23_1843
.LBB23_2056:
	s_mov_b32 s15, 0x46000000
	v_add_f32_e64 v6, |v5|, s15
	v_and_b32_e32 v6, 0xff, v6
	v_cmp_ne_u32_e32 vcc, 0, v6
	s_andn2_b64 s[10:11], s[10:11], exec
	s_and_b64 s[20:21], vcc, exec
	s_mov_b32 s15, 0
	s_or_b64 s[10:11], s[10:11], s[20:21]
	s_or_b64 exec, exec, s[12:13]
	v_mov_b32_e32 v8, s15
	s_and_saveexec_b64 s[12:13], s[10:11]
	s_cbranch_execnz .LBB23_1844
	s_branch .LBB23_1845
.LBB23_2057:
	s_trap 2
	s_or_b64 s[18:19], s[18:19], exec
	s_cbranch_execz .LBB23_1891
	s_branch .LBB23_1892
.LBB23_2058:
	s_or_saveexec_b64 s[10:11], s[10:11]
                                        ; implicit-def: $sgpr12
	s_xor_b64 exec, exec, s[10:11]
	s_cbranch_execz .LBB23_1856
.LBB23_2059:
	s_mov_b32 s12, 0x42800000
	v_add_f32_e64 v6, |v5|, s12
	v_and_b32_e32 v6, 0xff, v6
	v_cmp_ne_u32_e32 vcc, 0, v6
	s_andn2_b64 s[4:5], s[4:5], exec
	s_and_b64 s[20:21], vcc, exec
	s_mov_b32 s12, 0
	s_or_b64 s[4:5], s[4:5], s[20:21]
	s_or_b64 exec, exec, s[10:11]
	v_mov_b32_e32 v8, s12
	s_and_saveexec_b64 s[10:11], s[4:5]
	s_cbranch_execnz .LBB23_1857
	s_branch .LBB23_1858
.LBB23_2060:
	s_or_saveexec_b64 s[10:11], s[10:11]
                                        ; implicit-def: $sgpr12
	s_xor_b64 exec, exec, s[10:11]
	s_cbranch_execz .LBB23_1962
.LBB23_2061:
	s_mov_b32 s12, 0x46000000
	v_add_f32_e64 v3, |v2|, s12
	v_and_b32_e32 v3, 0xff, v3
	v_cmp_ne_u32_e32 vcc, 0, v3
	s_andn2_b64 s[8:9], s[8:9], exec
	s_and_b64 s[14:15], vcc, exec
	s_mov_b32 s12, 0
	s_or_b64 s[8:9], s[8:9], s[14:15]
	s_or_b64 exec, exec, s[10:11]
	v_mov_b32_e32 v6, s12
	s_and_saveexec_b64 s[10:11], s[8:9]
	s_cbranch_execnz .LBB23_1963
	s_branch .LBB23_1964
.LBB23_2062:
	s_mov_b64 s[2:3], 0
	s_or_b64 s[18:19], s[18:19], exec
	s_trap 2
	s_branch .LBB23_2008
.LBB23_2063:
	s_or_saveexec_b64 s[8:9], s[8:9]
                                        ; implicit-def: $sgpr10
	s_xor_b64 exec, exec, s[8:9]
	s_cbranch_execz .LBB23_1974
.LBB23_2064:
	s_mov_b32 s10, 0x42800000
	v_add_f32_e64 v3, |v2|, s10
	v_and_b32_e32 v3, 0xff, v3
	v_cmp_ne_u32_e32 vcc, 0, v3
	s_andn2_b64 s[4:5], s[4:5], exec
	s_and_b64 s[12:13], vcc, exec
	s_mov_b32 s10, 0
	s_or_b64 s[4:5], s[4:5], s[12:13]
	s_or_b64 exec, exec, s[8:9]
	v_mov_b32_e32 v6, s10
	s_and_saveexec_b64 s[8:9], s[4:5]
	s_cbranch_execnz .LBB23_1975
	s_branch .LBB23_1976
	.section	.rodata,"a",@progbits
	.p2align	6, 0x0
	.amdhsa_kernel _ZN2at6native32elementwise_kernel_manual_unrollILi128ELi4EZNS0_15gpu_kernel_implIZZZNS0_12_GLOBAL__N_139_amp_non_finite_check_and_unscale_cuda_ERNS_6TensorES5_RKS4_ENKUlvE_clEvENKUlvE1_clEvEUlN3c104HalfEE_EEvRNS_18TensorIteratorBaseERKT_EUlibE_EEviT1_
		.amdhsa_group_segment_fixed_size 0
		.amdhsa_private_segment_fixed_size 0
		.amdhsa_kernarg_size 56
		.amdhsa_user_sgpr_count 6
		.amdhsa_user_sgpr_private_segment_buffer 1
		.amdhsa_user_sgpr_dispatch_ptr 0
		.amdhsa_user_sgpr_queue_ptr 0
		.amdhsa_user_sgpr_kernarg_segment_ptr 1
		.amdhsa_user_sgpr_dispatch_id 0
		.amdhsa_user_sgpr_flat_scratch_init 0
		.amdhsa_user_sgpr_kernarg_preload_length 0
		.amdhsa_user_sgpr_kernarg_preload_offset 0
		.amdhsa_user_sgpr_private_segment_size 0
		.amdhsa_uses_dynamic_stack 0
		.amdhsa_system_sgpr_private_segment_wavefront_offset 0
		.amdhsa_system_sgpr_workgroup_id_x 1
		.amdhsa_system_sgpr_workgroup_id_y 0
		.amdhsa_system_sgpr_workgroup_id_z 0
		.amdhsa_system_sgpr_workgroup_info 0
		.amdhsa_system_vgpr_workitem_id 0
		.amdhsa_next_free_vgpr 20
		.amdhsa_next_free_sgpr 47
		.amdhsa_accum_offset 20
		.amdhsa_reserve_vcc 1
		.amdhsa_reserve_flat_scratch 0
		.amdhsa_float_round_mode_32 0
		.amdhsa_float_round_mode_16_64 0
		.amdhsa_float_denorm_mode_32 3
		.amdhsa_float_denorm_mode_16_64 3
		.amdhsa_dx10_clamp 1
		.amdhsa_ieee_mode 1
		.amdhsa_fp16_overflow 0
		.amdhsa_tg_split 0
		.amdhsa_exception_fp_ieee_invalid_op 0
		.amdhsa_exception_fp_denorm_src 0
		.amdhsa_exception_fp_ieee_div_zero 0
		.amdhsa_exception_fp_ieee_overflow 0
		.amdhsa_exception_fp_ieee_underflow 0
		.amdhsa_exception_fp_ieee_inexact 0
		.amdhsa_exception_int_div_zero 0
	.end_amdhsa_kernel
	.section	.text._ZN2at6native32elementwise_kernel_manual_unrollILi128ELi4EZNS0_15gpu_kernel_implIZZZNS0_12_GLOBAL__N_139_amp_non_finite_check_and_unscale_cuda_ERNS_6TensorES5_RKS4_ENKUlvE_clEvENKUlvE1_clEvEUlN3c104HalfEE_EEvRNS_18TensorIteratorBaseERKT_EUlibE_EEviT1_,"axG",@progbits,_ZN2at6native32elementwise_kernel_manual_unrollILi128ELi4EZNS0_15gpu_kernel_implIZZZNS0_12_GLOBAL__N_139_amp_non_finite_check_and_unscale_cuda_ERNS_6TensorES5_RKS4_ENKUlvE_clEvENKUlvE1_clEvEUlN3c104HalfEE_EEvRNS_18TensorIteratorBaseERKT_EUlibE_EEviT1_,comdat
.Lfunc_end23:
	.size	_ZN2at6native32elementwise_kernel_manual_unrollILi128ELi4EZNS0_15gpu_kernel_implIZZZNS0_12_GLOBAL__N_139_amp_non_finite_check_and_unscale_cuda_ERNS_6TensorES5_RKS4_ENKUlvE_clEvENKUlvE1_clEvEUlN3c104HalfEE_EEvRNS_18TensorIteratorBaseERKT_EUlibE_EEviT1_, .Lfunc_end23-_ZN2at6native32elementwise_kernel_manual_unrollILi128ELi4EZNS0_15gpu_kernel_implIZZZNS0_12_GLOBAL__N_139_amp_non_finite_check_and_unscale_cuda_ERNS_6TensorES5_RKS4_ENKUlvE_clEvENKUlvE1_clEvEUlN3c104HalfEE_EEvRNS_18TensorIteratorBaseERKT_EUlibE_EEviT1_
                                        ; -- End function
	.section	.AMDGPU.csdata,"",@progbits
; Kernel info:
; codeLenInByte = 34372
; NumSgprs: 51
; NumVgprs: 20
; NumAgprs: 0
; TotalNumVgprs: 20
; ScratchSize: 0
; MemoryBound: 0
; FloatMode: 240
; IeeeMode: 1
; LDSByteSize: 0 bytes/workgroup (compile time only)
; SGPRBlocks: 6
; VGPRBlocks: 2
; NumSGPRsForWavesPerEU: 51
; NumVGPRsForWavesPerEU: 20
; AccumOffset: 20
; Occupancy: 8
; WaveLimiterHint : 0
; COMPUTE_PGM_RSRC2:SCRATCH_EN: 0
; COMPUTE_PGM_RSRC2:USER_SGPR: 6
; COMPUTE_PGM_RSRC2:TRAP_HANDLER: 0
; COMPUTE_PGM_RSRC2:TGID_X_EN: 1
; COMPUTE_PGM_RSRC2:TGID_Y_EN: 0
; COMPUTE_PGM_RSRC2:TGID_Z_EN: 0
; COMPUTE_PGM_RSRC2:TIDIG_COMP_CNT: 0
; COMPUTE_PGM_RSRC3_GFX90A:ACCUM_OFFSET: 4
; COMPUTE_PGM_RSRC3_GFX90A:TG_SPLIT: 0
	.section	.text._ZN2at6native32elementwise_kernel_manual_unrollILi128ELi4EZNS0_15gpu_kernel_implIZZZNS0_12_GLOBAL__N_139_amp_non_finite_check_and_unscale_cuda_ERNS_6TensorES5_RKS4_ENKUlvE_clEvENKUlvE1_clEvEUlN3c104HalfEE_EEvRNS_18TensorIteratorBaseERKT_EUlibE0_EEviT1_,"axG",@progbits,_ZN2at6native32elementwise_kernel_manual_unrollILi128ELi4EZNS0_15gpu_kernel_implIZZZNS0_12_GLOBAL__N_139_amp_non_finite_check_and_unscale_cuda_ERNS_6TensorES5_RKS4_ENKUlvE_clEvENKUlvE1_clEvEUlN3c104HalfEE_EEvRNS_18TensorIteratorBaseERKT_EUlibE0_EEviT1_,comdat
	.globl	_ZN2at6native32elementwise_kernel_manual_unrollILi128ELi4EZNS0_15gpu_kernel_implIZZZNS0_12_GLOBAL__N_139_amp_non_finite_check_and_unscale_cuda_ERNS_6TensorES5_RKS4_ENKUlvE_clEvENKUlvE1_clEvEUlN3c104HalfEE_EEvRNS_18TensorIteratorBaseERKT_EUlibE0_EEviT1_ ; -- Begin function _ZN2at6native32elementwise_kernel_manual_unrollILi128ELi4EZNS0_15gpu_kernel_implIZZZNS0_12_GLOBAL__N_139_amp_non_finite_check_and_unscale_cuda_ERNS_6TensorES5_RKS4_ENKUlvE_clEvENKUlvE1_clEvEUlN3c104HalfEE_EEvRNS_18TensorIteratorBaseERKT_EUlibE0_EEviT1_
	.p2align	8
	.type	_ZN2at6native32elementwise_kernel_manual_unrollILi128ELi4EZNS0_15gpu_kernel_implIZZZNS0_12_GLOBAL__N_139_amp_non_finite_check_and_unscale_cuda_ERNS_6TensorES5_RKS4_ENKUlvE_clEvENKUlvE1_clEvEUlN3c104HalfEE_EEvRNS_18TensorIteratorBaseERKT_EUlibE0_EEviT1_,@function
_ZN2at6native32elementwise_kernel_manual_unrollILi128ELi4EZNS0_15gpu_kernel_implIZZZNS0_12_GLOBAL__N_139_amp_non_finite_check_and_unscale_cuda_ERNS_6TensorES5_RKS4_ENKUlvE_clEvENKUlvE1_clEvEUlN3c104HalfEE_EEvRNS_18TensorIteratorBaseERKT_EUlibE0_EEviT1_: ; @_ZN2at6native32elementwise_kernel_manual_unrollILi128ELi4EZNS0_15gpu_kernel_implIZZZNS0_12_GLOBAL__N_139_amp_non_finite_check_and_unscale_cuda_ERNS_6TensorES5_RKS4_ENKUlvE_clEvENKUlvE1_clEvEUlN3c104HalfEE_EEvRNS_18TensorIteratorBaseERKT_EUlibE0_EEviT1_
; %bb.0:
	s_load_dword s76, s[4:5], 0x0
	s_load_dword s33, s[4:5], 0x8
	s_or_b32 s34, s4, 8
	v_lshl_or_b32 v8, s6, 9, v0
	v_or_b32_e32 v9, 0x180, v8
	s_mov_b32 s35, s5
	s_waitcnt lgkmcnt(0)
	s_add_i32 s78, s33, -1
	s_cmp_gt_u32 s78, 1
	v_cmp_le_i32_e32 vcc, s76, v9
	s_cselect_b64 s[44:45], -1, 0
	s_mov_b64 s[6:7], 0
	s_mov_b64 s[28:29], 0
	s_and_saveexec_b64 s[0:1], vcc
	s_xor_b64 s[46:47], exec, s[0:1]
	s_cbranch_execz .LBB24_1098
; %bb.1:
	s_load_dwordx4 s[36:39], s[34:35], 0x4
	s_load_dwordx2 s[48:49], s[34:35], 0x14
	s_load_dword s79, s[34:35], 0x168
	s_cmp_lg_u32 s33, 0
	s_load_dwordx4 s[40:43], s[34:35], 0xc4
	s_load_dwordx8 s[8:15], s[34:35], 0x148
	s_cselect_b64 s[54:55], -1, 0
	s_add_u32 s52, s34, 0xc4
	s_addc_u32 s53, s35, 0
	s_min_u32 s77, s78, 15
	s_cmp_gt_u32 s33, 1
	s_cselect_b64 s[50:51], -1, 0
	s_waitcnt lgkmcnt(0)
	v_lshrrev_b16_e64 v4, 8, s79
	v_cmp_gt_i32_e32 vcc, s76, v8
	s_mov_b64 s[2:3], -1
	s_mov_b64 s[64:65], 0
	s_mov_b64 s[58:59], 0
	s_mov_b64 s[56:57], 0
	s_and_saveexec_b64 s[60:61], vcc
	s_cbranch_execz .LBB24_269
; %bb.2:
	s_andn2_b64 vcc, exec, s[44:45]
	s_cbranch_vccnz .LBB24_8
; %bb.3:
	s_mov_b32 s56, 0
	s_andn2_b64 vcc, exec, s[54:55]
	v_mov_b32_e32 v2, 0
	v_mov_b32_e32 v0, 0
	s_cbranch_vccnz .LBB24_14
; %bb.4:
	s_add_i32 s66, s77, 1
	s_cmp_eq_u32 s78, 2
	s_cbranch_scc1 .LBB24_9
; %bb.5:
	s_and_b32 s56, s66, 28
	s_mov_b32 s57, 0
	v_mov_b32_e32 v0, 0
	s_mov_b64 s[58:59], s[34:35]
	s_mov_b64 s[62:63], s[52:53]
	v_mov_b32_e32 v3, v8
	v_mov_b32_e32 v2, 0
.LBB24_6:                               ; =>This Inner Loop Header: Depth=1
	s_load_dwordx8 s[24:31], s[58:59], 0x4
	s_load_dwordx4 s[0:3], s[58:59], 0x24
	s_load_dwordx8 s[16:23], s[62:63], 0x0
	s_add_u32 s58, s58, 48
	s_addc_u32 s59, s59, 0
	s_waitcnt lgkmcnt(0)
	v_mul_hi_u32 v1, s25, v3
	v_add_u32_e32 v1, v3, v1
	v_lshrrev_b32_e32 v1, s26, v1
	v_mul_lo_u32 v5, v1, s24
	v_mul_hi_u32 v6, s28, v1
	v_sub_u32_e32 v3, v3, v5
	v_add_u32_e32 v5, v1, v6
	v_lshrrev_b32_e32 v5, s29, v5
	v_mul_lo_u32 v7, v5, s27
	v_mul_hi_u32 v9, s31, v5
	v_sub_u32_e32 v1, v1, v7
	v_add_u32_e32 v7, v5, v9
	v_mul_lo_u32 v6, v3, s17
	v_mul_lo_u32 v3, v3, s16
	;; [unrolled: 1-line block ×4, first 2 shown]
	v_lshrrev_b32_e32 v7, s0, v7
	v_add3_u32 v0, v3, v0, v1
	v_mul_hi_u32 v3, s2, v7
	v_add_u32_e32 v3, v7, v3
	v_lshrrev_b32_e32 v3, s3, v3
	s_add_i32 s57, s57, 4
	v_add3_u32 v1, v6, v2, v9
	v_mul_lo_u32 v2, v7, s30
	v_mul_lo_u32 v6, v3, s1
	s_add_u32 s62, s62, 32
	v_sub_u32_e32 v2, v5, v2
	v_sub_u32_e32 v6, v7, v6
	s_addc_u32 s63, s63, 0
	v_mul_lo_u32 v5, v2, s20
	v_mul_lo_u32 v2, v2, s21
	;; [unrolled: 1-line block ×4, first 2 shown]
	s_cmp_lg_u32 s56, s57
	v_add3_u32 v2, v2, v1, v6
	v_add3_u32 v0, v5, v0, v7
	s_cbranch_scc1 .LBB24_6
; %bb.7:
	v_mov_b32_e32 v1, v2
	s_branch .LBB24_10
.LBB24_8:
                                        ; implicit-def: $vgpr2
                                        ; implicit-def: $vgpr0
	s_branch .LBB24_15
.LBB24_9:
	s_mov_b32 s57, s56
	v_pk_mov_b32 v[0:1], s[56:57], s[56:57] op_sel:[0,1]
                                        ; implicit-def: $vgpr2
	v_mov_b32_e32 v3, v8
.LBB24_10:
	s_and_b32 s16, s66, 3
	s_cmp_eq_u32 s16, 0
	s_cbranch_scc1 .LBB24_14
; %bb.11:
	s_lshl_b32 s0, s56, 3
	s_add_u32 s0, s0, s34
	s_addc_u32 s1, s35, 0
	s_add_u32 s0, s0, 0xc4
	s_addc_u32 s1, s1, 0
	s_mul_i32 s2, s56, 12
	s_add_u32 s2, s34, s2
	s_addc_u32 s3, s35, 0
.LBB24_12:                              ; =>This Inner Loop Header: Depth=1
	s_load_dwordx2 s[18:19], s[2:3], 0x4
	s_load_dword s17, s[2:3], 0xc
	s_load_dwordx2 s[20:21], s[0:1], 0x0
	v_mov_b32_e32 v2, v1
	s_add_u32 s2, s2, 12
	s_waitcnt lgkmcnt(0)
	v_mul_hi_u32 v1, s19, v3
	v_add_u32_e32 v1, v3, v1
	v_lshrrev_b32_e32 v1, s17, v1
	s_addc_u32 s3, s3, 0
	v_mul_lo_u32 v5, v1, s18
	s_add_u32 s0, s0, 8
	v_sub_u32_e32 v5, v3, v5
	v_mov_b32_e32 v3, v1
	s_addc_u32 s1, s1, 0
	s_add_i32 s16, s16, -1
	v_mad_u64_u32 v[6:7], s[18:19], v5, s21, v[2:3]
	v_mad_u64_u32 v[0:1], s[18:19], v5, s20, v[0:1]
	s_cmp_lg_u32 s16, 0
	v_mov_b32_e32 v1, v6
	s_cbranch_scc1 .LBB24_12
; %bb.13:
	v_mov_b32_e32 v2, v1
.LBB24_14:
	s_cbranch_execnz .LBB24_17
.LBB24_15:
	v_mul_hi_u32 v0, s37, v8
	v_add_u32_e32 v0, v8, v0
	v_lshrrev_b32_e32 v1, s38, v0
	v_mul_lo_u32 v0, v1, s36
	v_sub_u32_e32 v0, v8, v0
	v_mul_lo_u32 v2, v0, s41
	s_andn2_b64 vcc, exec, s[50:51]
	v_mul_lo_u32 v0, v0, s40
	s_cbranch_vccnz .LBB24_17
; %bb.16:
	v_mul_hi_u32 v3, s48, v1
	v_add_u32_e32 v3, v1, v3
	v_lshrrev_b32_e32 v3, s49, v3
	v_mul_lo_u32 v3, v3, s39
	v_sub_u32_e32 v3, v1, v3
	v_mad_u64_u32 v[0:1], s[0:1], v3, s42, v[0:1]
	v_mad_u64_u32 v[2:3], s[0:1], v3, s43, v[2:3]
.LBB24_17:
	v_mov_b32_e32 v1, s11
	v_add_co_u32_e32 v2, vcc, s10, v2
	v_addc_co_u32_e32 v3, vcc, 0, v1, vcc
	v_cmp_gt_i16_e32 vcc, 11, v4
	s_cbranch_vccnz .LBB24_24
; %bb.18:
	v_cmp_lt_i16_e32 vcc, 25, v4
	s_cbranch_vccz .LBB24_35
; %bb.19:
	v_cmp_lt_i16_e32 vcc, 28, v4
	s_cbranch_vccz .LBB24_38
	;; [unrolled: 3-line block ×4, first 2 shown]
; %bb.22:
	v_cmp_eq_u16_e32 vcc, 46, v4
	s_mov_b64 s[16:17], 0
	s_cbranch_vccz .LBB24_44
; %bb.23:
	global_load_dword v1, v[2:3], off
	s_mov_b64 s[0:1], -1
	s_mov_b64 s[2:3], 0
	s_waitcnt vmcnt(0)
	v_lshlrev_b32_e32 v1, 16, v1
	v_cvt_f16_f32_e32 v5, v1
	s_branch .LBB24_46
.LBB24_24:
	s_mov_b64 s[2:3], 0
                                        ; implicit-def: $vgpr5
	s_mov_b64 s[0:1], 0
	s_cbranch_execnz .LBB24_219
.LBB24_25:
	s_andn2_b64 vcc, exec, s[0:1]
	s_cbranch_vccnz .LBB24_266
.LBB24_26:
	s_waitcnt vmcnt(0)
	v_cvt_f32_f16_e32 v2, v5
	s_mov_b32 s0, 0x7f800000
	v_cmp_nlg_f32_e64 s[16:17], |v2|, s0
	s_and_saveexec_b64 s[0:1], s[16:17]
	s_cbranch_execz .LBB24_28
; %bb.27:
	v_mov_b32_e32 v1, 0
	v_mov_b32_e32 v3, 1.0
	global_store_dword v1, v3, s[12:13]
.LBB24_28:
	s_or_b64 exec, exec, s[0:1]
	v_mov_b32_e32 v1, 0
	global_load_dword v3, v1, s[14:15]
	v_mov_b32_e32 v1, s9
	v_mov_b32_e32 v6, 11
	v_add_co_u32_e32 v0, vcc, s8, v0
	v_addc_co_u32_e32 v1, vcc, 0, v1, vcc
	v_cmp_lt_i16_sdwa s[0:1], s79, v6 src0_sel:BYTE_0 src1_sel:DWORD
	s_and_b64 vcc, exec, s[0:1]
	s_waitcnt vmcnt(0)
	v_fma_mixlo_f16 v2, v3, v2, 0
	v_cmp_eq_f32_e64 s[0:1], 1.0, v3
	v_cndmask_b32_e64 v2, v2, v5, s[0:1]
	s_cbranch_vccnz .LBB24_36
; %bb.29:
	v_mov_b32_e32 v3, 25
	v_cmp_gt_i16_sdwa s[0:1], s79, v3 src0_sel:BYTE_0 src1_sel:DWORD
	s_and_b64 vcc, exec, s[0:1]
	s_cbranch_vccz .LBB24_39
; %bb.30:
	v_mov_b32_e32 v3, 28
	v_cmp_gt_i16_sdwa s[0:1], s79, v3 src0_sel:BYTE_0 src1_sel:DWORD
	s_and_b64 vcc, exec, s[0:1]
	s_cbranch_vccz .LBB24_41
	;; [unrolled: 5-line block ×4, first 2 shown]
; %bb.33:
	v_mov_b32_e32 v3, 46
	v_cmp_eq_u16_sdwa s[16:17], s79, v3 src0_sel:BYTE_0 src1_sel:DWORD
	s_mov_b64 s[18:19], 0
	s_mov_b64 s[0:1], -1
	s_and_b64 vcc, exec, s[16:17]
	s_mov_b64 s[16:17], 0
	s_cbranch_vccz .LBB24_50
; %bb.34:
	v_cvt_f32_f16_e32 v3, v2
	s_movk_i32 s0, 0x7fff
	v_mov_b32_e32 v5, 0x7fc0
	v_cmp_o_f16_e32 vcc, v2, v2
	v_bfe_u32 v6, v3, 16, 1
	v_add3_u32 v3, v3, v6, s0
	v_lshrrev_b32_e32 v3, 16, v3
	v_cndmask_b32_e32 v3, v5, v3, vcc
	global_store_dword v[0:1], v3, off
	s_mov_b64 s[16:17], -1
	s_mov_b64 s[0:1], 0
	s_branch .LBB24_50
.LBB24_35:
	s_mov_b64 s[2:3], 0
	s_mov_b64 s[0:1], 0
                                        ; implicit-def: $vgpr5
	s_cbranch_execnz .LBB24_184
	s_branch .LBB24_218
.LBB24_36:
	s_mov_b64 s[0:1], 0
	s_mov_b64 s[16:17], 0
	s_cbranch_execnz .LBB24_119
.LBB24_37:
	s_andn2_b64 vcc, exec, s[16:17]
	s_cbranch_vccnz .LBB24_267
	s_branch .LBB24_157
.LBB24_38:
	s_mov_b64 s[16:17], -1
	s_mov_b64 s[2:3], 0
	s_mov_b64 s[0:1], 0
                                        ; implicit-def: $vgpr5
	s_branch .LBB24_165
.LBB24_39:
	s_mov_b64 s[18:19], -1
	s_mov_b64 s[0:1], 0
	s_mov_b64 s[16:17], 0
	s_branch .LBB24_77
.LBB24_40:
	s_mov_b64 s[16:17], -1
	s_mov_b64 s[2:3], 0
	s_mov_b64 s[0:1], 0
                                        ; implicit-def: $vgpr5
	s_branch .LBB24_160
.LBB24_41:
	s_mov_b64 s[18:19], -1
	s_mov_b64 s[0:1], 0
	s_mov_b64 s[16:17], 0
	s_branch .LBB24_60
.LBB24_42:
	s_mov_b64 s[16:17], -1
	s_mov_b64 s[2:3], 0
	s_branch .LBB24_45
.LBB24_43:
	s_mov_b64 s[18:19], -1
	s_mov_b64 s[0:1], 0
	s_mov_b64 s[16:17], 0
	s_branch .LBB24_56
.LBB24_44:
	s_mov_b64 s[2:3], -1
.LBB24_45:
	s_mov_b64 s[0:1], 0
                                        ; implicit-def: $vgpr5
.LBB24_46:
	s_and_b64 vcc, exec, s[16:17]
	s_cbranch_vccz .LBB24_159
; %bb.47:
	v_cmp_eq_u16_e32 vcc, 44, v4
	s_cbranch_vccz .LBB24_158
; %bb.48:
	global_load_ubyte v1, v[2:3], off
	s_movk_i32 s2, 0xff
	v_mov_b32_e32 v6, 0x7e00
	s_mov_b64 s[0:1], -1
	s_waitcnt vmcnt(0)
	v_lshlrev_b32_e32 v5, 23, v1
	v_cvt_f16_f32_e32 v5, v5
	v_cmp_ne_u32_e32 vcc, s2, v1
	s_mov_b64 s[2:3], 0
	v_cndmask_b32_e32 v5, v6, v5, vcc
	v_cmp_ne_u32_e32 vcc, 0, v1
	v_cndmask_b32_e32 v5, 0, v5, vcc
	s_branch .LBB24_159
.LBB24_49:
	s_mov_b64 s[18:19], -1
	s_mov_b64 s[0:1], 0
	s_mov_b64 s[16:17], 0
.LBB24_50:
	s_and_b64 vcc, exec, s[18:19]
	s_cbranch_vccz .LBB24_55
; %bb.51:
	v_mov_b32_e32 v3, 44
	v_cmp_eq_u16_sdwa s[18:19], s79, v3 src0_sel:BYTE_0 src1_sel:DWORD
	s_mov_b64 s[0:1], -1
	s_and_b64 vcc, exec, s[18:19]
	s_cbranch_vccz .LBB24_55
; %bb.52:
	v_cvt_f32_f16_e32 v3, v2
	s_movk_i32 s0, 0xff
	v_mov_b32_e32 v6, 0xff
	v_bfe_u32 v5, v3, 23, 8
	v_cmp_ne_u32_e32 vcc, s0, v5
	s_and_saveexec_b64 s[16:17], vcc
; %bb.53:
	s_mov_b32 s0, 0x3fffff
	v_lshrrev_b32_e32 v6, 23, v3
	v_and_b32_e32 v7, 0x400000, v3
	v_and_or_b32 v3, v3, s0, v5
	v_cmp_ne_u32_e32 vcc, 0, v7
	v_cmp_ne_u32_e64 s[0:1], 0, v3
	s_and_b64 s[0:1], vcc, s[0:1]
	v_cndmask_b32_e64 v3, 0, 1, s[0:1]
	v_add_u32_e32 v6, v6, v3
; %bb.54:
	s_or_b64 exec, exec, s[16:17]
	s_mov_b64 s[16:17], -1
	s_mov_b64 s[0:1], 0
	global_store_byte v[0:1], v6, off
.LBB24_55:
	s_mov_b64 s[18:19], 0
.LBB24_56:
	s_and_b64 vcc, exec, s[18:19]
	s_cbranch_vccz .LBB24_59
; %bb.57:
	v_mov_b32_e32 v3, 29
	v_cmp_eq_u16_sdwa s[18:19], s79, v3 src0_sel:BYTE_0 src1_sel:DWORD
	s_mov_b64 s[0:1], -1
	s_and_b64 vcc, exec, s[18:19]
	s_cbranch_vccz .LBB24_59
; %bb.58:
	v_cvt_f32_f16_e32 v3, v2
	v_mov_b32_e32 v7, 0
	s_mov_b64 s[16:17], -1
	s_mov_b64 s[0:1], 0
	v_cvt_u32_f32_e32 v6, v3
	s_mov_b64 s[18:19], 0
	global_store_dwordx2 v[0:1], v[6:7], off
	s_branch .LBB24_60
.LBB24_59:
	s_mov_b64 s[18:19], 0
.LBB24_60:
	s_and_b64 vcc, exec, s[18:19]
	s_cbranch_vccz .LBB24_76
; %bb.61:
	v_mov_b32_e32 v3, 27
	v_cmp_lt_i16_sdwa s[18:19], s79, v3 src0_sel:BYTE_0 src1_sel:DWORD
	s_mov_b64 s[16:17], -1
	s_and_b64 vcc, exec, s[18:19]
	s_cbranch_vccnz .LBB24_67
; %bb.62:
	v_cmp_gt_i16_sdwa s[18:19], s79, v3 src0_sel:BYTE_0 src1_sel:DWORD
	s_and_b64 vcc, exec, s[18:19]
	s_cbranch_vccz .LBB24_64
; %bb.63:
	v_cvt_f32_f16_e32 v3, v2
	s_mov_b64 s[16:17], 0
	v_cvt_u32_f32_e32 v3, v3
	global_store_dword v[0:1], v3, off
.LBB24_64:
	s_andn2_b64 vcc, exec, s[16:17]
	s_cbranch_vccnz .LBB24_66
; %bb.65:
	v_cvt_u16_f16_e32 v3, v2
	global_store_short v[0:1], v3, off
.LBB24_66:
	s_mov_b64 s[16:17], 0
.LBB24_67:
	s_andn2_b64 vcc, exec, s[16:17]
	s_cbranch_vccnz .LBB24_75
; %bb.68:
	v_cvt_f32_f16_e32 v3, v2
	s_mov_b32 s16, 0x43800000
	v_mov_b32_e32 v6, 0x80
	v_and_b32_e32 v5, 0x7fffffff, v3
	v_cmp_gt_u32_e32 vcc, s16, v5
	s_and_saveexec_b64 s[16:17], vcc
	s_cbranch_execz .LBB24_74
; %bb.69:
	s_mov_b32 s18, 0x3bffffff
	v_cmp_lt_u32_e32 vcc, s18, v5
	s_mov_b64 s[18:19], 0
                                        ; implicit-def: $vgpr5
	s_and_saveexec_b64 s[20:21], vcc
	s_xor_b64 s[20:21], exec, s[20:21]
	s_cbranch_execz .LBB24_313
; %bb.70:
	v_bfe_u32 v5, v3, 20, 1
	s_mov_b32 s22, 0x487ffff
	v_add3_u32 v5, v3, v5, s22
	s_mov_b64 s[18:19], exec
	v_lshrrev_b32_e32 v5, 20, v5
	s_or_saveexec_b64 s[20:21], s[20:21]
                                        ; implicit-def: $sgpr22
	s_xor_b64 exec, exec, s[20:21]
	s_cbranch_execnz .LBB24_314
.LBB24_71:
	s_or_b64 exec, exec, s[20:21]
	v_mov_b32_e32 v6, s22
	s_and_saveexec_b64 s[20:21], s[18:19]
.LBB24_72:
	v_lshrrev_b32_e32 v3, 24, v3
	s_movk_i32 s18, 0x80
	v_and_or_b32 v6, v3, s18, v5
.LBB24_73:
	s_or_b64 exec, exec, s[20:21]
.LBB24_74:
	s_or_b64 exec, exec, s[16:17]
	global_store_byte v[0:1], v6, off
.LBB24_75:
	s_mov_b64 s[16:17], -1
.LBB24_76:
	s_mov_b64 s[18:19], 0
.LBB24_77:
	s_and_b64 vcc, exec, s[18:19]
	s_cbranch_vccz .LBB24_118
; %bb.78:
	v_mov_b32_e32 v3, 22
	v_cmp_gt_i16_sdwa s[20:21], s79, v3 src0_sel:BYTE_0 src1_sel:DWORD
	s_mov_b64 s[18:19], -1
	s_and_b64 vcc, exec, s[20:21]
	s_cbranch_vccz .LBB24_110
; %bb.79:
	v_mov_b32_e32 v3, 24
	v_cmp_lt_i16_sdwa s[18:19], s79, v3 src0_sel:BYTE_0 src1_sel:DWORD
	s_mov_b64 s[16:17], -1
	s_and_b64 vcc, exec, s[18:19]
	s_cbranch_vccnz .LBB24_99
; %bb.80:
	v_cmp_gt_i16_sdwa s[18:19], s79, v3 src0_sel:BYTE_0 src1_sel:DWORD
	s_and_b64 vcc, exec, s[18:19]
	s_cbranch_vccz .LBB24_88
; %bb.81:
	v_cvt_f32_f16_e32 v3, v2
	s_mov_b32 s16, 0x47800000
	v_mov_b32_e32 v6, 0x80
	v_and_b32_e32 v5, 0x7fffffff, v3
	v_cmp_gt_u32_e32 vcc, s16, v5
	s_and_saveexec_b64 s[16:17], vcc
	s_cbranch_execz .LBB24_87
; %bb.82:
	s_mov_b32 s18, 0x37ffffff
	v_cmp_lt_u32_e32 vcc, s18, v5
	s_mov_b64 s[18:19], 0
                                        ; implicit-def: $vgpr5
	s_and_saveexec_b64 s[20:21], vcc
	s_xor_b64 s[20:21], exec, s[20:21]
	s_cbranch_execz .LBB24_317
; %bb.83:
	v_bfe_u32 v5, v3, 21, 1
	s_mov_b32 s22, 0x88fffff
	v_add3_u32 v5, v3, v5, s22
	s_mov_b64 s[18:19], exec
	v_lshrrev_b32_e32 v5, 21, v5
	s_or_saveexec_b64 s[20:21], s[20:21]
                                        ; implicit-def: $sgpr22
	s_xor_b64 exec, exec, s[20:21]
	s_cbranch_execnz .LBB24_318
.LBB24_84:
	s_or_b64 exec, exec, s[20:21]
	v_mov_b32_e32 v6, s22
	s_and_saveexec_b64 s[20:21], s[18:19]
.LBB24_85:
	v_lshrrev_b32_e32 v3, 24, v3
	s_movk_i32 s18, 0x80
	v_and_or_b32 v6, v3, s18, v5
.LBB24_86:
	s_or_b64 exec, exec, s[20:21]
.LBB24_87:
	s_or_b64 exec, exec, s[16:17]
	s_mov_b64 s[16:17], 0
	global_store_byte v[0:1], v6, off
.LBB24_88:
	s_and_b64 vcc, exec, s[16:17]
	s_cbranch_vccz .LBB24_98
; %bb.89:
	v_cvt_f32_f16_e32 v3, v2
	s_mov_b32 s16, 0x43f00000
                                        ; implicit-def: $vgpr5
	v_and_b32_e32 v6, 0x7fffffff, v3
	v_cmp_gt_u32_e32 vcc, s16, v6
	s_and_saveexec_b64 s[16:17], vcc
	s_xor_b64 s[16:17], exec, s[16:17]
	s_cbranch_execz .LBB24_95
; %bb.90:
	s_mov_b32 s18, 0x3c7fffff
	v_cmp_lt_u32_e32 vcc, s18, v6
                                        ; implicit-def: $vgpr5
	s_and_saveexec_b64 s[18:19], vcc
	s_xor_b64 s[18:19], exec, s[18:19]
; %bb.91:
	v_bfe_u32 v5, v3, 20, 1
	s_mov_b32 s20, 0x407ffff
	v_add3_u32 v5, v3, v5, s20
	v_lshrrev_b32_e32 v6, 20, v5
	v_and_b32_e32 v5, 0xff00000, v5
	s_mov_b32 s20, 0x7f00000
	v_mov_b32_e32 v7, 0x7e
	v_cmp_ne_u32_e32 vcc, s20, v5
	v_cndmask_b32_e32 v5, v7, v6, vcc
; %bb.92:
	s_andn2_saveexec_b64 s[18:19], s[18:19]
; %bb.93:
	s_mov_b32 s20, 0x46800000
	v_add_f32_e64 v5, |v3|, s20
; %bb.94:
	s_or_b64 exec, exec, s[18:19]
                                        ; implicit-def: $vgpr6
.LBB24_95:
	s_andn2_saveexec_b64 s[16:17], s[16:17]
; %bb.96:
	s_mov_b32 s18, 0x7f800000
	v_mov_b32_e32 v5, 0x7e
	v_mov_b32_e32 v7, 0x7f
	v_cmp_lt_u32_e32 vcc, s18, v6
	v_cndmask_b32_e32 v5, v5, v7, vcc
; %bb.97:
	s_or_b64 exec, exec, s[16:17]
	v_lshrrev_b32_e32 v3, 24, v3
	s_movk_i32 s16, 0x80
	v_and_or_b32 v3, v3, s16, v5
	global_store_byte v[0:1], v3, off
.LBB24_98:
	s_mov_b64 s[16:17], 0
.LBB24_99:
	s_andn2_b64 vcc, exec, s[16:17]
	s_cbranch_vccnz .LBB24_109
; %bb.100:
	v_cvt_f32_f16_e32 v3, v2
	s_mov_b32 s16, 0x47800000
                                        ; implicit-def: $vgpr5
	v_and_b32_e32 v6, 0x7fffffff, v3
	v_cmp_gt_u32_e32 vcc, s16, v6
	s_and_saveexec_b64 s[16:17], vcc
	s_xor_b64 s[16:17], exec, s[16:17]
	s_cbranch_execz .LBB24_106
; %bb.101:
	s_mov_b32 s18, 0x387fffff
	v_cmp_lt_u32_e32 vcc, s18, v6
                                        ; implicit-def: $vgpr5
	s_and_saveexec_b64 s[18:19], vcc
	s_xor_b64 s[18:19], exec, s[18:19]
; %bb.102:
	v_bfe_u32 v5, v3, 21, 1
	s_mov_b32 s20, 0x80fffff
	v_add3_u32 v5, v3, v5, s20
	v_lshrrev_b32_e32 v5, 21, v5
; %bb.103:
	s_andn2_saveexec_b64 s[18:19], s[18:19]
; %bb.104:
	s_mov_b32 s20, 0x43000000
	v_add_f32_e64 v5, |v3|, s20
; %bb.105:
	s_or_b64 exec, exec, s[18:19]
                                        ; implicit-def: $vgpr6
.LBB24_106:
	s_andn2_saveexec_b64 s[16:17], s[16:17]
; %bb.107:
	s_mov_b32 s18, 0x7f800000
	v_mov_b32_e32 v5, 0x7c
	v_mov_b32_e32 v7, 0x7f
	v_cmp_lt_u32_e32 vcc, s18, v6
	v_cndmask_b32_e32 v5, v5, v7, vcc
; %bb.108:
	s_or_b64 exec, exec, s[16:17]
	v_lshrrev_b32_e32 v3, 24, v3
	s_movk_i32 s16, 0x80
	v_and_or_b32 v3, v3, s16, v5
	global_store_byte v[0:1], v3, off
.LBB24_109:
	s_mov_b64 s[18:19], 0
	s_mov_b64 s[16:17], -1
.LBB24_110:
	s_andn2_b64 vcc, exec, s[18:19]
	s_cbranch_vccnz .LBB24_118
; %bb.111:
	v_mov_b32_e32 v3, 14
	v_cmp_gt_i16_sdwa s[20:21], s79, v3 src0_sel:BYTE_0 src1_sel:DWORD
	s_mov_b64 s[18:19], -1
	s_and_b64 vcc, exec, s[20:21]
	s_cbranch_vccz .LBB24_115
; %bb.112:
	v_mov_b32_e32 v3, 15
	v_cmp_eq_u16_sdwa s[18:19], s79, v3 src0_sel:BYTE_0 src1_sel:DWORD
	s_mov_b64 s[0:1], -1
	s_and_b64 vcc, exec, s[18:19]
	s_cbranch_vccz .LBB24_114
; %bb.113:
	v_cvt_f32_f16_e32 v3, v2
	s_movk_i32 s0, 0x7fff
	v_mov_b32_e32 v5, 0x7fc0
	v_cmp_o_f16_e32 vcc, v2, v2
	v_bfe_u32 v6, v3, 16, 1
	v_add3_u32 v3, v3, v6, s0
	v_lshrrev_b32_e32 v3, 16, v3
	v_cndmask_b32_e32 v3, v5, v3, vcc
	global_store_short v[0:1], v3, off
	s_mov_b64 s[16:17], -1
	s_mov_b64 s[0:1], 0
.LBB24_114:
	s_mov_b64 s[18:19], 0
.LBB24_115:
	s_and_b64 vcc, exec, s[18:19]
	s_cbranch_vccz .LBB24_118
; %bb.116:
	v_mov_b32_e32 v3, 11
	v_cmp_eq_u16_sdwa s[18:19], s79, v3 src0_sel:BYTE_0 src1_sel:DWORD
	s_mov_b64 s[0:1], -1
	s_and_b64 vcc, exec, s[18:19]
	s_cbranch_vccz .LBB24_118
; %bb.117:
	v_cmp_neq_f16_e32 vcc, 0, v2
	v_cndmask_b32_e64 v3, 0, 1, vcc
	s_mov_b64 s[16:17], -1
	s_mov_b64 s[0:1], 0
	global_store_byte v[0:1], v3, off
.LBB24_118:
	s_branch .LBB24_37
.LBB24_119:
	v_mov_b32_e32 v3, 5
	v_cmp_lt_i16_sdwa s[18:19], s79, v3 src0_sel:BYTE_0 src1_sel:DWORD
	s_mov_b64 s[16:17], -1
	s_and_b64 vcc, exec, s[18:19]
	s_cbranch_vccnz .LBB24_140
; %bb.120:
	v_mov_b32_e32 v3, 8
	v_cmp_lt_i16_sdwa s[18:19], s79, v3 src0_sel:BYTE_0 src1_sel:DWORD
	s_and_b64 vcc, exec, s[18:19]
	s_cbranch_vccnz .LBB24_130
; %bb.121:
	v_mov_b32_e32 v3, 9
	v_cmp_lt_i16_sdwa s[18:19], s79, v3 src0_sel:BYTE_0 src1_sel:DWORD
	s_and_b64 vcc, exec, s[18:19]
	s_cbranch_vccnz .LBB24_127
; %bb.122:
	v_cmp_gt_i16_sdwa s[18:19], s79, v3 src0_sel:BYTE_0 src1_sel:DWORD
	s_and_b64 vcc, exec, s[18:19]
	s_cbranch_vccz .LBB24_124
; %bb.123:
	v_cvt_f32_f16_e32 v3, v2
	v_mov_b32_e32 v12, 0
	v_mov_b32_e32 v13, v12
	s_mov_b64 s[16:17], 0
	v_cvt_f64_f32_e32 v[10:11], v3
	global_store_dwordx4 v[0:1], v[10:13], off
.LBB24_124:
	s_andn2_b64 vcc, exec, s[16:17]
	s_cbranch_vccnz .LBB24_126
; %bb.125:
	v_cvt_f32_f16_e32 v6, v2
	v_mov_b32_e32 v7, 0
	global_store_dwordx2 v[0:1], v[6:7], off
.LBB24_126:
	s_mov_b64 s[16:17], 0
.LBB24_127:
	s_andn2_b64 vcc, exec, s[16:17]
	s_cbranch_vccnz .LBB24_129
; %bb.128:
	v_and_b32_e32 v3, 0xffff, v2
	global_store_dword v[0:1], v3, off
.LBB24_129:
	s_mov_b64 s[16:17], 0
.LBB24_130:
	s_andn2_b64 vcc, exec, s[16:17]
	s_cbranch_vccnz .LBB24_139
; %bb.131:
	v_mov_b32_e32 v3, 6
	v_cmp_lt_i16_sdwa s[18:19], s79, v3 src0_sel:BYTE_0 src1_sel:DWORD
	s_mov_b64 s[16:17], -1
	s_and_b64 vcc, exec, s[18:19]
	s_cbranch_vccnz .LBB24_137
; %bb.132:
	v_cmp_gt_i16_sdwa s[18:19], s79, v3 src0_sel:BYTE_0 src1_sel:DWORD
	s_and_b64 vcc, exec, s[18:19]
	s_cbranch_vccz .LBB24_134
; %bb.133:
	v_cvt_f32_f16_e32 v3, v2
	s_mov_b64 s[16:17], 0
	v_cvt_f64_f32_e32 v[6:7], v3
	global_store_dwordx2 v[0:1], v[6:7], off
.LBB24_134:
	s_andn2_b64 vcc, exec, s[16:17]
	s_cbranch_vccnz .LBB24_136
; %bb.135:
	v_cvt_f32_f16_e32 v3, v2
	global_store_dword v[0:1], v3, off
.LBB24_136:
	s_mov_b64 s[16:17], 0
.LBB24_137:
	s_andn2_b64 vcc, exec, s[16:17]
	s_cbranch_vccnz .LBB24_139
; %bb.138:
	global_store_short v[0:1], v2, off
.LBB24_139:
	s_mov_b64 s[16:17], 0
.LBB24_140:
	s_andn2_b64 vcc, exec, s[16:17]
	s_cbranch_vccnz .LBB24_156
; %bb.141:
	v_mov_b32_e32 v3, 2
	v_cmp_lt_i16_sdwa s[18:19], s79, v3 src0_sel:BYTE_0 src1_sel:DWORD
	s_mov_b64 s[16:17], -1
	s_and_b64 vcc, exec, s[18:19]
	s_cbranch_vccnz .LBB24_151
; %bb.142:
	v_mov_b32_e32 v3, 3
	v_cmp_lt_i16_sdwa s[18:19], s79, v3 src0_sel:BYTE_0 src1_sel:DWORD
	s_and_b64 vcc, exec, s[18:19]
	s_cbranch_vccnz .LBB24_148
; %bb.143:
	v_cmp_gt_i16_sdwa s[18:19], s79, v3 src0_sel:BYTE_0 src1_sel:DWORD
	s_and_b64 vcc, exec, s[18:19]
	s_cbranch_vccz .LBB24_145
; %bb.144:
	v_cvt_f32_f16_e32 v3, v2
	s_mov_b64 s[16:17], 0
	v_cvt_i32_f32_e32 v6, v3
	v_ashrrev_i32_e32 v7, 31, v6
	global_store_dwordx2 v[0:1], v[6:7], off
.LBB24_145:
	s_andn2_b64 vcc, exec, s[16:17]
	s_cbranch_vccnz .LBB24_147
; %bb.146:
	v_cvt_f32_f16_e32 v3, v2
	v_cvt_i32_f32_e32 v3, v3
	global_store_dword v[0:1], v3, off
.LBB24_147:
	s_mov_b64 s[16:17], 0
.LBB24_148:
	s_andn2_b64 vcc, exec, s[16:17]
	s_cbranch_vccnz .LBB24_150
; %bb.149:
	v_cvt_i16_f16_e32 v3, v2
	global_store_short v[0:1], v3, off
.LBB24_150:
	s_mov_b64 s[16:17], 0
.LBB24_151:
	s_andn2_b64 vcc, exec, s[16:17]
	s_cbranch_vccnz .LBB24_156
; %bb.152:
	v_mov_b32_e32 v3, 0
	v_cmp_gt_i16_sdwa s[18:19], s79, v3 src0_sel:BYTE_0 src1_sel:DWORD
	s_mov_b64 s[16:17], -1
	s_and_b64 vcc, exec, s[18:19]
	s_cbranch_vccz .LBB24_154
; %bb.153:
	v_cvt_i16_f16_e32 v3, v2
	global_store_byte v[0:1], v3, off
	s_mov_b64 s[16:17], 0
.LBB24_154:
	s_andn2_b64 vcc, exec, s[16:17]
	s_cbranch_vccnz .LBB24_156
; %bb.155:
	v_cvt_f32_f16_e32 v2, v2
	v_cvt_i32_f32_e32 v2, v2
	global_store_byte v[0:1], v2, off
.LBB24_156:
.LBB24_157:
	v_add_u32_e32 v8, 0x80, v8
	s_mov_b64 s[16:17], -1
	s_branch .LBB24_268
.LBB24_158:
	s_mov_b64 s[2:3], -1
                                        ; implicit-def: $vgpr5
.LBB24_159:
	s_mov_b64 s[16:17], 0
.LBB24_160:
	s_and_b64 vcc, exec, s[16:17]
	s_cbranch_vccz .LBB24_164
; %bb.161:
	v_cmp_eq_u16_e32 vcc, 29, v4
	s_cbranch_vccz .LBB24_163
; %bb.162:
	global_load_dwordx2 v[6:7], v[2:3], off
	s_mov_b64 s[0:1], -1
	s_mov_b64 s[2:3], 0
	s_mov_b64 s[16:17], 0
	s_waitcnt vmcnt(0)
	v_ffbh_u32_e32 v1, v7
	v_min_u32_e32 v1, 32, v1
	v_lshlrev_b64 v[6:7], v1, v[6:7]
	v_min_u32_e32 v5, 1, v6
	v_or_b32_e32 v5, v7, v5
	v_cvt_f32_u32_e32 v5, v5
	v_sub_u32_e32 v1, 32, v1
	v_ldexp_f32 v1, v5, v1
	v_cvt_f16_f32_e32 v5, v1
	s_branch .LBB24_165
.LBB24_163:
	s_mov_b64 s[2:3], -1
                                        ; implicit-def: $vgpr5
.LBB24_164:
	s_mov_b64 s[16:17], 0
.LBB24_165:
	s_and_b64 vcc, exec, s[16:17]
	s_cbranch_vccz .LBB24_183
; %bb.166:
	v_cmp_gt_i16_e32 vcc, 27, v4
	s_cbranch_vccnz .LBB24_169
; %bb.167:
	v_cmp_lt_i16_e32 vcc, 27, v4
	s_cbranch_vccz .LBB24_170
; %bb.168:
	global_load_dword v1, v[2:3], off
	s_mov_b64 s[0:1], 0
	s_waitcnt vmcnt(0)
	v_cvt_f32_u32_e32 v1, v1
	v_cvt_f16_f32_e32 v5, v1
	s_branch .LBB24_171
.LBB24_169:
	s_mov_b64 s[0:1], -1
                                        ; implicit-def: $vgpr5
	s_branch .LBB24_174
.LBB24_170:
	s_mov_b64 s[0:1], -1
                                        ; implicit-def: $vgpr5
.LBB24_171:
	s_andn2_b64 vcc, exec, s[0:1]
	s_cbranch_vccnz .LBB24_173
; %bb.172:
	global_load_ushort v1, v[2:3], off
	s_waitcnt vmcnt(0)
	v_cvt_f16_u16_e32 v5, v1
.LBB24_173:
	s_mov_b64 s[0:1], 0
.LBB24_174:
	s_andn2_b64 vcc, exec, s[0:1]
	s_cbranch_vccnz .LBB24_182
; %bb.175:
	global_load_ubyte v1, v[2:3], off
	s_movk_i32 s0, 0x7f
                                        ; implicit-def: $sgpr20
	s_waitcnt vmcnt(0)
	v_cmp_lt_i16_e32 vcc, s0, v1
	s_mov_b64 s[0:1], 0
	s_and_saveexec_b64 s[16:17], vcc
	s_xor_b64 s[16:17], exec, s[16:17]
	s_cbranch_execz .LBB24_195
; %bb.176:
	s_movk_i32 s0, 0x80
	v_cmp_eq_u16_e32 vcc, s0, v1
	s_mov_b64 s[0:1], -1
                                        ; implicit-def: $sgpr20
	s_and_saveexec_b64 s[18:19], vcc
; %bb.177:
	s_movk_i32 s20, 0x7e00
	s_xor_b64 s[0:1], exec, -1
; %bb.178:
	s_or_b64 exec, exec, s[18:19]
	s_and_b64 s[0:1], s[0:1], exec
	s_or_saveexec_b64 s[16:17], s[16:17]
	v_mov_b32_e32 v5, s20
	s_xor_b64 exec, exec, s[16:17]
	s_cbranch_execnz .LBB24_196
.LBB24_179:
	s_or_b64 exec, exec, s[16:17]
	s_and_saveexec_b64 s[16:17], s[0:1]
	s_cbranch_execz .LBB24_181
.LBB24_180:
	v_lshlrev_b32_e32 v5, 24, v1
	v_and_b32_e32 v1, 0xffff, v1
	v_and_b32_e32 v6, 7, v1
	v_ffbh_u32_e32 v9, v6
	v_min_u32_e32 v9, 32, v9
	v_subrev_u32_e32 v10, 28, v9
	v_bfe_u32 v7, v1, 3, 4
	v_lshlrev_b32_e32 v1, v10, v1
	v_sub_u32_e32 v9, 29, v9
	v_and_b32_e32 v1, 7, v1
	v_cmp_eq_u32_e32 vcc, 0, v7
	v_cndmask_b32_e32 v7, v7, v9, vcc
	v_cndmask_b32_e32 v1, v6, v1, vcc
	v_mov_b32_e32 v6, 0x3b800000
	v_lshlrev_b32_e32 v1, 20, v1
	v_and_b32_e32 v5, 0x80000000, v5
	v_lshl_add_u32 v6, v7, 23, v6
	v_or3_b32 v1, v5, v6, v1
	v_cvt_f16_f32_e32 v5, v1
.LBB24_181:
	s_or_b64 exec, exec, s[16:17]
.LBB24_182:
	s_mov_b64 s[0:1], -1
.LBB24_183:
	s_branch .LBB24_218
.LBB24_184:
	v_cmp_lt_i16_e32 vcc, 22, v4
	s_cbranch_vccz .LBB24_194
; %bb.185:
	v_cmp_gt_i16_e32 vcc, 24, v4
	s_cbranch_vccnz .LBB24_197
; %bb.186:
	v_cmp_lt_i16_e32 vcc, 24, v4
	s_cbranch_vccz .LBB24_198
; %bb.187:
	global_load_ubyte v1, v[2:3], off
	s_movk_i32 s0, 0x7f
                                        ; implicit-def: $sgpr20
	s_waitcnt vmcnt(0)
	v_cmp_lt_i16_e32 vcc, s0, v1
	s_mov_b64 s[0:1], 0
	s_and_saveexec_b64 s[16:17], vcc
	s_xor_b64 s[16:17], exec, s[16:17]
	s_cbranch_execz .LBB24_210
; %bb.188:
	s_movk_i32 s0, 0x80
	v_cmp_eq_u16_e32 vcc, s0, v1
	s_mov_b64 s[0:1], -1
                                        ; implicit-def: $sgpr20
	s_and_saveexec_b64 s[18:19], vcc
; %bb.189:
	s_movk_i32 s20, 0x7e00
	s_xor_b64 s[0:1], exec, -1
; %bb.190:
	s_or_b64 exec, exec, s[18:19]
	s_and_b64 s[0:1], s[0:1], exec
	s_or_saveexec_b64 s[16:17], s[16:17]
	v_mov_b32_e32 v5, s20
	s_xor_b64 exec, exec, s[16:17]
	s_cbranch_execnz .LBB24_211
.LBB24_191:
	s_or_b64 exec, exec, s[16:17]
	s_and_saveexec_b64 s[16:17], s[0:1]
	s_cbranch_execz .LBB24_193
.LBB24_192:
	v_lshlrev_b32_e32 v5, 24, v1
	v_and_b32_e32 v1, 0xffff, v1
	v_and_b32_e32 v6, 3, v1
	v_ffbh_u32_e32 v9, v6
	v_min_u32_e32 v9, 32, v9
	v_subrev_u32_e32 v10, 29, v9
	v_bfe_u32 v7, v1, 2, 5
	v_lshlrev_b32_e32 v1, v10, v1
	v_sub_u32_e32 v9, 30, v9
	v_and_b32_e32 v1, 3, v1
	v_cmp_eq_u32_e32 vcc, 0, v7
	v_cndmask_b32_e32 v7, v7, v9, vcc
	v_cndmask_b32_e32 v1, v6, v1, vcc
	v_mov_b32_e32 v6, 0x37800000
	v_lshlrev_b32_e32 v1, 21, v1
	v_and_b32_e32 v5, 0x80000000, v5
	v_lshl_add_u32 v6, v7, 23, v6
	v_or3_b32 v1, v5, v6, v1
	v_cvt_f16_f32_e32 v5, v1
.LBB24_193:
	s_or_b64 exec, exec, s[16:17]
	s_mov_b64 s[0:1], 0
	s_branch .LBB24_199
.LBB24_194:
	s_mov_b64 s[16:17], -1
                                        ; implicit-def: $vgpr5
	s_branch .LBB24_205
.LBB24_195:
	s_or_saveexec_b64 s[16:17], s[16:17]
	v_mov_b32_e32 v5, s20
	s_xor_b64 exec, exec, s[16:17]
	s_cbranch_execz .LBB24_179
.LBB24_196:
	v_cmp_ne_u16_e32 vcc, 0, v1
	s_andn2_b64 s[0:1], s[0:1], exec
	s_and_b64 s[18:19], vcc, exec
	s_or_b64 s[0:1], s[0:1], s[18:19]
	v_mov_b32_e32 v5, v1
	s_or_b64 exec, exec, s[16:17]
	s_and_saveexec_b64 s[16:17], s[0:1]
	s_cbranch_execnz .LBB24_180
	s_branch .LBB24_181
.LBB24_197:
	s_mov_b64 s[0:1], -1
                                        ; implicit-def: $vgpr5
	s_branch .LBB24_202
.LBB24_198:
	s_mov_b64 s[0:1], -1
                                        ; implicit-def: $vgpr5
.LBB24_199:
	s_and_b64 vcc, exec, s[0:1]
	s_cbranch_vccz .LBB24_201
; %bb.200:
	global_load_ubyte v1, v[2:3], off
	s_mov_b32 s0, 0x7f800000
	s_waitcnt vmcnt(0)
	v_lshlrev_b32_e32 v1, 24, v1
	v_and_b32_e32 v5, 0x7f000000, v1
	v_ffbh_u32_e32 v6, v5
	v_min_u32_e32 v6, 32, v6
	v_sub_u32_e64 v6, v6, 4 clamp
	v_lshlrev_b32_e32 v9, v6, v5
	v_lshlrev_b32_e32 v6, 23, v6
	v_lshrrev_b32_e32 v9, 4, v9
	v_add_u32_e32 v7, 0x1000000, v5
	v_sub_u32_e32 v6, v9, v6
	v_ashrrev_i32_e32 v7, 8, v7
	v_add_u32_e32 v6, 0x3c000000, v6
	v_and_or_b32 v6, v7, s0, v6
	v_cmp_ne_u32_e32 vcc, 0, v5
	v_cndmask_b32_e32 v5, 0, v6, vcc
	s_brev_b32 s0, 1
	v_and_or_b32 v1, v1, s0, v5
	v_cvt_f16_f32_e32 v5, v1
.LBB24_201:
	s_mov_b64 s[0:1], 0
.LBB24_202:
	s_andn2_b64 vcc, exec, s[0:1]
	s_cbranch_vccnz .LBB24_204
; %bb.203:
	global_load_ubyte v1, v[2:3], off
	s_movk_i32 s0, 0x7f00
	s_brev_b32 s1, 16
	s_waitcnt vmcnt(0)
	v_lshlrev_b16_e32 v5, 8, v1
	v_lshlrev_b32_e32 v1, 25, v1
	v_lshrrev_b32_e32 v6, 4, v1
	v_and_or_b32 v7, v5, s0, 0.5
	v_or_b32_e32 v6, 0x70000000, v6
	v_add_f32_e32 v7, -0.5, v7
	v_mul_f32_e32 v6, 0x7800000, v6
	v_cmp_gt_u32_e32 vcc, s1, v1
	v_bfe_i32 v5, v5, 0, 16
	v_cndmask_b32_e32 v1, v6, v7, vcc
	s_brev_b32 s0, 1
	v_and_or_b32 v1, v5, s0, v1
	v_cvt_f16_f32_e32 v5, v1
.LBB24_204:
	s_mov_b64 s[16:17], 0
	s_mov_b64 s[0:1], -1
.LBB24_205:
	s_andn2_b64 vcc, exec, s[16:17]
	s_cbranch_vccnz .LBB24_218
; %bb.206:
	v_cmp_lt_i16_e32 vcc, 14, v4
	s_cbranch_vccz .LBB24_209
; %bb.207:
	v_cmp_eq_u16_e32 vcc, 15, v4
	s_cbranch_vccz .LBB24_212
; %bb.208:
	global_load_ushort v1, v[2:3], off
	s_mov_b64 s[0:1], -1
	s_mov_b64 s[2:3], 0
	s_waitcnt vmcnt(0)
	v_lshlrev_b32_e32 v1, 16, v1
	v_cvt_f16_f32_e32 v5, v1
	s_branch .LBB24_213
.LBB24_209:
	s_mov_b64 s[16:17], -1
                                        ; implicit-def: $vgpr5
	s_branch .LBB24_214
.LBB24_210:
	s_or_saveexec_b64 s[16:17], s[16:17]
	v_mov_b32_e32 v5, s20
	s_xor_b64 exec, exec, s[16:17]
	s_cbranch_execz .LBB24_191
.LBB24_211:
	v_cmp_ne_u16_e32 vcc, 0, v1
	s_andn2_b64 s[0:1], s[0:1], exec
	s_and_b64 s[18:19], vcc, exec
	s_or_b64 s[0:1], s[0:1], s[18:19]
	v_mov_b32_e32 v5, v1
	s_or_b64 exec, exec, s[16:17]
	s_and_saveexec_b64 s[16:17], s[0:1]
	s_cbranch_execnz .LBB24_192
	s_branch .LBB24_193
.LBB24_212:
	s_mov_b64 s[2:3], -1
                                        ; implicit-def: $vgpr5
.LBB24_213:
	s_mov_b64 s[16:17], 0
.LBB24_214:
	s_and_b64 vcc, exec, s[16:17]
	s_cbranch_vccz .LBB24_218
; %bb.215:
	v_cmp_eq_u16_e32 vcc, 11, v4
	s_cbranch_vccz .LBB24_217
; %bb.216:
	global_load_ubyte v1, v[2:3], off
	v_mov_b32_e32 v5, 0x3c00
	s_mov_b64 s[0:1], -1
	s_mov_b64 s[2:3], 0
	s_waitcnt vmcnt(0)
	v_cmp_ne_u16_e32 vcc, 0, v1
	v_cndmask_b32_e32 v5, 0, v5, vcc
	s_branch .LBB24_218
.LBB24_217:
	s_mov_b64 s[2:3], -1
                                        ; implicit-def: $vgpr5
.LBB24_218:
	s_branch .LBB24_25
.LBB24_219:
	v_cmp_gt_i16_e32 vcc, 5, v4
	s_cbranch_vccnz .LBB24_224
; %bb.220:
	v_cmp_gt_i16_e32 vcc, 8, v4
	s_cbranch_vccnz .LBB24_225
; %bb.221:
	;; [unrolled: 3-line block ×3, first 2 shown]
	v_cmp_lt_i16_e32 vcc, 9, v4
	s_cbranch_vccz .LBB24_227
; %bb.223:
	global_load_dwordx2 v[6:7], v[2:3], off
	s_mov_b64 s[0:1], 0
	s_waitcnt vmcnt(0)
	v_cvt_f32_f64_e32 v1, v[6:7]
	v_cvt_f16_f32_e32 v5, v1
	s_branch .LBB24_228
.LBB24_224:
                                        ; implicit-def: $vgpr5
	s_branch .LBB24_246
.LBB24_225:
	s_mov_b64 s[0:1], -1
                                        ; implicit-def: $vgpr5
	s_branch .LBB24_234
.LBB24_226:
	s_mov_b64 s[0:1], -1
                                        ; implicit-def: $vgpr5
	s_branch .LBB24_231
.LBB24_227:
	s_mov_b64 s[0:1], -1
                                        ; implicit-def: $vgpr5
.LBB24_228:
	s_andn2_b64 vcc, exec, s[0:1]
	s_cbranch_vccnz .LBB24_230
; %bb.229:
	global_load_dword v1, v[2:3], off
	s_waitcnt vmcnt(0)
	v_cvt_f16_f32_e32 v5, v1
.LBB24_230:
	s_mov_b64 s[0:1], 0
.LBB24_231:
	s_andn2_b64 vcc, exec, s[0:1]
	s_cbranch_vccnz .LBB24_233
; %bb.232:
	global_load_dword v5, v[2:3], off
.LBB24_233:
	s_mov_b64 s[0:1], 0
.LBB24_234:
	s_andn2_b64 vcc, exec, s[0:1]
	s_cbranch_vccnz .LBB24_245
; %bb.235:
	v_cmp_gt_i16_e32 vcc, 6, v4
	s_cbranch_vccnz .LBB24_238
; %bb.236:
	v_cmp_lt_i16_e32 vcc, 6, v4
	s_cbranch_vccz .LBB24_239
; %bb.237:
	global_load_dwordx2 v[6:7], v[2:3], off
	s_mov_b64 s[0:1], 0
	s_waitcnt vmcnt(0)
	v_cvt_f32_f64_e32 v1, v[6:7]
	v_cvt_f16_f32_e32 v5, v1
	s_branch .LBB24_240
.LBB24_238:
	s_mov_b64 s[0:1], -1
                                        ; implicit-def: $vgpr5
	s_branch .LBB24_243
.LBB24_239:
	s_mov_b64 s[0:1], -1
                                        ; implicit-def: $vgpr5
.LBB24_240:
	s_andn2_b64 vcc, exec, s[0:1]
	s_cbranch_vccnz .LBB24_242
; %bb.241:
	global_load_dword v1, v[2:3], off
	s_waitcnt vmcnt(0)
	v_cvt_f16_f32_e32 v5, v1
.LBB24_242:
	s_mov_b64 s[0:1], 0
.LBB24_243:
	s_andn2_b64 vcc, exec, s[0:1]
	s_cbranch_vccnz .LBB24_245
; %bb.244:
	global_load_ushort v5, v[2:3], off
.LBB24_245:
	s_cbranch_execnz .LBB24_265
.LBB24_246:
	v_cmp_gt_i16_e32 vcc, 2, v4
	s_cbranch_vccnz .LBB24_250
; %bb.247:
	v_cmp_gt_i16_e32 vcc, 3, v4
	s_cbranch_vccnz .LBB24_251
; %bb.248:
	v_cmp_lt_i16_e32 vcc, 3, v4
	s_cbranch_vccz .LBB24_252
; %bb.249:
	global_load_dwordx2 v[6:7], v[2:3], off
	s_mov_b64 s[0:1], 0
	s_waitcnt vmcnt(0)
	v_xor_b32_e32 v5, v6, v7
	v_ffbh_i32_e32 v1, v7
	v_ashrrev_i32_e32 v5, 31, v5
	v_add_u32_e32 v1, -1, v1
	v_add_u32_e32 v5, 32, v5
	v_min_u32_e32 v1, v1, v5
	v_lshlrev_b64 v[6:7], v1, v[6:7]
	v_min_u32_e32 v5, 1, v6
	v_or_b32_e32 v5, v7, v5
	v_cvt_f32_i32_e32 v5, v5
	v_sub_u32_e32 v1, 32, v1
	v_ldexp_f32 v1, v5, v1
	v_cvt_f16_f32_e32 v5, v1
	s_branch .LBB24_253
.LBB24_250:
	s_mov_b64 s[0:1], -1
                                        ; implicit-def: $vgpr5
	s_branch .LBB24_259
.LBB24_251:
	s_mov_b64 s[0:1], -1
                                        ; implicit-def: $vgpr5
	s_branch .LBB24_256
.LBB24_252:
	s_mov_b64 s[0:1], -1
                                        ; implicit-def: $vgpr5
.LBB24_253:
	s_andn2_b64 vcc, exec, s[0:1]
	s_cbranch_vccnz .LBB24_255
; %bb.254:
	global_load_dword v1, v[2:3], off
	s_waitcnt vmcnt(0)
	v_cvt_f32_i32_e32 v1, v1
	v_cvt_f16_f32_e32 v5, v1
.LBB24_255:
	s_mov_b64 s[0:1], 0
.LBB24_256:
	s_andn2_b64 vcc, exec, s[0:1]
	s_cbranch_vccnz .LBB24_258
; %bb.257:
	global_load_ushort v1, v[2:3], off
	s_waitcnt vmcnt(0)
	v_cvt_f16_i16_e32 v5, v1
.LBB24_258:
	s_mov_b64 s[0:1], 0
.LBB24_259:
	s_andn2_b64 vcc, exec, s[0:1]
	s_cbranch_vccnz .LBB24_265
; %bb.260:
	v_cmp_lt_i16_e32 vcc, 0, v4
	s_cbranch_vccz .LBB24_262
; %bb.261:
	global_load_sbyte v1, v[2:3], off
	s_mov_b64 s[0:1], 0
	s_waitcnt vmcnt(0)
	v_cvt_f16_i16_e32 v5, v1
	s_branch .LBB24_263
.LBB24_262:
	s_mov_b64 s[0:1], -1
                                        ; implicit-def: $vgpr5
.LBB24_263:
	s_andn2_b64 vcc, exec, s[0:1]
	s_cbranch_vccnz .LBB24_265
; %bb.264:
	global_load_ubyte v1, v[2:3], off
	s_waitcnt vmcnt(0)
	v_cvt_f16_u16_e32 v5, v1
.LBB24_265:
	s_branch .LBB24_26
.LBB24_266:
	s_mov_b64 s[0:1], 0
.LBB24_267:
	s_mov_b64 s[16:17], 0
                                        ; implicit-def: $vgpr8
.LBB24_268:
	s_and_b64 s[56:57], s[0:1], exec
	s_and_b64 s[58:59], s[2:3], exec
	s_orn2_b64 s[2:3], s[16:17], exec
.LBB24_269:
	s_or_b64 exec, exec, s[60:61]
	s_mov_b64 s[16:17], 0
	s_mov_b64 s[0:1], 0
                                        ; implicit-def: $vgpr2_vgpr3
                                        ; implicit-def: $vgpr0
                                        ; implicit-def: $vgpr5
	s_and_saveexec_b64 s[60:61], s[2:3]
	s_cbranch_execz .LBB24_277
; %bb.270:
	v_cmp_gt_i32_e32 vcc, s76, v8
	s_mov_b64 s[0:1], -1
	s_mov_b64 s[62:63], s[58:59]
	s_mov_b64 s[64:65], s[56:57]
	s_and_saveexec_b64 s[66:67], vcc
	s_cbranch_execz .LBB24_548
; %bb.271:
	s_andn2_b64 vcc, exec, s[44:45]
	s_cbranch_vccnz .LBB24_280
; %bb.272:
	s_mov_b32 s62, 0
	s_andn2_b64 vcc, exec, s[54:55]
	v_mov_b32_e32 v2, 0
	v_mov_b32_e32 v0, 0
	s_cbranch_vccnz .LBB24_286
; %bb.273:
	s_add_i32 s70, s77, 1
	s_cmp_eq_u32 s78, 2
	s_cbranch_scc1 .LBB24_281
; %bb.274:
	s_and_b32 s62, s70, 28
	s_mov_b32 s63, 0
	v_mov_b32_e32 v0, 0
	s_mov_b64 s[64:65], s[34:35]
	s_mov_b64 s[68:69], s[52:53]
	v_mov_b32_e32 v3, v8
	v_mov_b32_e32 v2, 0
.LBB24_275:                             ; =>This Inner Loop Header: Depth=1
	s_load_dwordx8 s[24:31], s[64:65], 0x4
	s_load_dwordx4 s[0:3], s[64:65], 0x24
	s_load_dwordx8 s[16:23], s[68:69], 0x0
	s_add_u32 s64, s64, 48
	s_addc_u32 s65, s65, 0
	s_waitcnt lgkmcnt(0)
	v_mul_hi_u32 v1, s25, v3
	v_add_u32_e32 v1, v3, v1
	v_lshrrev_b32_e32 v1, s26, v1
	s_waitcnt vmcnt(0)
	v_mul_lo_u32 v5, v1, s24
	v_mul_hi_u32 v6, s28, v1
	v_sub_u32_e32 v3, v3, v5
	v_add_u32_e32 v5, v1, v6
	v_lshrrev_b32_e32 v5, s29, v5
	v_mul_lo_u32 v7, v5, s27
	v_mul_hi_u32 v9, s31, v5
	v_sub_u32_e32 v1, v1, v7
	v_add_u32_e32 v7, v5, v9
	v_mul_lo_u32 v6, v3, s17
	v_mul_lo_u32 v3, v3, s16
	;; [unrolled: 1-line block ×4, first 2 shown]
	v_lshrrev_b32_e32 v7, s0, v7
	v_add3_u32 v0, v3, v0, v1
	v_mul_hi_u32 v3, s2, v7
	v_add_u32_e32 v3, v7, v3
	v_lshrrev_b32_e32 v3, s3, v3
	s_add_i32 s63, s63, 4
	v_add3_u32 v1, v6, v2, v9
	v_mul_lo_u32 v2, v7, s30
	v_mul_lo_u32 v6, v3, s1
	s_add_u32 s68, s68, 32
	v_sub_u32_e32 v2, v5, v2
	v_sub_u32_e32 v6, v7, v6
	s_addc_u32 s69, s69, 0
	v_mul_lo_u32 v5, v2, s20
	v_mul_lo_u32 v2, v2, s21
	;; [unrolled: 1-line block ×4, first 2 shown]
	s_cmp_eq_u32 s62, s63
	v_add3_u32 v2, v2, v1, v6
	v_add3_u32 v0, v5, v0, v7
	s_cbranch_scc0 .LBB24_275
; %bb.276:
	v_mov_b32_e32 v1, v2
	s_branch .LBB24_282
.LBB24_277:
	s_or_b64 exec, exec, s[60:61]
	s_mov_b64 s[2:3], 0
	s_and_saveexec_b64 s[10:11], s[58:59]
	s_cbranch_execnz .LBB24_928
.LBB24_278:
	s_or_b64 exec, exec, s[10:11]
	s_and_saveexec_b64 s[10:11], s[64:65]
	s_xor_b64 s[10:11], exec, s[10:11]
	s_cbranch_execz .LBB24_929
.LBB24_279:
	global_load_ubyte v1, v[2:3], off
	s_waitcnt vmcnt(1)
	v_mov_b32_e32 v5, 0x3c00
	s_or_b64 s[0:1], s[0:1], exec
	s_waitcnt vmcnt(0)
	v_cmp_ne_u16_e32 vcc, 0, v1
	v_cndmask_b32_e32 v5, 0, v5, vcc
	s_or_b64 exec, exec, s[10:11]
	s_and_saveexec_b64 s[10:11], s[16:17]
	s_cbranch_execz .LBB24_975
	s_branch .LBB24_930
.LBB24_280:
                                        ; implicit-def: $vgpr2
                                        ; implicit-def: $vgpr0
	s_andn2_b64 vcc, exec, s[0:1]
	s_cbranch_vccz .LBB24_287
	s_branch .LBB24_289
.LBB24_281:
	s_mov_b32 s63, s62
	v_pk_mov_b32 v[0:1], s[62:63], s[62:63] op_sel:[0,1]
                                        ; implicit-def: $vgpr2
	v_mov_b32_e32 v3, v8
.LBB24_282:
	s_and_b32 s16, s70, 3
	s_cmp_eq_u32 s16, 0
	s_cbranch_scc1 .LBB24_286
; %bb.283:
	s_lshl_b32 s0, s62, 3
	s_add_u32 s0, s0, s34
	s_addc_u32 s1, s35, 0
	s_add_u32 s0, s0, 0xc4
	s_addc_u32 s1, s1, 0
	s_mul_i32 s2, s62, 12
	s_add_u32 s2, s34, s2
	s_addc_u32 s3, s35, 0
.LBB24_284:                             ; =>This Inner Loop Header: Depth=1
	s_load_dwordx2 s[18:19], s[2:3], 0x4
	s_load_dword s17, s[2:3], 0xc
	s_load_dwordx2 s[20:21], s[0:1], 0x0
	v_mov_b32_e32 v2, v1
	s_add_u32 s2, s2, 12
	s_waitcnt lgkmcnt(0)
	v_mul_hi_u32 v1, s19, v3
	v_add_u32_e32 v1, v3, v1
	v_lshrrev_b32_e32 v1, s17, v1
	s_addc_u32 s3, s3, 0
	s_waitcnt vmcnt(0)
	v_mul_lo_u32 v5, v1, s18
	s_add_u32 s0, s0, 8
	v_sub_u32_e32 v5, v3, v5
	v_mov_b32_e32 v3, v1
	s_addc_u32 s1, s1, 0
	s_add_i32 s16, s16, -1
	v_mad_u64_u32 v[6:7], s[18:19], v5, s21, v[2:3]
	v_mad_u64_u32 v[0:1], s[18:19], v5, s20, v[0:1]
	s_cmp_lg_u32 s16, 0
	v_mov_b32_e32 v1, v6
	s_cbranch_scc1 .LBB24_284
; %bb.285:
	v_mov_b32_e32 v2, v1
.LBB24_286:
	s_cbranch_execnz .LBB24_289
.LBB24_287:
	v_mul_hi_u32 v0, s37, v8
	v_add_u32_e32 v0, v8, v0
	v_lshrrev_b32_e32 v1, s38, v0
	v_mul_lo_u32 v0, v1, s36
	v_sub_u32_e32 v0, v8, v0
	v_mul_lo_u32 v2, v0, s41
	s_andn2_b64 vcc, exec, s[50:51]
	v_mul_lo_u32 v0, v0, s40
	s_cbranch_vccnz .LBB24_289
; %bb.288:
	v_mul_hi_u32 v3, s48, v1
	v_add_u32_e32 v3, v1, v3
	v_lshrrev_b32_e32 v3, s49, v3
	v_mul_lo_u32 v3, v3, s39
	v_sub_u32_e32 v3, v1, v3
	v_mad_u64_u32 v[0:1], s[0:1], v3, s42, v[0:1]
	v_mad_u64_u32 v[2:3], s[0:1], v3, s43, v[2:3]
.LBB24_289:
	v_mov_b32_e32 v1, s11
	v_add_co_u32_e32 v2, vcc, s10, v2
	v_addc_co_u32_e32 v3, vcc, 0, v1, vcc
	v_cmp_gt_i16_e32 vcc, 11, v4
	s_cbranch_vccnz .LBB24_296
; %bb.290:
	v_cmp_lt_i16_e32 vcc, 25, v4
	s_cbranch_vccz .LBB24_307
; %bb.291:
	v_cmp_lt_i16_e32 vcc, 28, v4
	s_cbranch_vccz .LBB24_309
	;; [unrolled: 3-line block ×4, first 2 shown]
; %bb.294:
	v_cmp_eq_u16_e32 vcc, 46, v4
	s_mov_b64 s[16:17], 0
	s_cbranch_vccz .LBB24_319
; %bb.295:
	global_load_dword v1, v[2:3], off
	s_mov_b64 s[0:1], -1
	s_mov_b64 s[2:3], 0
	s_waitcnt vmcnt(0)
	v_lshlrev_b32_e32 v1, 16, v1
	v_cvt_f16_f32_e32 v5, v1
	s_branch .LBB24_320
.LBB24_296:
	s_mov_b64 s[0:1], 0
                                        ; implicit-def: $vgpr5
	s_mov_b64 s[2:3], s[58:59]
	s_cbranch_execnz .LBB24_497
.LBB24_297:
	s_andn2_b64 vcc, exec, s[0:1]
	s_cbranch_vccnz .LBB24_545
.LBB24_298:
	s_waitcnt vmcnt(0)
	v_cvt_f32_f16_e32 v2, v5
	s_mov_b32 s0, 0x7f800000
	v_cmp_nlg_f32_e64 s[16:17], |v2|, s0
	s_and_saveexec_b64 s[0:1], s[16:17]
	s_cbranch_execz .LBB24_300
; %bb.299:
	v_mov_b32_e32 v1, 0
	v_mov_b32_e32 v3, 1.0
	global_store_dword v1, v3, s[12:13]
.LBB24_300:
	s_or_b64 exec, exec, s[0:1]
	v_mov_b32_e32 v1, 0
	global_load_dword v3, v1, s[14:15]
	v_mov_b32_e32 v1, s9
	v_mov_b32_e32 v6, 11
	v_add_co_u32_e32 v0, vcc, s8, v0
	v_addc_co_u32_e32 v1, vcc, 0, v1, vcc
	v_cmp_lt_i16_sdwa s[0:1], s79, v6 src0_sel:BYTE_0 src1_sel:DWORD
	s_and_b64 vcc, exec, s[0:1]
	s_waitcnt vmcnt(0)
	v_fma_mixlo_f16 v2, v3, v2, 0
	v_cmp_eq_f32_e64 s[0:1], 1.0, v3
	v_cndmask_b32_e64 v2, v2, v5, s[0:1]
	s_cbranch_vccnz .LBB24_308
; %bb.301:
	v_mov_b32_e32 v3, 25
	v_cmp_gt_i16_sdwa s[0:1], s79, v3 src0_sel:BYTE_0 src1_sel:DWORD
	s_and_b64 vcc, exec, s[0:1]
	s_cbranch_vccz .LBB24_310
; %bb.302:
	v_mov_b32_e32 v3, 28
	v_cmp_gt_i16_sdwa s[0:1], s79, v3 src0_sel:BYTE_0 src1_sel:DWORD
	s_and_b64 vcc, exec, s[0:1]
	s_cbranch_vccz .LBB24_312
	;; [unrolled: 5-line block ×4, first 2 shown]
; %bb.305:
	v_mov_b32_e32 v3, 46
	v_cmp_eq_u16_sdwa s[16:17], s79, v3 src0_sel:BYTE_0 src1_sel:DWORD
	s_mov_b64 s[18:19], 0
	s_mov_b64 s[0:1], -1
	s_and_b64 vcc, exec, s[16:17]
	s_mov_b64 s[16:17], 0
	s_cbranch_vccz .LBB24_324
; %bb.306:
	v_cvt_f32_f16_e32 v3, v2
	s_movk_i32 s0, 0x7fff
	v_mov_b32_e32 v5, 0x7fc0
	v_cmp_o_f16_e32 vcc, v2, v2
	v_bfe_u32 v6, v3, 16, 1
	v_add3_u32 v3, v3, v6, s0
	v_lshrrev_b32_e32 v3, 16, v3
	v_cndmask_b32_e32 v3, v5, v3, vcc
	global_store_dword v[0:1], v3, off
	s_mov_b64 s[16:17], -1
	s_mov_b64 s[0:1], 0
	s_branch .LBB24_324
.LBB24_307:
	s_mov_b64 s[16:17], -1
	s_mov_b64 s[0:1], 0
	s_mov_b64 s[2:3], s[58:59]
                                        ; implicit-def: $vgpr5
	s_branch .LBB24_461
.LBB24_308:
	s_mov_b64 s[18:19], -1
	s_mov_b64 s[16:17], 0
	s_mov_b64 s[0:1], s[56:57]
	s_branch .LBB24_393
.LBB24_309:
	s_mov_b64 s[16:17], -1
	s_mov_b64 s[0:1], 0
	s_mov_b64 s[2:3], s[58:59]
                                        ; implicit-def: $vgpr5
	s_branch .LBB24_442
.LBB24_310:
	s_mov_b64 s[18:19], -1
	s_mov_b64 s[16:17], 0
	s_mov_b64 s[0:1], s[56:57]
	s_branch .LBB24_351
.LBB24_311:
	s_mov_b64 s[16:17], -1
	s_mov_b64 s[0:1], 0
	s_mov_b64 s[2:3], s[58:59]
                                        ; implicit-def: $vgpr5
	s_branch .LBB24_437
.LBB24_312:
	s_mov_b64 s[18:19], -1
	s_mov_b64 s[16:17], 0
	s_mov_b64 s[0:1], s[56:57]
	s_branch .LBB24_334
.LBB24_313:
	s_or_saveexec_b64 s[20:21], s[20:21]
                                        ; implicit-def: $sgpr22
	s_xor_b64 exec, exec, s[20:21]
	s_cbranch_execz .LBB24_71
.LBB24_314:
	s_mov_b32 s22, 0x46000000
	v_add_f32_e64 v5, |v3|, s22
	v_and_b32_e32 v5, 0xff, v5
	v_cmp_ne_u32_e32 vcc, 0, v5
	s_andn2_b64 s[18:19], s[18:19], exec
	s_and_b64 s[24:25], vcc, exec
	s_mov_b32 s22, 0
	s_or_b64 s[18:19], s[18:19], s[24:25]
	s_or_b64 exec, exec, s[20:21]
	v_mov_b32_e32 v6, s22
	s_and_saveexec_b64 s[20:21], s[18:19]
	s_cbranch_execnz .LBB24_72
	s_branch .LBB24_73
.LBB24_315:
	s_mov_b64 s[16:17], -1
	s_mov_b64 s[0:1], 0
	s_mov_b64 s[2:3], s[58:59]
                                        ; implicit-def: $vgpr5
	s_branch .LBB24_320
.LBB24_316:
	s_mov_b64 s[18:19], -1
	s_mov_b64 s[16:17], 0
	s_mov_b64 s[0:1], s[56:57]
	s_branch .LBB24_330
.LBB24_317:
	s_or_saveexec_b64 s[20:21], s[20:21]
                                        ; implicit-def: $sgpr22
	s_xor_b64 exec, exec, s[20:21]
	s_cbranch_execz .LBB24_84
.LBB24_318:
	s_mov_b32 s22, 0x42800000
	v_add_f32_e64 v5, |v3|, s22
	v_and_b32_e32 v5, 0xff, v5
	v_cmp_ne_u32_e32 vcc, 0, v5
	s_andn2_b64 s[18:19], s[18:19], exec
	s_and_b64 s[24:25], vcc, exec
	s_mov_b32 s22, 0
	s_or_b64 s[18:19], s[18:19], s[24:25]
	s_or_b64 exec, exec, s[20:21]
	v_mov_b32_e32 v6, s22
	s_and_saveexec_b64 s[20:21], s[18:19]
	s_cbranch_execnz .LBB24_85
	s_branch .LBB24_86
.LBB24_319:
	s_mov_b64 s[2:3], -1
                                        ; implicit-def: $vgpr5
	s_mov_b64 s[0:1], 0
.LBB24_320:
	s_and_b64 vcc, exec, s[16:17]
	s_cbranch_vccz .LBB24_436
; %bb.321:
	v_cmp_eq_u16_e32 vcc, 44, v4
	s_cbranch_vccz .LBB24_435
; %bb.322:
	global_load_ubyte v1, v[2:3], off
	s_movk_i32 s2, 0xff
	v_mov_b32_e32 v6, 0x7e00
	s_mov_b64 s[0:1], -1
	s_waitcnt vmcnt(0)
	v_lshlrev_b32_e32 v5, 23, v1
	v_cvt_f16_f32_e32 v5, v5
	v_cmp_ne_u32_e32 vcc, s2, v1
	s_mov_b64 s[2:3], 0
	v_cndmask_b32_e32 v5, v6, v5, vcc
	v_cmp_ne_u32_e32 vcc, 0, v1
	v_cndmask_b32_e32 v5, 0, v5, vcc
	s_branch .LBB24_436
.LBB24_323:
	s_mov_b64 s[18:19], -1
	s_mov_b64 s[16:17], 0
	s_mov_b64 s[0:1], s[56:57]
.LBB24_324:
	s_and_b64 vcc, exec, s[18:19]
	s_cbranch_vccz .LBB24_329
; %bb.325:
	v_mov_b32_e32 v3, 44
	v_cmp_eq_u16_sdwa s[18:19], s79, v3 src0_sel:BYTE_0 src1_sel:DWORD
	s_mov_b64 s[0:1], -1
	s_and_b64 vcc, exec, s[18:19]
	s_cbranch_vccz .LBB24_329
; %bb.326:
	v_cvt_f32_f16_e32 v3, v2
	s_movk_i32 s0, 0xff
	v_mov_b32_e32 v6, 0xff
	v_bfe_u32 v5, v3, 23, 8
	v_cmp_ne_u32_e32 vcc, s0, v5
	s_and_saveexec_b64 s[16:17], vcc
; %bb.327:
	s_mov_b32 s0, 0x3fffff
	v_lshrrev_b32_e32 v6, 23, v3
	v_and_b32_e32 v7, 0x400000, v3
	v_and_or_b32 v3, v3, s0, v5
	v_cmp_ne_u32_e32 vcc, 0, v7
	v_cmp_ne_u32_e64 s[0:1], 0, v3
	s_and_b64 s[0:1], vcc, s[0:1]
	v_cndmask_b32_e64 v3, 0, 1, s[0:1]
	v_add_u32_e32 v6, v6, v3
; %bb.328:
	s_or_b64 exec, exec, s[16:17]
	s_mov_b64 s[16:17], -1
	s_mov_b64 s[0:1], 0
	global_store_byte v[0:1], v6, off
.LBB24_329:
	s_mov_b64 s[18:19], 0
.LBB24_330:
	s_and_b64 vcc, exec, s[18:19]
	s_cbranch_vccz .LBB24_333
; %bb.331:
	v_mov_b32_e32 v3, 29
	v_cmp_eq_u16_sdwa s[18:19], s79, v3 src0_sel:BYTE_0 src1_sel:DWORD
	s_mov_b64 s[0:1], -1
	s_and_b64 vcc, exec, s[18:19]
	s_cbranch_vccz .LBB24_333
; %bb.332:
	v_cvt_f32_f16_e32 v3, v2
	v_mov_b32_e32 v7, 0
	s_mov_b64 s[16:17], -1
	s_mov_b64 s[0:1], 0
	v_cvt_u32_f32_e32 v6, v3
	s_mov_b64 s[18:19], 0
	global_store_dwordx2 v[0:1], v[6:7], off
	s_branch .LBB24_334
.LBB24_333:
	s_mov_b64 s[18:19], 0
.LBB24_334:
	s_and_b64 vcc, exec, s[18:19]
	s_cbranch_vccz .LBB24_350
; %bb.335:
	v_mov_b32_e32 v3, 27
	v_cmp_lt_i16_sdwa s[18:19], s79, v3 src0_sel:BYTE_0 src1_sel:DWORD
	s_mov_b64 s[16:17], -1
	s_and_b64 vcc, exec, s[18:19]
	s_cbranch_vccnz .LBB24_341
; %bb.336:
	v_cmp_gt_i16_sdwa s[18:19], s79, v3 src0_sel:BYTE_0 src1_sel:DWORD
	s_and_b64 vcc, exec, s[18:19]
	s_cbranch_vccz .LBB24_338
; %bb.337:
	v_cvt_f32_f16_e32 v3, v2
	s_mov_b64 s[16:17], 0
	v_cvt_u32_f32_e32 v3, v3
	global_store_dword v[0:1], v3, off
.LBB24_338:
	s_andn2_b64 vcc, exec, s[16:17]
	s_cbranch_vccnz .LBB24_340
; %bb.339:
	v_cvt_u16_f16_e32 v3, v2
	global_store_short v[0:1], v3, off
.LBB24_340:
	s_mov_b64 s[16:17], 0
.LBB24_341:
	s_andn2_b64 vcc, exec, s[16:17]
	s_cbranch_vccnz .LBB24_349
; %bb.342:
	v_cvt_f32_f16_e32 v3, v2
	s_mov_b32 s16, 0x43800000
	v_mov_b32_e32 v6, 0x80
	v_and_b32_e32 v5, 0x7fffffff, v3
	v_cmp_gt_u32_e32 vcc, s16, v5
	s_and_saveexec_b64 s[16:17], vcc
	s_cbranch_execz .LBB24_348
; %bb.343:
	s_mov_b32 s18, 0x3bffffff
	v_cmp_lt_u32_e32 vcc, s18, v5
	s_mov_b64 s[18:19], 0
                                        ; implicit-def: $vgpr5
	s_and_saveexec_b64 s[20:21], vcc
	s_xor_b64 s[20:21], exec, s[20:21]
	s_cbranch_execz .LBB24_577
; %bb.344:
	v_bfe_u32 v5, v3, 20, 1
	s_mov_b32 s22, 0x487ffff
	v_add3_u32 v5, v3, v5, s22
	s_mov_b64 s[18:19], exec
	v_lshrrev_b32_e32 v5, 20, v5
	s_or_saveexec_b64 s[20:21], s[20:21]
                                        ; implicit-def: $sgpr22
	s_xor_b64 exec, exec, s[20:21]
	s_cbranch_execnz .LBB24_578
.LBB24_345:
	s_or_b64 exec, exec, s[20:21]
	v_mov_b32_e32 v6, s22
	s_and_saveexec_b64 s[20:21], s[18:19]
.LBB24_346:
	v_lshrrev_b32_e32 v3, 24, v3
	s_movk_i32 s18, 0x80
	v_and_or_b32 v6, v3, s18, v5
.LBB24_347:
	s_or_b64 exec, exec, s[20:21]
.LBB24_348:
	s_or_b64 exec, exec, s[16:17]
	global_store_byte v[0:1], v6, off
.LBB24_349:
	s_mov_b64 s[16:17], -1
.LBB24_350:
	s_mov_b64 s[18:19], 0
.LBB24_351:
	s_and_b64 vcc, exec, s[18:19]
	s_cbranch_vccz .LBB24_392
; %bb.352:
	v_mov_b32_e32 v3, 22
	v_cmp_gt_i16_sdwa s[20:21], s79, v3 src0_sel:BYTE_0 src1_sel:DWORD
	s_mov_b64 s[18:19], -1
	s_and_b64 vcc, exec, s[20:21]
	s_cbranch_vccz .LBB24_384
; %bb.353:
	v_mov_b32_e32 v3, 24
	v_cmp_lt_i16_sdwa s[18:19], s79, v3 src0_sel:BYTE_0 src1_sel:DWORD
	s_mov_b64 s[16:17], -1
	s_and_b64 vcc, exec, s[18:19]
	s_cbranch_vccnz .LBB24_373
; %bb.354:
	v_cmp_gt_i16_sdwa s[18:19], s79, v3 src0_sel:BYTE_0 src1_sel:DWORD
	s_and_b64 vcc, exec, s[18:19]
	s_cbranch_vccz .LBB24_362
; %bb.355:
	v_cvt_f32_f16_e32 v3, v2
	s_mov_b32 s16, 0x47800000
	v_mov_b32_e32 v6, 0x80
	v_and_b32_e32 v5, 0x7fffffff, v3
	v_cmp_gt_u32_e32 vcc, s16, v5
	s_and_saveexec_b64 s[16:17], vcc
	s_cbranch_execz .LBB24_361
; %bb.356:
	s_mov_b32 s18, 0x37ffffff
	v_cmp_lt_u32_e32 vcc, s18, v5
	s_mov_b64 s[18:19], 0
                                        ; implicit-def: $vgpr5
	s_and_saveexec_b64 s[20:21], vcc
	s_xor_b64 s[20:21], exec, s[20:21]
	s_cbranch_execz .LBB24_580
; %bb.357:
	v_bfe_u32 v5, v3, 21, 1
	s_mov_b32 s22, 0x88fffff
	v_add3_u32 v5, v3, v5, s22
	s_mov_b64 s[18:19], exec
	v_lshrrev_b32_e32 v5, 21, v5
	s_or_saveexec_b64 s[20:21], s[20:21]
                                        ; implicit-def: $sgpr22
	s_xor_b64 exec, exec, s[20:21]
	s_cbranch_execnz .LBB24_581
.LBB24_358:
	s_or_b64 exec, exec, s[20:21]
	v_mov_b32_e32 v6, s22
	s_and_saveexec_b64 s[20:21], s[18:19]
.LBB24_359:
	v_lshrrev_b32_e32 v3, 24, v3
	s_movk_i32 s18, 0x80
	v_and_or_b32 v6, v3, s18, v5
.LBB24_360:
	s_or_b64 exec, exec, s[20:21]
.LBB24_361:
	s_or_b64 exec, exec, s[16:17]
	s_mov_b64 s[16:17], 0
	global_store_byte v[0:1], v6, off
.LBB24_362:
	s_and_b64 vcc, exec, s[16:17]
	s_cbranch_vccz .LBB24_372
; %bb.363:
	v_cvt_f32_f16_e32 v3, v2
	s_mov_b32 s16, 0x43f00000
                                        ; implicit-def: $vgpr5
	v_and_b32_e32 v6, 0x7fffffff, v3
	v_cmp_gt_u32_e32 vcc, s16, v6
	s_and_saveexec_b64 s[16:17], vcc
	s_xor_b64 s[16:17], exec, s[16:17]
	s_cbranch_execz .LBB24_369
; %bb.364:
	s_mov_b32 s18, 0x3c7fffff
	v_cmp_lt_u32_e32 vcc, s18, v6
                                        ; implicit-def: $vgpr5
	s_and_saveexec_b64 s[18:19], vcc
	s_xor_b64 s[18:19], exec, s[18:19]
; %bb.365:
	v_bfe_u32 v5, v3, 20, 1
	s_mov_b32 s20, 0x407ffff
	v_add3_u32 v5, v3, v5, s20
	v_lshrrev_b32_e32 v6, 20, v5
	v_and_b32_e32 v5, 0xff00000, v5
	s_mov_b32 s20, 0x7f00000
	v_mov_b32_e32 v7, 0x7e
	v_cmp_ne_u32_e32 vcc, s20, v5
	v_cndmask_b32_e32 v5, v7, v6, vcc
; %bb.366:
	s_andn2_saveexec_b64 s[18:19], s[18:19]
; %bb.367:
	s_mov_b32 s20, 0x46800000
	v_add_f32_e64 v5, |v3|, s20
; %bb.368:
	s_or_b64 exec, exec, s[18:19]
                                        ; implicit-def: $vgpr6
.LBB24_369:
	s_andn2_saveexec_b64 s[16:17], s[16:17]
; %bb.370:
	s_mov_b32 s18, 0x7f800000
	v_mov_b32_e32 v5, 0x7e
	v_mov_b32_e32 v7, 0x7f
	v_cmp_lt_u32_e32 vcc, s18, v6
	v_cndmask_b32_e32 v5, v5, v7, vcc
; %bb.371:
	s_or_b64 exec, exec, s[16:17]
	v_lshrrev_b32_e32 v3, 24, v3
	s_movk_i32 s16, 0x80
	v_and_or_b32 v3, v3, s16, v5
	global_store_byte v[0:1], v3, off
.LBB24_372:
	s_mov_b64 s[16:17], 0
.LBB24_373:
	s_andn2_b64 vcc, exec, s[16:17]
	s_cbranch_vccnz .LBB24_383
; %bb.374:
	v_cvt_f32_f16_e32 v3, v2
	s_mov_b32 s16, 0x47800000
                                        ; implicit-def: $vgpr5
	v_and_b32_e32 v6, 0x7fffffff, v3
	v_cmp_gt_u32_e32 vcc, s16, v6
	s_and_saveexec_b64 s[16:17], vcc
	s_xor_b64 s[16:17], exec, s[16:17]
	s_cbranch_execz .LBB24_380
; %bb.375:
	s_mov_b32 s18, 0x387fffff
	v_cmp_lt_u32_e32 vcc, s18, v6
                                        ; implicit-def: $vgpr5
	s_and_saveexec_b64 s[18:19], vcc
	s_xor_b64 s[18:19], exec, s[18:19]
; %bb.376:
	v_bfe_u32 v5, v3, 21, 1
	s_mov_b32 s20, 0x80fffff
	v_add3_u32 v5, v3, v5, s20
	v_lshrrev_b32_e32 v5, 21, v5
; %bb.377:
	s_andn2_saveexec_b64 s[18:19], s[18:19]
; %bb.378:
	s_mov_b32 s20, 0x43000000
	v_add_f32_e64 v5, |v3|, s20
; %bb.379:
	s_or_b64 exec, exec, s[18:19]
                                        ; implicit-def: $vgpr6
.LBB24_380:
	s_andn2_saveexec_b64 s[16:17], s[16:17]
; %bb.381:
	s_mov_b32 s18, 0x7f800000
	v_mov_b32_e32 v5, 0x7c
	v_mov_b32_e32 v7, 0x7f
	v_cmp_lt_u32_e32 vcc, s18, v6
	v_cndmask_b32_e32 v5, v5, v7, vcc
; %bb.382:
	s_or_b64 exec, exec, s[16:17]
	v_lshrrev_b32_e32 v3, 24, v3
	s_movk_i32 s16, 0x80
	v_and_or_b32 v3, v3, s16, v5
	global_store_byte v[0:1], v3, off
.LBB24_383:
	s_mov_b64 s[18:19], 0
	s_mov_b64 s[16:17], -1
.LBB24_384:
	s_andn2_b64 vcc, exec, s[18:19]
	s_cbranch_vccnz .LBB24_392
; %bb.385:
	v_mov_b32_e32 v3, 14
	v_cmp_gt_i16_sdwa s[20:21], s79, v3 src0_sel:BYTE_0 src1_sel:DWORD
	s_mov_b64 s[18:19], -1
	s_and_b64 vcc, exec, s[20:21]
	s_cbranch_vccz .LBB24_389
; %bb.386:
	v_mov_b32_e32 v3, 15
	v_cmp_eq_u16_sdwa s[18:19], s79, v3 src0_sel:BYTE_0 src1_sel:DWORD
	s_mov_b64 s[0:1], -1
	s_and_b64 vcc, exec, s[18:19]
	s_cbranch_vccz .LBB24_388
; %bb.387:
	v_cvt_f32_f16_e32 v3, v2
	s_movk_i32 s0, 0x7fff
	v_mov_b32_e32 v5, 0x7fc0
	v_cmp_o_f16_e32 vcc, v2, v2
	v_bfe_u32 v6, v3, 16, 1
	v_add3_u32 v3, v3, v6, s0
	v_lshrrev_b32_e32 v3, 16, v3
	v_cndmask_b32_e32 v3, v5, v3, vcc
	global_store_short v[0:1], v3, off
	s_mov_b64 s[16:17], -1
	s_mov_b64 s[0:1], 0
.LBB24_388:
	s_mov_b64 s[18:19], 0
.LBB24_389:
	s_and_b64 vcc, exec, s[18:19]
	s_cbranch_vccz .LBB24_392
; %bb.390:
	v_mov_b32_e32 v3, 11
	v_cmp_eq_u16_sdwa s[18:19], s79, v3 src0_sel:BYTE_0 src1_sel:DWORD
	s_mov_b64 s[0:1], -1
	s_and_b64 vcc, exec, s[18:19]
	s_cbranch_vccz .LBB24_392
; %bb.391:
	v_cmp_neq_f16_e32 vcc, 0, v2
	v_cndmask_b32_e64 v3, 0, 1, vcc
	s_mov_b64 s[16:17], -1
	s_mov_b64 s[0:1], 0
	global_store_byte v[0:1], v3, off
.LBB24_392:
	s_mov_b64 s[18:19], 0
.LBB24_393:
	s_and_b64 vcc, exec, s[18:19]
	s_cbranch_vccz .LBB24_432
; %bb.394:
	v_mov_b32_e32 v3, 5
	v_cmp_lt_i16_sdwa s[18:19], s79, v3 src0_sel:BYTE_0 src1_sel:DWORD
	s_mov_b64 s[16:17], -1
	s_and_b64 vcc, exec, s[18:19]
	s_cbranch_vccnz .LBB24_415
; %bb.395:
	v_mov_b32_e32 v3, 8
	v_cmp_lt_i16_sdwa s[18:19], s79, v3 src0_sel:BYTE_0 src1_sel:DWORD
	s_and_b64 vcc, exec, s[18:19]
	s_cbranch_vccnz .LBB24_405
; %bb.396:
	v_mov_b32_e32 v3, 9
	v_cmp_lt_i16_sdwa s[18:19], s79, v3 src0_sel:BYTE_0 src1_sel:DWORD
	s_and_b64 vcc, exec, s[18:19]
	s_cbranch_vccnz .LBB24_402
; %bb.397:
	v_cmp_gt_i16_sdwa s[18:19], s79, v3 src0_sel:BYTE_0 src1_sel:DWORD
	s_and_b64 vcc, exec, s[18:19]
	s_cbranch_vccz .LBB24_399
; %bb.398:
	v_cvt_f32_f16_e32 v3, v2
	v_mov_b32_e32 v12, 0
	v_mov_b32_e32 v13, v12
	s_mov_b64 s[16:17], 0
	v_cvt_f64_f32_e32 v[10:11], v3
	global_store_dwordx4 v[0:1], v[10:13], off
.LBB24_399:
	s_andn2_b64 vcc, exec, s[16:17]
	s_cbranch_vccnz .LBB24_401
; %bb.400:
	v_cvt_f32_f16_e32 v6, v2
	v_mov_b32_e32 v7, 0
	global_store_dwordx2 v[0:1], v[6:7], off
.LBB24_401:
	s_mov_b64 s[16:17], 0
.LBB24_402:
	s_andn2_b64 vcc, exec, s[16:17]
	s_cbranch_vccnz .LBB24_404
; %bb.403:
	v_and_b32_e32 v3, 0xffff, v2
	global_store_dword v[0:1], v3, off
.LBB24_404:
	s_mov_b64 s[16:17], 0
.LBB24_405:
	s_andn2_b64 vcc, exec, s[16:17]
	s_cbranch_vccnz .LBB24_414
; %bb.406:
	v_mov_b32_e32 v3, 6
	v_cmp_lt_i16_sdwa s[18:19], s79, v3 src0_sel:BYTE_0 src1_sel:DWORD
	s_mov_b64 s[16:17], -1
	s_and_b64 vcc, exec, s[18:19]
	s_cbranch_vccnz .LBB24_412
; %bb.407:
	v_cmp_gt_i16_sdwa s[18:19], s79, v3 src0_sel:BYTE_0 src1_sel:DWORD
	s_and_b64 vcc, exec, s[18:19]
	s_cbranch_vccz .LBB24_409
; %bb.408:
	v_cvt_f32_f16_e32 v3, v2
	s_mov_b64 s[16:17], 0
	v_cvt_f64_f32_e32 v[6:7], v3
	global_store_dwordx2 v[0:1], v[6:7], off
.LBB24_409:
	s_andn2_b64 vcc, exec, s[16:17]
	s_cbranch_vccnz .LBB24_411
; %bb.410:
	v_cvt_f32_f16_e32 v3, v2
	global_store_dword v[0:1], v3, off
.LBB24_411:
	s_mov_b64 s[16:17], 0
.LBB24_412:
	s_andn2_b64 vcc, exec, s[16:17]
	s_cbranch_vccnz .LBB24_414
; %bb.413:
	global_store_short v[0:1], v2, off
.LBB24_414:
	s_mov_b64 s[16:17], 0
.LBB24_415:
	s_andn2_b64 vcc, exec, s[16:17]
	s_cbranch_vccnz .LBB24_431
; %bb.416:
	v_mov_b32_e32 v3, 2
	v_cmp_lt_i16_sdwa s[18:19], s79, v3 src0_sel:BYTE_0 src1_sel:DWORD
	s_mov_b64 s[16:17], -1
	s_and_b64 vcc, exec, s[18:19]
	s_cbranch_vccnz .LBB24_426
; %bb.417:
	v_mov_b32_e32 v3, 3
	v_cmp_lt_i16_sdwa s[18:19], s79, v3 src0_sel:BYTE_0 src1_sel:DWORD
	s_and_b64 vcc, exec, s[18:19]
	s_cbranch_vccnz .LBB24_423
; %bb.418:
	v_cmp_gt_i16_sdwa s[18:19], s79, v3 src0_sel:BYTE_0 src1_sel:DWORD
	s_and_b64 vcc, exec, s[18:19]
	s_cbranch_vccz .LBB24_420
; %bb.419:
	v_cvt_f32_f16_e32 v3, v2
	s_mov_b64 s[16:17], 0
	v_cvt_i32_f32_e32 v6, v3
	v_ashrrev_i32_e32 v7, 31, v6
	global_store_dwordx2 v[0:1], v[6:7], off
.LBB24_420:
	s_andn2_b64 vcc, exec, s[16:17]
	s_cbranch_vccnz .LBB24_422
; %bb.421:
	v_cvt_f32_f16_e32 v3, v2
	v_cvt_i32_f32_e32 v3, v3
	global_store_dword v[0:1], v3, off
.LBB24_422:
	s_mov_b64 s[16:17], 0
.LBB24_423:
	s_andn2_b64 vcc, exec, s[16:17]
	s_cbranch_vccnz .LBB24_425
; %bb.424:
	v_cvt_i16_f16_e32 v3, v2
	global_store_short v[0:1], v3, off
.LBB24_425:
	s_mov_b64 s[16:17], 0
.LBB24_426:
	s_andn2_b64 vcc, exec, s[16:17]
	s_cbranch_vccnz .LBB24_431
; %bb.427:
	v_mov_b32_e32 v3, 0
	v_cmp_gt_i16_sdwa s[18:19], s79, v3 src0_sel:BYTE_0 src1_sel:DWORD
	s_mov_b64 s[16:17], -1
	s_and_b64 vcc, exec, s[18:19]
	s_cbranch_vccz .LBB24_429
; %bb.428:
	v_cvt_i16_f16_e32 v3, v2
	s_mov_b64 s[16:17], 0
	global_store_byte v[0:1], v3, off
.LBB24_429:
	s_andn2_b64 vcc, exec, s[16:17]
	s_cbranch_vccnz .LBB24_431
; %bb.430:
	v_cvt_f32_f16_e32 v2, v2
	v_cvt_i32_f32_e32 v2, v2
	global_store_byte v[0:1], v2, off
.LBB24_431:
	s_mov_b64 s[16:17], -1
.LBB24_432:
	s_andn2_b64 vcc, exec, s[16:17]
	s_cbranch_vccnz .LBB24_434
; %bb.433:
	v_add_u32_e32 v8, 0x80, v8
	s_mov_b64 s[16:17], -1
	s_branch .LBB24_547
.LBB24_434:
	s_mov_b64 s[16:17], 0
	s_branch .LBB24_546
.LBB24_435:
	s_mov_b64 s[2:3], -1
                                        ; implicit-def: $vgpr5
.LBB24_436:
	s_mov_b64 s[16:17], 0
.LBB24_437:
	s_and_b64 vcc, exec, s[16:17]
	s_cbranch_vccz .LBB24_441
; %bb.438:
	v_cmp_eq_u16_e32 vcc, 29, v4
	s_cbranch_vccz .LBB24_440
; %bb.439:
	global_load_dwordx2 v[6:7], v[2:3], off
	s_mov_b64 s[0:1], -1
	s_mov_b64 s[2:3], 0
	s_mov_b64 s[16:17], 0
	s_waitcnt vmcnt(0)
	v_ffbh_u32_e32 v1, v7
	v_min_u32_e32 v1, 32, v1
	v_lshlrev_b64 v[6:7], v1, v[6:7]
	v_min_u32_e32 v5, 1, v6
	v_or_b32_e32 v5, v7, v5
	v_cvt_f32_u32_e32 v5, v5
	v_sub_u32_e32 v1, 32, v1
	v_ldexp_f32 v1, v5, v1
	v_cvt_f16_f32_e32 v5, v1
	s_branch .LBB24_442
.LBB24_440:
	s_mov_b64 s[2:3], -1
                                        ; implicit-def: $vgpr5
.LBB24_441:
	s_mov_b64 s[16:17], 0
.LBB24_442:
	s_and_b64 vcc, exec, s[16:17]
	s_cbranch_vccz .LBB24_460
; %bb.443:
	v_cmp_gt_i16_e32 vcc, 27, v4
	s_cbranch_vccnz .LBB24_446
; %bb.444:
	v_cmp_lt_i16_e32 vcc, 27, v4
	s_cbranch_vccz .LBB24_447
; %bb.445:
	global_load_dword v1, v[2:3], off
	s_mov_b64 s[0:1], 0
	s_waitcnt vmcnt(0)
	v_cvt_f32_u32_e32 v1, v1
	v_cvt_f16_f32_e32 v5, v1
	s_branch .LBB24_448
.LBB24_446:
	s_mov_b64 s[0:1], -1
                                        ; implicit-def: $vgpr5
	s_branch .LBB24_451
.LBB24_447:
	s_mov_b64 s[0:1], -1
                                        ; implicit-def: $vgpr5
.LBB24_448:
	s_andn2_b64 vcc, exec, s[0:1]
	s_cbranch_vccnz .LBB24_450
; %bb.449:
	global_load_ushort v1, v[2:3], off
	s_waitcnt vmcnt(0)
	v_cvt_f16_u16_e32 v5, v1
.LBB24_450:
	s_mov_b64 s[0:1], 0
.LBB24_451:
	s_andn2_b64 vcc, exec, s[0:1]
	s_cbranch_vccnz .LBB24_459
; %bb.452:
	global_load_ubyte v1, v[2:3], off
	s_movk_i32 s0, 0x7f
                                        ; implicit-def: $sgpr20
	s_waitcnt vmcnt(0)
	v_cmp_lt_i16_e32 vcc, s0, v1
	s_mov_b64 s[0:1], 0
	s_and_saveexec_b64 s[16:17], vcc
	s_xor_b64 s[16:17], exec, s[16:17]
	s_cbranch_execz .LBB24_473
; %bb.453:
	s_movk_i32 s0, 0x80
	v_cmp_eq_u16_e32 vcc, s0, v1
	s_mov_b64 s[0:1], -1
                                        ; implicit-def: $sgpr20
	s_and_saveexec_b64 s[18:19], vcc
; %bb.454:
	s_movk_i32 s20, 0x7e00
	s_xor_b64 s[0:1], exec, -1
; %bb.455:
	s_or_b64 exec, exec, s[18:19]
	s_and_b64 s[0:1], s[0:1], exec
	s_or_saveexec_b64 s[16:17], s[16:17]
	v_mov_b32_e32 v5, s20
	s_xor_b64 exec, exec, s[16:17]
	s_cbranch_execnz .LBB24_474
.LBB24_456:
	s_or_b64 exec, exec, s[16:17]
	s_and_saveexec_b64 s[16:17], s[0:1]
	s_cbranch_execz .LBB24_458
.LBB24_457:
	v_lshlrev_b32_e32 v5, 24, v1
	v_and_b32_e32 v1, 0xffff, v1
	v_and_b32_e32 v6, 7, v1
	v_ffbh_u32_e32 v9, v6
	v_min_u32_e32 v9, 32, v9
	v_subrev_u32_e32 v10, 28, v9
	v_bfe_u32 v7, v1, 3, 4
	v_lshlrev_b32_e32 v1, v10, v1
	v_sub_u32_e32 v9, 29, v9
	v_and_b32_e32 v1, 7, v1
	v_cmp_eq_u32_e32 vcc, 0, v7
	v_cndmask_b32_e32 v7, v7, v9, vcc
	v_cndmask_b32_e32 v1, v6, v1, vcc
	v_mov_b32_e32 v6, 0x3b800000
	v_lshlrev_b32_e32 v1, 20, v1
	v_and_b32_e32 v5, 0x80000000, v5
	v_lshl_add_u32 v6, v7, 23, v6
	v_or3_b32 v1, v5, v6, v1
	v_cvt_f16_f32_e32 v5, v1
.LBB24_458:
	s_or_b64 exec, exec, s[16:17]
.LBB24_459:
	s_mov_b64 s[0:1], -1
.LBB24_460:
	s_mov_b64 s[16:17], 0
.LBB24_461:
	s_and_b64 vcc, exec, s[16:17]
	s_cbranch_vccz .LBB24_496
; %bb.462:
	v_cmp_lt_i16_e32 vcc, 22, v4
	s_cbranch_vccz .LBB24_472
; %bb.463:
	v_cmp_gt_i16_e32 vcc, 24, v4
	s_cbranch_vccnz .LBB24_475
; %bb.464:
	v_cmp_lt_i16_e32 vcc, 24, v4
	s_cbranch_vccz .LBB24_476
; %bb.465:
	global_load_ubyte v1, v[2:3], off
	s_movk_i32 s0, 0x7f
                                        ; implicit-def: $sgpr20
	s_waitcnt vmcnt(0)
	v_cmp_lt_i16_e32 vcc, s0, v1
	s_mov_b64 s[0:1], 0
	s_and_saveexec_b64 s[16:17], vcc
	s_xor_b64 s[16:17], exec, s[16:17]
	s_cbranch_execz .LBB24_488
; %bb.466:
	s_movk_i32 s0, 0x80
	v_cmp_eq_u16_e32 vcc, s0, v1
	s_mov_b64 s[0:1], -1
                                        ; implicit-def: $sgpr20
	s_and_saveexec_b64 s[18:19], vcc
; %bb.467:
	s_movk_i32 s20, 0x7e00
	s_xor_b64 s[0:1], exec, -1
; %bb.468:
	s_or_b64 exec, exec, s[18:19]
	s_and_b64 s[0:1], s[0:1], exec
	s_or_saveexec_b64 s[16:17], s[16:17]
	v_mov_b32_e32 v5, s20
	s_xor_b64 exec, exec, s[16:17]
	s_cbranch_execnz .LBB24_489
.LBB24_469:
	s_or_b64 exec, exec, s[16:17]
	s_and_saveexec_b64 s[16:17], s[0:1]
	s_cbranch_execz .LBB24_471
.LBB24_470:
	v_lshlrev_b32_e32 v5, 24, v1
	v_and_b32_e32 v1, 0xffff, v1
	v_and_b32_e32 v6, 3, v1
	v_ffbh_u32_e32 v9, v6
	v_min_u32_e32 v9, 32, v9
	v_subrev_u32_e32 v10, 29, v9
	v_bfe_u32 v7, v1, 2, 5
	v_lshlrev_b32_e32 v1, v10, v1
	v_sub_u32_e32 v9, 30, v9
	v_and_b32_e32 v1, 3, v1
	v_cmp_eq_u32_e32 vcc, 0, v7
	v_cndmask_b32_e32 v7, v7, v9, vcc
	v_cndmask_b32_e32 v1, v6, v1, vcc
	v_mov_b32_e32 v6, 0x37800000
	v_lshlrev_b32_e32 v1, 21, v1
	v_and_b32_e32 v5, 0x80000000, v5
	v_lshl_add_u32 v6, v7, 23, v6
	v_or3_b32 v1, v5, v6, v1
	v_cvt_f16_f32_e32 v5, v1
.LBB24_471:
	s_or_b64 exec, exec, s[16:17]
	s_mov_b64 s[0:1], 0
	s_branch .LBB24_477
.LBB24_472:
	s_mov_b64 s[16:17], -1
                                        ; implicit-def: $vgpr5
	s_branch .LBB24_483
.LBB24_473:
	s_or_saveexec_b64 s[16:17], s[16:17]
	v_mov_b32_e32 v5, s20
	s_xor_b64 exec, exec, s[16:17]
	s_cbranch_execz .LBB24_456
.LBB24_474:
	v_cmp_ne_u16_e32 vcc, 0, v1
	s_andn2_b64 s[0:1], s[0:1], exec
	s_and_b64 s[18:19], vcc, exec
	s_or_b64 s[0:1], s[0:1], s[18:19]
	v_mov_b32_e32 v5, v1
	s_or_b64 exec, exec, s[16:17]
	s_and_saveexec_b64 s[16:17], s[0:1]
	s_cbranch_execnz .LBB24_457
	s_branch .LBB24_458
.LBB24_475:
	s_mov_b64 s[0:1], -1
                                        ; implicit-def: $vgpr5
	s_branch .LBB24_480
.LBB24_476:
	s_mov_b64 s[0:1], -1
                                        ; implicit-def: $vgpr5
.LBB24_477:
	s_and_b64 vcc, exec, s[0:1]
	s_cbranch_vccz .LBB24_479
; %bb.478:
	global_load_ubyte v1, v[2:3], off
	s_mov_b32 s0, 0x7f800000
	s_waitcnt vmcnt(0)
	v_lshlrev_b32_e32 v1, 24, v1
	v_and_b32_e32 v5, 0x7f000000, v1
	v_ffbh_u32_e32 v6, v5
	v_min_u32_e32 v6, 32, v6
	v_sub_u32_e64 v6, v6, 4 clamp
	v_lshlrev_b32_e32 v9, v6, v5
	v_lshlrev_b32_e32 v6, 23, v6
	v_lshrrev_b32_e32 v9, 4, v9
	v_add_u32_e32 v7, 0x1000000, v5
	v_sub_u32_e32 v6, v9, v6
	v_ashrrev_i32_e32 v7, 8, v7
	v_add_u32_e32 v6, 0x3c000000, v6
	v_and_or_b32 v6, v7, s0, v6
	v_cmp_ne_u32_e32 vcc, 0, v5
	v_cndmask_b32_e32 v5, 0, v6, vcc
	s_brev_b32 s0, 1
	v_and_or_b32 v1, v1, s0, v5
	v_cvt_f16_f32_e32 v5, v1
.LBB24_479:
	s_mov_b64 s[0:1], 0
.LBB24_480:
	s_andn2_b64 vcc, exec, s[0:1]
	s_cbranch_vccnz .LBB24_482
; %bb.481:
	global_load_ubyte v1, v[2:3], off
	s_movk_i32 s0, 0x7f00
	s_brev_b32 s1, 16
	s_waitcnt vmcnt(0)
	v_lshlrev_b16_e32 v5, 8, v1
	v_lshlrev_b32_e32 v1, 25, v1
	v_lshrrev_b32_e32 v6, 4, v1
	v_and_or_b32 v7, v5, s0, 0.5
	v_or_b32_e32 v6, 0x70000000, v6
	v_add_f32_e32 v7, -0.5, v7
	v_mul_f32_e32 v6, 0x7800000, v6
	v_cmp_gt_u32_e32 vcc, s1, v1
	v_bfe_i32 v5, v5, 0, 16
	v_cndmask_b32_e32 v1, v6, v7, vcc
	s_brev_b32 s0, 1
	v_and_or_b32 v1, v5, s0, v1
	v_cvt_f16_f32_e32 v5, v1
.LBB24_482:
	s_mov_b64 s[16:17], 0
	s_mov_b64 s[0:1], -1
.LBB24_483:
	s_andn2_b64 vcc, exec, s[16:17]
	s_cbranch_vccnz .LBB24_496
; %bb.484:
	v_cmp_lt_i16_e32 vcc, 14, v4
	s_cbranch_vccz .LBB24_487
; %bb.485:
	v_cmp_eq_u16_e32 vcc, 15, v4
	s_cbranch_vccz .LBB24_490
; %bb.486:
	global_load_ushort v1, v[2:3], off
	s_mov_b64 s[0:1], -1
	s_mov_b64 s[2:3], 0
	s_waitcnt vmcnt(0)
	v_lshlrev_b32_e32 v1, 16, v1
	v_cvt_f16_f32_e32 v5, v1
	s_branch .LBB24_491
.LBB24_487:
	s_mov_b64 s[16:17], -1
                                        ; implicit-def: $vgpr5
	s_branch .LBB24_492
.LBB24_488:
	s_or_saveexec_b64 s[16:17], s[16:17]
	v_mov_b32_e32 v5, s20
	s_xor_b64 exec, exec, s[16:17]
	s_cbranch_execz .LBB24_469
.LBB24_489:
	v_cmp_ne_u16_e32 vcc, 0, v1
	s_andn2_b64 s[0:1], s[0:1], exec
	s_and_b64 s[18:19], vcc, exec
	s_or_b64 s[0:1], s[0:1], s[18:19]
	v_mov_b32_e32 v5, v1
	s_or_b64 exec, exec, s[16:17]
	s_and_saveexec_b64 s[16:17], s[0:1]
	s_cbranch_execnz .LBB24_470
	s_branch .LBB24_471
.LBB24_490:
	s_mov_b64 s[2:3], -1
                                        ; implicit-def: $vgpr5
.LBB24_491:
	s_mov_b64 s[16:17], 0
.LBB24_492:
	s_and_b64 vcc, exec, s[16:17]
	s_cbranch_vccz .LBB24_496
; %bb.493:
	v_cmp_eq_u16_e32 vcc, 11, v4
	s_cbranch_vccz .LBB24_495
; %bb.494:
	global_load_ubyte v1, v[2:3], off
	s_waitcnt vmcnt(1)
	v_mov_b32_e32 v5, 0x3c00
	s_mov_b64 s[0:1], -1
	s_mov_b64 s[2:3], 0
	s_waitcnt vmcnt(0)
	v_cmp_ne_u16_e32 vcc, 0, v1
	v_cndmask_b32_e32 v5, 0, v5, vcc
	s_branch .LBB24_496
.LBB24_495:
	s_mov_b64 s[2:3], -1
                                        ; implicit-def: $vgpr5
.LBB24_496:
	s_branch .LBB24_297
.LBB24_497:
	v_cmp_gt_i16_e32 vcc, 5, v4
	s_cbranch_vccnz .LBB24_502
; %bb.498:
	v_cmp_gt_i16_e32 vcc, 8, v4
	s_cbranch_vccnz .LBB24_503
; %bb.499:
	;; [unrolled: 3-line block ×3, first 2 shown]
	v_cmp_lt_i16_e32 vcc, 9, v4
	s_cbranch_vccz .LBB24_505
; %bb.501:
	global_load_dwordx2 v[6:7], v[2:3], off
	s_mov_b64 s[0:1], 0
	s_waitcnt vmcnt(0)
	v_cvt_f32_f64_e32 v1, v[6:7]
	v_cvt_f16_f32_e32 v5, v1
	s_branch .LBB24_506
.LBB24_502:
	s_mov_b64 s[0:1], -1
                                        ; implicit-def: $vgpr5
	s_branch .LBB24_524
.LBB24_503:
	s_mov_b64 s[0:1], -1
                                        ; implicit-def: $vgpr5
	s_branch .LBB24_512
.LBB24_504:
	s_mov_b64 s[0:1], -1
                                        ; implicit-def: $vgpr5
	s_branch .LBB24_509
.LBB24_505:
	s_mov_b64 s[0:1], -1
                                        ; implicit-def: $vgpr5
.LBB24_506:
	s_andn2_b64 vcc, exec, s[0:1]
	s_cbranch_vccnz .LBB24_508
; %bb.507:
	global_load_dword v1, v[2:3], off
	s_waitcnt vmcnt(0)
	v_cvt_f16_f32_e32 v5, v1
.LBB24_508:
	s_mov_b64 s[0:1], 0
.LBB24_509:
	s_andn2_b64 vcc, exec, s[0:1]
	s_cbranch_vccnz .LBB24_511
; %bb.510:
	global_load_dword v5, v[2:3], off
.LBB24_511:
	s_mov_b64 s[0:1], 0
.LBB24_512:
	s_andn2_b64 vcc, exec, s[0:1]
	s_cbranch_vccnz .LBB24_523
; %bb.513:
	v_cmp_gt_i16_e32 vcc, 6, v4
	s_cbranch_vccnz .LBB24_516
; %bb.514:
	v_cmp_lt_i16_e32 vcc, 6, v4
	s_cbranch_vccz .LBB24_517
; %bb.515:
	global_load_dwordx2 v[6:7], v[2:3], off
	s_mov_b64 s[0:1], 0
	s_waitcnt vmcnt(0)
	v_cvt_f32_f64_e32 v1, v[6:7]
	v_cvt_f16_f32_e32 v5, v1
	s_branch .LBB24_518
.LBB24_516:
	s_mov_b64 s[0:1], -1
                                        ; implicit-def: $vgpr5
	s_branch .LBB24_521
.LBB24_517:
	s_mov_b64 s[0:1], -1
                                        ; implicit-def: $vgpr5
.LBB24_518:
	s_andn2_b64 vcc, exec, s[0:1]
	s_cbranch_vccnz .LBB24_520
; %bb.519:
	global_load_dword v1, v[2:3], off
	s_waitcnt vmcnt(0)
	v_cvt_f16_f32_e32 v5, v1
.LBB24_520:
	s_mov_b64 s[0:1], 0
.LBB24_521:
	s_andn2_b64 vcc, exec, s[0:1]
	s_cbranch_vccnz .LBB24_523
; %bb.522:
	global_load_ushort v5, v[2:3], off
.LBB24_523:
	s_mov_b64 s[0:1], 0
.LBB24_524:
	s_andn2_b64 vcc, exec, s[0:1]
	s_cbranch_vccnz .LBB24_544
; %bb.525:
	v_cmp_gt_i16_e32 vcc, 2, v4
	s_cbranch_vccnz .LBB24_529
; %bb.526:
	v_cmp_gt_i16_e32 vcc, 3, v4
	s_cbranch_vccnz .LBB24_530
; %bb.527:
	v_cmp_lt_i16_e32 vcc, 3, v4
	s_cbranch_vccz .LBB24_531
; %bb.528:
	global_load_dwordx2 v[6:7], v[2:3], off
	s_mov_b64 s[0:1], 0
	s_waitcnt vmcnt(0)
	v_xor_b32_e32 v5, v6, v7
	v_ffbh_i32_e32 v1, v7
	v_ashrrev_i32_e32 v5, 31, v5
	v_add_u32_e32 v1, -1, v1
	v_add_u32_e32 v5, 32, v5
	v_min_u32_e32 v1, v1, v5
	v_lshlrev_b64 v[6:7], v1, v[6:7]
	v_min_u32_e32 v5, 1, v6
	v_or_b32_e32 v5, v7, v5
	v_cvt_f32_i32_e32 v5, v5
	v_sub_u32_e32 v1, 32, v1
	v_ldexp_f32 v1, v5, v1
	v_cvt_f16_f32_e32 v5, v1
	s_branch .LBB24_532
.LBB24_529:
	s_mov_b64 s[0:1], -1
                                        ; implicit-def: $vgpr5
	s_branch .LBB24_538
.LBB24_530:
	s_mov_b64 s[0:1], -1
                                        ; implicit-def: $vgpr5
	s_branch .LBB24_535
.LBB24_531:
	s_mov_b64 s[0:1], -1
                                        ; implicit-def: $vgpr5
.LBB24_532:
	s_andn2_b64 vcc, exec, s[0:1]
	s_cbranch_vccnz .LBB24_534
; %bb.533:
	global_load_dword v1, v[2:3], off
	s_waitcnt vmcnt(0)
	v_cvt_f32_i32_e32 v1, v1
	v_cvt_f16_f32_e32 v5, v1
.LBB24_534:
	s_mov_b64 s[0:1], 0
.LBB24_535:
	s_andn2_b64 vcc, exec, s[0:1]
	s_cbranch_vccnz .LBB24_537
; %bb.536:
	global_load_ushort v1, v[2:3], off
	s_waitcnt vmcnt(0)
	v_cvt_f16_i16_e32 v5, v1
.LBB24_537:
	s_mov_b64 s[0:1], 0
.LBB24_538:
	s_andn2_b64 vcc, exec, s[0:1]
	s_cbranch_vccnz .LBB24_544
; %bb.539:
	v_cmp_lt_i16_e32 vcc, 0, v4
	s_cbranch_vccz .LBB24_541
; %bb.540:
	global_load_sbyte v1, v[2:3], off
	s_mov_b64 s[0:1], 0
	s_waitcnt vmcnt(0)
	v_cvt_f16_i16_e32 v5, v1
	s_branch .LBB24_542
.LBB24_541:
	s_mov_b64 s[0:1], -1
                                        ; implicit-def: $vgpr5
.LBB24_542:
	s_andn2_b64 vcc, exec, s[0:1]
	s_cbranch_vccnz .LBB24_544
; %bb.543:
	global_load_ubyte v1, v[2:3], off
	s_waitcnt vmcnt(0)
	v_cvt_f16_u16_e32 v5, v1
.LBB24_544:
	s_branch .LBB24_298
.LBB24_545:
	s_mov_b64 s[16:17], 0
	s_mov_b64 s[0:1], s[56:57]
.LBB24_546:
                                        ; implicit-def: $vgpr8
.LBB24_547:
	s_andn2_b64 s[18:19], s[56:57], exec
	s_and_b64 s[0:1], s[0:1], exec
	s_or_b64 s[64:65], s[18:19], s[0:1]
	s_andn2_b64 s[0:1], s[58:59], exec
	s_and_b64 s[2:3], s[2:3], exec
	s_or_b64 s[62:63], s[0:1], s[2:3]
	s_orn2_b64 s[0:1], s[16:17], exec
.LBB24_548:
	s_or_b64 exec, exec, s[66:67]
	s_mov_b64 s[2:3], 0
	s_mov_b64 s[16:17], 0
	;; [unrolled: 1-line block ×3, first 2 shown]
                                        ; implicit-def: $vgpr2_vgpr3
                                        ; implicit-def: $vgpr0
                                        ; implicit-def: $vgpr5
	s_and_saveexec_b64 s[66:67], s[0:1]
	s_cbranch_execz .LBB24_927
; %bb.549:
	v_cmp_gt_i32_e32 vcc, s76, v8
	s_mov_b64 s[2:3], -1
	s_mov_b64 s[70:71], s[62:63]
	s_mov_b64 s[72:73], s[64:65]
	s_and_saveexec_b64 s[68:69], vcc
	s_cbranch_execz .LBB24_826
; %bb.550:
	s_andn2_b64 vcc, exec, s[44:45]
	s_cbranch_vccnz .LBB24_556
; %bb.551:
	s_mov_b32 s70, 0
	s_andn2_b64 vcc, exec, s[54:55]
	v_mov_b32_e32 v2, 0
	v_mov_b32_e32 v0, 0
	s_cbranch_vccnz .LBB24_562
; %bb.552:
	s_add_i32 s80, s77, 1
	s_cmp_eq_u32 s78, 2
	s_cbranch_scc1 .LBB24_557
; %bb.553:
	s_and_b32 s70, s80, 28
	s_mov_b32 s71, 0
	v_mov_b32_e32 v0, 0
	s_mov_b64 s[72:73], s[34:35]
	s_mov_b64 s[74:75], s[52:53]
	v_mov_b32_e32 v3, v8
	v_mov_b32_e32 v2, 0
.LBB24_554:                             ; =>This Inner Loop Header: Depth=1
	s_load_dwordx8 s[24:31], s[72:73], 0x4
	s_load_dwordx4 s[0:3], s[72:73], 0x24
	s_load_dwordx8 s[16:23], s[74:75], 0x0
	s_add_u32 s72, s72, 48
	s_addc_u32 s73, s73, 0
	s_waitcnt lgkmcnt(0)
	v_mul_hi_u32 v1, s25, v3
	v_add_u32_e32 v1, v3, v1
	v_lshrrev_b32_e32 v1, s26, v1
	s_waitcnt vmcnt(0)
	v_mul_lo_u32 v5, v1, s24
	v_mul_hi_u32 v6, s28, v1
	v_sub_u32_e32 v3, v3, v5
	v_add_u32_e32 v5, v1, v6
	v_lshrrev_b32_e32 v5, s29, v5
	v_mul_lo_u32 v7, v5, s27
	v_mul_hi_u32 v9, s31, v5
	v_sub_u32_e32 v1, v1, v7
	v_add_u32_e32 v7, v5, v9
	v_mul_lo_u32 v6, v3, s17
	v_mul_lo_u32 v3, v3, s16
	;; [unrolled: 1-line block ×4, first 2 shown]
	v_lshrrev_b32_e32 v7, s0, v7
	v_add3_u32 v0, v3, v0, v1
	v_mul_hi_u32 v3, s2, v7
	v_add_u32_e32 v3, v7, v3
	v_lshrrev_b32_e32 v3, s3, v3
	s_add_i32 s71, s71, 4
	v_add3_u32 v1, v6, v2, v9
	v_mul_lo_u32 v2, v7, s30
	v_mul_lo_u32 v6, v3, s1
	s_add_u32 s74, s74, 32
	v_sub_u32_e32 v2, v5, v2
	v_sub_u32_e32 v6, v7, v6
	s_addc_u32 s75, s75, 0
	v_mul_lo_u32 v5, v2, s20
	v_mul_lo_u32 v2, v2, s21
	;; [unrolled: 1-line block ×4, first 2 shown]
	s_cmp_eq_u32 s70, s71
	v_add3_u32 v2, v2, v1, v6
	v_add3_u32 v0, v5, v0, v7
	s_cbranch_scc0 .LBB24_554
; %bb.555:
	v_mov_b32_e32 v1, v2
	s_branch .LBB24_558
.LBB24_556:
	s_mov_b64 s[0:1], -1
                                        ; implicit-def: $vgpr2
                                        ; implicit-def: $vgpr0
	s_branch .LBB24_563
.LBB24_557:
	s_mov_b32 s71, s70
	v_pk_mov_b32 v[0:1], s[70:71], s[70:71] op_sel:[0,1]
                                        ; implicit-def: $vgpr2
	v_mov_b32_e32 v3, v8
.LBB24_558:
	s_and_b32 s16, s80, 3
	s_cmp_eq_u32 s16, 0
	s_cbranch_scc1 .LBB24_562
; %bb.559:
	s_lshl_b32 s0, s70, 3
	s_add_u32 s0, s0, s34
	s_addc_u32 s1, s35, 0
	s_add_u32 s0, s0, 0xc4
	s_addc_u32 s1, s1, 0
	s_mul_i32 s2, s70, 12
	s_add_u32 s2, s34, s2
	s_addc_u32 s3, s35, 0
.LBB24_560:                             ; =>This Inner Loop Header: Depth=1
	s_load_dwordx2 s[18:19], s[2:3], 0x4
	s_load_dword s17, s[2:3], 0xc
	s_load_dwordx2 s[20:21], s[0:1], 0x0
	v_mov_b32_e32 v2, v1
	s_add_u32 s2, s2, 12
	s_waitcnt lgkmcnt(0)
	v_mul_hi_u32 v1, s19, v3
	v_add_u32_e32 v1, v3, v1
	v_lshrrev_b32_e32 v1, s17, v1
	s_addc_u32 s3, s3, 0
	s_waitcnt vmcnt(0)
	v_mul_lo_u32 v5, v1, s18
	s_add_u32 s0, s0, 8
	v_sub_u32_e32 v5, v3, v5
	v_mov_b32_e32 v3, v1
	s_addc_u32 s1, s1, 0
	s_add_i32 s16, s16, -1
	v_mad_u64_u32 v[6:7], s[18:19], v5, s21, v[2:3]
	v_mad_u64_u32 v[0:1], s[18:19], v5, s20, v[0:1]
	s_cmp_lg_u32 s16, 0
	v_mov_b32_e32 v1, v6
	s_cbranch_scc1 .LBB24_560
; %bb.561:
	v_mov_b32_e32 v2, v1
.LBB24_562:
	s_mov_b64 s[0:1], 0
.LBB24_563:
	s_andn2_b64 vcc, exec, s[0:1]
	s_cbranch_vccnz .LBB24_566
; %bb.564:
	v_mul_hi_u32 v0, s37, v8
	v_add_u32_e32 v0, v8, v0
	v_lshrrev_b32_e32 v1, s38, v0
	v_mul_lo_u32 v0, v1, s36
	v_sub_u32_e32 v0, v8, v0
	v_mul_lo_u32 v2, v0, s41
	s_andn2_b64 vcc, exec, s[50:51]
	v_mul_lo_u32 v0, v0, s40
	s_cbranch_vccnz .LBB24_566
; %bb.565:
	v_mul_hi_u32 v3, s48, v1
	v_add_u32_e32 v3, v1, v3
	v_lshrrev_b32_e32 v3, s49, v3
	v_mul_lo_u32 v3, v3, s39
	v_sub_u32_e32 v3, v1, v3
	v_mad_u64_u32 v[0:1], s[0:1], v3, s42, v[0:1]
	v_mad_u64_u32 v[2:3], s[0:1], v3, s43, v[2:3]
.LBB24_566:
	v_mov_b32_e32 v1, s11
	v_add_co_u32_e32 v2, vcc, s10, v2
	v_addc_co_u32_e32 v3, vcc, 0, v1, vcc
	v_cmp_gt_i16_e32 vcc, 11, v4
	s_cbranch_vccnz .LBB24_573
; %bb.567:
	v_cmp_lt_i16_e32 vcc, 25, v4
	s_cbranch_vccz .LBB24_574
; %bb.568:
	v_cmp_lt_i16_e32 vcc, 28, v4
	s_cbranch_vccz .LBB24_575
	;; [unrolled: 3-line block ×4, first 2 shown]
; %bb.571:
	v_cmp_eq_u16_e32 vcc, 46, v4
	s_mov_b64 s[16:17], 0
	s_cbranch_vccz .LBB24_582
; %bb.572:
	global_load_dword v1, v[2:3], off
	s_mov_b64 s[0:1], -1
	s_mov_b64 s[2:3], 0
	s_waitcnt vmcnt(0)
	v_lshlrev_b32_e32 v1, 16, v1
	v_cvt_f16_f32_e32 v5, v1
	s_branch .LBB24_583
.LBB24_573:
	s_mov_b64 s[16:17], -1
	s_mov_b64 s[0:1], 0
                                        ; implicit-def: $vgpr5
	s_mov_b64 s[2:3], s[62:63]
	s_branch .LBB24_648
.LBB24_574:
	s_mov_b64 s[16:17], -1
	s_mov_b64 s[0:1], 0
	s_mov_b64 s[2:3], s[62:63]
                                        ; implicit-def: $vgpr5
	s_branch .LBB24_612
.LBB24_575:
	s_mov_b64 s[16:17], -1
	s_mov_b64 s[0:1], 0
	s_mov_b64 s[2:3], s[62:63]
                                        ; implicit-def: $vgpr5
	s_branch .LBB24_593
.LBB24_576:
	s_mov_b64 s[16:17], -1
	s_mov_b64 s[0:1], 0
	s_mov_b64 s[2:3], s[62:63]
                                        ; implicit-def: $vgpr5
	s_branch .LBB24_588
.LBB24_577:
	s_or_saveexec_b64 s[20:21], s[20:21]
                                        ; implicit-def: $sgpr22
	s_xor_b64 exec, exec, s[20:21]
	s_cbranch_execz .LBB24_345
.LBB24_578:
	s_mov_b32 s22, 0x46000000
	v_add_f32_e64 v5, |v3|, s22
	v_and_b32_e32 v5, 0xff, v5
	v_cmp_ne_u32_e32 vcc, 0, v5
	s_andn2_b64 s[18:19], s[18:19], exec
	s_and_b64 s[24:25], vcc, exec
	s_mov_b32 s22, 0
	s_or_b64 s[18:19], s[18:19], s[24:25]
	s_or_b64 exec, exec, s[20:21]
	v_mov_b32_e32 v6, s22
	s_and_saveexec_b64 s[20:21], s[18:19]
	s_cbranch_execnz .LBB24_346
	s_branch .LBB24_347
.LBB24_579:
	s_mov_b64 s[16:17], -1
	s_mov_b64 s[0:1], 0
	s_mov_b64 s[2:3], s[62:63]
                                        ; implicit-def: $vgpr5
	s_branch .LBB24_583
.LBB24_580:
	s_or_saveexec_b64 s[20:21], s[20:21]
                                        ; implicit-def: $sgpr22
	s_xor_b64 exec, exec, s[20:21]
	s_cbranch_execz .LBB24_358
.LBB24_581:
	s_mov_b32 s22, 0x42800000
	v_add_f32_e64 v5, |v3|, s22
	v_and_b32_e32 v5, 0xff, v5
	v_cmp_ne_u32_e32 vcc, 0, v5
	s_andn2_b64 s[18:19], s[18:19], exec
	s_and_b64 s[24:25], vcc, exec
	s_mov_b32 s22, 0
	s_or_b64 s[18:19], s[18:19], s[24:25]
	s_or_b64 exec, exec, s[20:21]
	v_mov_b32_e32 v6, s22
	s_and_saveexec_b64 s[20:21], s[18:19]
	s_cbranch_execnz .LBB24_359
	s_branch .LBB24_360
.LBB24_582:
	s_mov_b64 s[2:3], -1
                                        ; implicit-def: $vgpr5
	s_mov_b64 s[0:1], 0
.LBB24_583:
	s_and_b64 vcc, exec, s[16:17]
	s_cbranch_vccz .LBB24_587
; %bb.584:
	v_cmp_eq_u16_e32 vcc, 44, v4
	s_cbranch_vccz .LBB24_586
; %bb.585:
	global_load_ubyte v1, v[2:3], off
	s_movk_i32 s2, 0xff
	v_mov_b32_e32 v6, 0x7e00
	s_mov_b64 s[0:1], -1
	s_waitcnt vmcnt(0)
	v_lshlrev_b32_e32 v5, 23, v1
	v_cvt_f16_f32_e32 v5, v5
	v_cmp_ne_u32_e32 vcc, s2, v1
	s_mov_b64 s[2:3], 0
	v_cndmask_b32_e32 v5, v6, v5, vcc
	v_cmp_ne_u32_e32 vcc, 0, v1
	v_cndmask_b32_e32 v5, 0, v5, vcc
	s_branch .LBB24_587
.LBB24_586:
	s_mov_b64 s[2:3], -1
                                        ; implicit-def: $vgpr5
.LBB24_587:
	s_mov_b64 s[16:17], 0
.LBB24_588:
	s_and_b64 vcc, exec, s[16:17]
	s_cbranch_vccz .LBB24_592
; %bb.589:
	v_cmp_eq_u16_e32 vcc, 29, v4
	s_cbranch_vccz .LBB24_591
; %bb.590:
	global_load_dwordx2 v[6:7], v[2:3], off
	s_mov_b64 s[0:1], -1
	s_mov_b64 s[2:3], 0
	s_mov_b64 s[16:17], 0
	s_waitcnt vmcnt(0)
	v_ffbh_u32_e32 v1, v7
	v_min_u32_e32 v1, 32, v1
	v_lshlrev_b64 v[6:7], v1, v[6:7]
	v_min_u32_e32 v5, 1, v6
	v_or_b32_e32 v5, v7, v5
	v_cvt_f32_u32_e32 v5, v5
	v_sub_u32_e32 v1, 32, v1
	v_ldexp_f32 v1, v5, v1
	v_cvt_f16_f32_e32 v5, v1
	s_branch .LBB24_593
.LBB24_591:
	s_mov_b64 s[2:3], -1
                                        ; implicit-def: $vgpr5
.LBB24_592:
	s_mov_b64 s[16:17], 0
.LBB24_593:
	s_and_b64 vcc, exec, s[16:17]
	s_cbranch_vccz .LBB24_611
; %bb.594:
	v_cmp_gt_i16_e32 vcc, 27, v4
	s_cbranch_vccnz .LBB24_597
; %bb.595:
	v_cmp_lt_i16_e32 vcc, 27, v4
	s_cbranch_vccz .LBB24_598
; %bb.596:
	global_load_dword v1, v[2:3], off
	s_mov_b64 s[0:1], 0
	s_waitcnt vmcnt(0)
	v_cvt_f32_u32_e32 v1, v1
	v_cvt_f16_f32_e32 v5, v1
	s_branch .LBB24_599
.LBB24_597:
	s_mov_b64 s[0:1], -1
                                        ; implicit-def: $vgpr5
	s_branch .LBB24_602
.LBB24_598:
	s_mov_b64 s[0:1], -1
                                        ; implicit-def: $vgpr5
.LBB24_599:
	s_andn2_b64 vcc, exec, s[0:1]
	s_cbranch_vccnz .LBB24_601
; %bb.600:
	global_load_ushort v1, v[2:3], off
	s_waitcnt vmcnt(0)
	v_cvt_f16_u16_e32 v5, v1
.LBB24_601:
	s_mov_b64 s[0:1], 0
.LBB24_602:
	s_andn2_b64 vcc, exec, s[0:1]
	s_cbranch_vccnz .LBB24_610
; %bb.603:
	global_load_ubyte v1, v[2:3], off
	s_movk_i32 s0, 0x7f
                                        ; implicit-def: $sgpr20
	s_waitcnt vmcnt(0)
	v_cmp_lt_i16_e32 vcc, s0, v1
	s_mov_b64 s[0:1], 0
	s_and_saveexec_b64 s[16:17], vcc
	s_xor_b64 s[16:17], exec, s[16:17]
	s_cbranch_execz .LBB24_624
; %bb.604:
	s_movk_i32 s0, 0x80
	v_cmp_eq_u16_e32 vcc, s0, v1
	s_mov_b64 s[0:1], -1
                                        ; implicit-def: $sgpr20
	s_and_saveexec_b64 s[18:19], vcc
; %bb.605:
	s_movk_i32 s20, 0x7e00
	s_xor_b64 s[0:1], exec, -1
; %bb.606:
	s_or_b64 exec, exec, s[18:19]
	s_and_b64 s[0:1], s[0:1], exec
	s_or_saveexec_b64 s[16:17], s[16:17]
	v_mov_b32_e32 v5, s20
	s_xor_b64 exec, exec, s[16:17]
	s_cbranch_execnz .LBB24_625
.LBB24_607:
	s_or_b64 exec, exec, s[16:17]
	s_and_saveexec_b64 s[16:17], s[0:1]
	s_cbranch_execz .LBB24_609
.LBB24_608:
	v_lshlrev_b32_e32 v5, 24, v1
	v_and_b32_e32 v1, 0xffff, v1
	v_and_b32_e32 v6, 7, v1
	v_ffbh_u32_e32 v9, v6
	v_min_u32_e32 v9, 32, v9
	v_subrev_u32_e32 v10, 28, v9
	v_bfe_u32 v7, v1, 3, 4
	v_lshlrev_b32_e32 v1, v10, v1
	v_sub_u32_e32 v9, 29, v9
	v_and_b32_e32 v1, 7, v1
	v_cmp_eq_u32_e32 vcc, 0, v7
	v_cndmask_b32_e32 v7, v7, v9, vcc
	v_cndmask_b32_e32 v1, v6, v1, vcc
	v_mov_b32_e32 v6, 0x3b800000
	v_lshlrev_b32_e32 v1, 20, v1
	v_and_b32_e32 v5, 0x80000000, v5
	v_lshl_add_u32 v6, v7, 23, v6
	v_or3_b32 v1, v5, v6, v1
	v_cvt_f16_f32_e32 v5, v1
.LBB24_609:
	s_or_b64 exec, exec, s[16:17]
.LBB24_610:
	s_mov_b64 s[0:1], -1
.LBB24_611:
	s_mov_b64 s[16:17], 0
.LBB24_612:
	s_and_b64 vcc, exec, s[16:17]
	s_cbranch_vccz .LBB24_647
; %bb.613:
	v_cmp_lt_i16_e32 vcc, 22, v4
	s_cbranch_vccz .LBB24_623
; %bb.614:
	v_cmp_gt_i16_e32 vcc, 24, v4
	s_cbranch_vccnz .LBB24_626
; %bb.615:
	v_cmp_lt_i16_e32 vcc, 24, v4
	s_cbranch_vccz .LBB24_627
; %bb.616:
	global_load_ubyte v1, v[2:3], off
	s_movk_i32 s0, 0x7f
                                        ; implicit-def: $sgpr20
	s_waitcnt vmcnt(0)
	v_cmp_lt_i16_e32 vcc, s0, v1
	s_mov_b64 s[0:1], 0
	s_and_saveexec_b64 s[16:17], vcc
	s_xor_b64 s[16:17], exec, s[16:17]
	s_cbranch_execz .LBB24_639
; %bb.617:
	s_movk_i32 s0, 0x80
	v_cmp_eq_u16_e32 vcc, s0, v1
	s_mov_b64 s[0:1], -1
                                        ; implicit-def: $sgpr20
	s_and_saveexec_b64 s[18:19], vcc
; %bb.618:
	s_movk_i32 s20, 0x7e00
	s_xor_b64 s[0:1], exec, -1
; %bb.619:
	s_or_b64 exec, exec, s[18:19]
	s_and_b64 s[0:1], s[0:1], exec
	s_or_saveexec_b64 s[16:17], s[16:17]
	v_mov_b32_e32 v5, s20
	s_xor_b64 exec, exec, s[16:17]
	s_cbranch_execnz .LBB24_640
.LBB24_620:
	s_or_b64 exec, exec, s[16:17]
	s_and_saveexec_b64 s[16:17], s[0:1]
	s_cbranch_execz .LBB24_622
.LBB24_621:
	v_lshlrev_b32_e32 v5, 24, v1
	v_and_b32_e32 v1, 0xffff, v1
	v_and_b32_e32 v6, 3, v1
	v_ffbh_u32_e32 v9, v6
	v_min_u32_e32 v9, 32, v9
	v_subrev_u32_e32 v10, 29, v9
	v_bfe_u32 v7, v1, 2, 5
	v_lshlrev_b32_e32 v1, v10, v1
	v_sub_u32_e32 v9, 30, v9
	v_and_b32_e32 v1, 3, v1
	v_cmp_eq_u32_e32 vcc, 0, v7
	v_cndmask_b32_e32 v7, v7, v9, vcc
	v_cndmask_b32_e32 v1, v6, v1, vcc
	v_mov_b32_e32 v6, 0x37800000
	v_lshlrev_b32_e32 v1, 21, v1
	v_and_b32_e32 v5, 0x80000000, v5
	v_lshl_add_u32 v6, v7, 23, v6
	v_or3_b32 v1, v5, v6, v1
	v_cvt_f16_f32_e32 v5, v1
.LBB24_622:
	s_or_b64 exec, exec, s[16:17]
	s_mov_b64 s[0:1], 0
	s_branch .LBB24_628
.LBB24_623:
	s_mov_b64 s[16:17], -1
                                        ; implicit-def: $vgpr5
	s_branch .LBB24_634
.LBB24_624:
	s_or_saveexec_b64 s[16:17], s[16:17]
	v_mov_b32_e32 v5, s20
	s_xor_b64 exec, exec, s[16:17]
	s_cbranch_execz .LBB24_607
.LBB24_625:
	v_cmp_ne_u16_e32 vcc, 0, v1
	s_andn2_b64 s[0:1], s[0:1], exec
	s_and_b64 s[18:19], vcc, exec
	s_or_b64 s[0:1], s[0:1], s[18:19]
	v_mov_b32_e32 v5, v1
	s_or_b64 exec, exec, s[16:17]
	s_and_saveexec_b64 s[16:17], s[0:1]
	s_cbranch_execnz .LBB24_608
	s_branch .LBB24_609
.LBB24_626:
	s_mov_b64 s[0:1], -1
                                        ; implicit-def: $vgpr5
	s_branch .LBB24_631
.LBB24_627:
	s_mov_b64 s[0:1], -1
                                        ; implicit-def: $vgpr5
.LBB24_628:
	s_and_b64 vcc, exec, s[0:1]
	s_cbranch_vccz .LBB24_630
; %bb.629:
	global_load_ubyte v1, v[2:3], off
	s_mov_b32 s0, 0x7f800000
	s_waitcnt vmcnt(0)
	v_lshlrev_b32_e32 v1, 24, v1
	v_and_b32_e32 v5, 0x7f000000, v1
	v_ffbh_u32_e32 v6, v5
	v_min_u32_e32 v6, 32, v6
	v_sub_u32_e64 v6, v6, 4 clamp
	v_lshlrev_b32_e32 v9, v6, v5
	v_lshlrev_b32_e32 v6, 23, v6
	v_lshrrev_b32_e32 v9, 4, v9
	v_add_u32_e32 v7, 0x1000000, v5
	v_sub_u32_e32 v6, v9, v6
	v_ashrrev_i32_e32 v7, 8, v7
	v_add_u32_e32 v6, 0x3c000000, v6
	v_and_or_b32 v6, v7, s0, v6
	v_cmp_ne_u32_e32 vcc, 0, v5
	v_cndmask_b32_e32 v5, 0, v6, vcc
	s_brev_b32 s0, 1
	v_and_or_b32 v1, v1, s0, v5
	v_cvt_f16_f32_e32 v5, v1
.LBB24_630:
	s_mov_b64 s[0:1], 0
.LBB24_631:
	s_andn2_b64 vcc, exec, s[0:1]
	s_cbranch_vccnz .LBB24_633
; %bb.632:
	global_load_ubyte v1, v[2:3], off
	s_movk_i32 s0, 0x7f00
	s_brev_b32 s1, 16
	s_waitcnt vmcnt(0)
	v_lshlrev_b16_e32 v5, 8, v1
	v_lshlrev_b32_e32 v1, 25, v1
	v_lshrrev_b32_e32 v6, 4, v1
	v_and_or_b32 v7, v5, s0, 0.5
	v_or_b32_e32 v6, 0x70000000, v6
	v_add_f32_e32 v7, -0.5, v7
	v_mul_f32_e32 v6, 0x7800000, v6
	v_cmp_gt_u32_e32 vcc, s1, v1
	v_bfe_i32 v5, v5, 0, 16
	v_cndmask_b32_e32 v1, v6, v7, vcc
	s_brev_b32 s0, 1
	v_and_or_b32 v1, v5, s0, v1
	v_cvt_f16_f32_e32 v5, v1
.LBB24_633:
	s_mov_b64 s[16:17], 0
	s_mov_b64 s[0:1], -1
.LBB24_634:
	s_andn2_b64 vcc, exec, s[16:17]
	s_cbranch_vccnz .LBB24_647
; %bb.635:
	v_cmp_lt_i16_e32 vcc, 14, v4
	s_cbranch_vccz .LBB24_638
; %bb.636:
	v_cmp_eq_u16_e32 vcc, 15, v4
	s_cbranch_vccz .LBB24_641
; %bb.637:
	global_load_ushort v1, v[2:3], off
	s_mov_b64 s[0:1], -1
	s_mov_b64 s[2:3], 0
	s_waitcnt vmcnt(0)
	v_lshlrev_b32_e32 v1, 16, v1
	v_cvt_f16_f32_e32 v5, v1
	s_branch .LBB24_642
.LBB24_638:
	s_mov_b64 s[16:17], -1
                                        ; implicit-def: $vgpr5
	s_branch .LBB24_643
.LBB24_639:
	s_or_saveexec_b64 s[16:17], s[16:17]
	v_mov_b32_e32 v5, s20
	s_xor_b64 exec, exec, s[16:17]
	s_cbranch_execz .LBB24_620
.LBB24_640:
	v_cmp_ne_u16_e32 vcc, 0, v1
	s_andn2_b64 s[0:1], s[0:1], exec
	s_and_b64 s[18:19], vcc, exec
	s_or_b64 s[0:1], s[0:1], s[18:19]
	v_mov_b32_e32 v5, v1
	s_or_b64 exec, exec, s[16:17]
	s_and_saveexec_b64 s[16:17], s[0:1]
	s_cbranch_execnz .LBB24_621
	s_branch .LBB24_622
.LBB24_641:
	s_mov_b64 s[2:3], -1
                                        ; implicit-def: $vgpr5
.LBB24_642:
	s_mov_b64 s[16:17], 0
.LBB24_643:
	s_and_b64 vcc, exec, s[16:17]
	s_cbranch_vccz .LBB24_647
; %bb.644:
	v_cmp_eq_u16_e32 vcc, 11, v4
	s_cbranch_vccz .LBB24_646
; %bb.645:
	global_load_ubyte v1, v[2:3], off
	s_waitcnt vmcnt(1)
	v_mov_b32_e32 v5, 0x3c00
	s_mov_b64 s[0:1], -1
	s_mov_b64 s[2:3], 0
	s_waitcnt vmcnt(0)
	v_cmp_ne_u16_e32 vcc, 0, v1
	v_cndmask_b32_e32 v5, 0, v5, vcc
	s_branch .LBB24_647
.LBB24_646:
	s_mov_b64 s[2:3], -1
                                        ; implicit-def: $vgpr5
.LBB24_647:
	s_mov_b64 s[16:17], 0
.LBB24_648:
	s_and_b64 vcc, exec, s[16:17]
	s_cbranch_vccz .LBB24_697
; %bb.649:
	v_cmp_gt_i16_e32 vcc, 5, v4
	s_cbranch_vccnz .LBB24_654
; %bb.650:
	v_cmp_gt_i16_e32 vcc, 8, v4
	s_cbranch_vccnz .LBB24_655
	;; [unrolled: 3-line block ×3, first 2 shown]
; %bb.652:
	v_cmp_lt_i16_e32 vcc, 9, v4
	s_cbranch_vccz .LBB24_657
; %bb.653:
	global_load_dwordx2 v[6:7], v[2:3], off
	s_mov_b64 s[0:1], 0
	s_waitcnt vmcnt(0)
	v_cvt_f32_f64_e32 v1, v[6:7]
	v_cvt_f16_f32_e32 v5, v1
	s_branch .LBB24_658
.LBB24_654:
	s_mov_b64 s[0:1], -1
                                        ; implicit-def: $vgpr5
	s_branch .LBB24_676
.LBB24_655:
	s_mov_b64 s[0:1], -1
                                        ; implicit-def: $vgpr5
	s_branch .LBB24_664
.LBB24_656:
	s_mov_b64 s[0:1], -1
                                        ; implicit-def: $vgpr5
	s_branch .LBB24_661
.LBB24_657:
	s_mov_b64 s[0:1], -1
                                        ; implicit-def: $vgpr5
.LBB24_658:
	s_andn2_b64 vcc, exec, s[0:1]
	s_cbranch_vccnz .LBB24_660
; %bb.659:
	global_load_dword v1, v[2:3], off
	s_waitcnt vmcnt(0)
	v_cvt_f16_f32_e32 v5, v1
.LBB24_660:
	s_mov_b64 s[0:1], 0
.LBB24_661:
	s_andn2_b64 vcc, exec, s[0:1]
	s_cbranch_vccnz .LBB24_663
; %bb.662:
	global_load_dword v5, v[2:3], off
.LBB24_663:
	s_mov_b64 s[0:1], 0
.LBB24_664:
	s_andn2_b64 vcc, exec, s[0:1]
	s_cbranch_vccnz .LBB24_675
; %bb.665:
	v_cmp_gt_i16_e32 vcc, 6, v4
	s_cbranch_vccnz .LBB24_668
; %bb.666:
	v_cmp_lt_i16_e32 vcc, 6, v4
	s_cbranch_vccz .LBB24_669
; %bb.667:
	global_load_dwordx2 v[6:7], v[2:3], off
	s_mov_b64 s[0:1], 0
	s_waitcnt vmcnt(0)
	v_cvt_f32_f64_e32 v1, v[6:7]
	v_cvt_f16_f32_e32 v5, v1
	s_branch .LBB24_670
.LBB24_668:
	s_mov_b64 s[0:1], -1
                                        ; implicit-def: $vgpr5
	s_branch .LBB24_673
.LBB24_669:
	s_mov_b64 s[0:1], -1
                                        ; implicit-def: $vgpr5
.LBB24_670:
	s_andn2_b64 vcc, exec, s[0:1]
	s_cbranch_vccnz .LBB24_672
; %bb.671:
	global_load_dword v1, v[2:3], off
	s_waitcnt vmcnt(0)
	v_cvt_f16_f32_e32 v5, v1
.LBB24_672:
	s_mov_b64 s[0:1], 0
.LBB24_673:
	s_andn2_b64 vcc, exec, s[0:1]
	s_cbranch_vccnz .LBB24_675
; %bb.674:
	global_load_ushort v5, v[2:3], off
.LBB24_675:
	s_mov_b64 s[0:1], 0
.LBB24_676:
	s_andn2_b64 vcc, exec, s[0:1]
	s_cbranch_vccnz .LBB24_696
; %bb.677:
	v_cmp_gt_i16_e32 vcc, 2, v4
	s_cbranch_vccnz .LBB24_681
; %bb.678:
	v_cmp_gt_i16_e32 vcc, 3, v4
	s_cbranch_vccnz .LBB24_682
; %bb.679:
	v_cmp_lt_i16_e32 vcc, 3, v4
	s_cbranch_vccz .LBB24_683
; %bb.680:
	global_load_dwordx2 v[6:7], v[2:3], off
	s_mov_b64 s[0:1], 0
	s_waitcnt vmcnt(0)
	v_xor_b32_e32 v5, v6, v7
	v_ffbh_i32_e32 v1, v7
	v_ashrrev_i32_e32 v5, 31, v5
	v_add_u32_e32 v1, -1, v1
	v_add_u32_e32 v5, 32, v5
	v_min_u32_e32 v1, v1, v5
	v_lshlrev_b64 v[6:7], v1, v[6:7]
	v_min_u32_e32 v5, 1, v6
	v_or_b32_e32 v5, v7, v5
	v_cvt_f32_i32_e32 v5, v5
	v_sub_u32_e32 v1, 32, v1
	v_ldexp_f32 v1, v5, v1
	v_cvt_f16_f32_e32 v5, v1
	s_branch .LBB24_684
.LBB24_681:
	s_mov_b64 s[0:1], -1
                                        ; implicit-def: $vgpr5
	s_branch .LBB24_690
.LBB24_682:
	s_mov_b64 s[0:1], -1
                                        ; implicit-def: $vgpr5
	s_branch .LBB24_687
.LBB24_683:
	s_mov_b64 s[0:1], -1
                                        ; implicit-def: $vgpr5
.LBB24_684:
	s_andn2_b64 vcc, exec, s[0:1]
	s_cbranch_vccnz .LBB24_686
; %bb.685:
	global_load_dword v1, v[2:3], off
	s_waitcnt vmcnt(0)
	v_cvt_f32_i32_e32 v1, v1
	v_cvt_f16_f32_e32 v5, v1
.LBB24_686:
	s_mov_b64 s[0:1], 0
.LBB24_687:
	s_andn2_b64 vcc, exec, s[0:1]
	s_cbranch_vccnz .LBB24_689
; %bb.688:
	global_load_ushort v1, v[2:3], off
	s_waitcnt vmcnt(0)
	v_cvt_f16_i16_e32 v5, v1
.LBB24_689:
	s_mov_b64 s[0:1], 0
.LBB24_690:
	s_andn2_b64 vcc, exec, s[0:1]
	s_cbranch_vccnz .LBB24_696
; %bb.691:
	v_cmp_lt_i16_e32 vcc, 0, v4
	s_cbranch_vccz .LBB24_693
; %bb.692:
	global_load_sbyte v1, v[2:3], off
	s_mov_b64 s[0:1], 0
	s_waitcnt vmcnt(0)
	v_cvt_f16_i16_e32 v5, v1
	s_branch .LBB24_694
.LBB24_693:
	s_mov_b64 s[0:1], -1
                                        ; implicit-def: $vgpr5
.LBB24_694:
	s_andn2_b64 vcc, exec, s[0:1]
	s_cbranch_vccnz .LBB24_696
; %bb.695:
	global_load_ubyte v1, v[2:3], off
	s_waitcnt vmcnt(0)
	v_cvt_f16_u16_e32 v5, v1
.LBB24_696:
	s_mov_b64 s[0:1], -1
.LBB24_697:
	s_andn2_b64 vcc, exec, s[0:1]
	s_cbranch_vccnz .LBB24_707
; %bb.698:
	s_waitcnt vmcnt(0)
	v_cvt_f32_f16_e32 v2, v5
	s_mov_b32 s0, 0x7f800000
	v_cmp_nlg_f32_e64 s[16:17], |v2|, s0
	s_and_saveexec_b64 s[0:1], s[16:17]
	s_cbranch_execz .LBB24_700
; %bb.699:
	v_mov_b32_e32 v1, 0
	v_mov_b32_e32 v3, 1.0
	global_store_dword v1, v3, s[12:13]
.LBB24_700:
	s_or_b64 exec, exec, s[0:1]
	v_mov_b32_e32 v1, 0
	global_load_dword v3, v1, s[14:15]
	v_mov_b32_e32 v1, s9
	v_mov_b32_e32 v6, 11
	v_add_co_u32_e32 v0, vcc, s8, v0
	v_addc_co_u32_e32 v1, vcc, 0, v1, vcc
	v_cmp_lt_i16_sdwa s[0:1], s79, v6 src0_sel:BYTE_0 src1_sel:DWORD
	s_and_b64 vcc, exec, s[0:1]
	s_waitcnt vmcnt(0)
	v_fma_mixlo_f16 v2, v3, v2, 0
	v_cmp_eq_f32_e64 s[0:1], 1.0, v3
	v_cndmask_b32_e64 v2, v2, v5, s[0:1]
	s_cbranch_vccnz .LBB24_708
; %bb.701:
	v_mov_b32_e32 v3, 25
	v_cmp_gt_i16_sdwa s[0:1], s79, v3 src0_sel:BYTE_0 src1_sel:DWORD
	s_and_b64 vcc, exec, s[0:1]
	s_cbranch_vccz .LBB24_709
; %bb.702:
	v_mov_b32_e32 v3, 28
	v_cmp_gt_i16_sdwa s[0:1], s79, v3 src0_sel:BYTE_0 src1_sel:DWORD
	s_and_b64 vcc, exec, s[0:1]
	s_cbranch_vccz .LBB24_710
	;; [unrolled: 5-line block ×4, first 2 shown]
; %bb.705:
	v_mov_b32_e32 v3, 46
	v_cmp_eq_u16_sdwa s[16:17], s79, v3 src0_sel:BYTE_0 src1_sel:DWORD
	s_mov_b64 s[18:19], 0
	s_mov_b64 s[0:1], -1
	s_and_b64 vcc, exec, s[16:17]
	s_mov_b64 s[16:17], 0
	s_cbranch_vccz .LBB24_713
; %bb.706:
	v_cvt_f32_f16_e32 v3, v2
	s_movk_i32 s0, 0x7fff
	v_mov_b32_e32 v5, 0x7fc0
	v_cmp_o_f16_e32 vcc, v2, v2
	v_bfe_u32 v6, v3, 16, 1
	v_add3_u32 v3, v3, v6, s0
	v_lshrrev_b32_e32 v3, 16, v3
	v_cndmask_b32_e32 v3, v5, v3, vcc
	global_store_dword v[0:1], v3, off
	s_mov_b64 s[16:17], -1
	s_mov_b64 s[0:1], 0
	s_branch .LBB24_713
.LBB24_707:
	s_mov_b64 s[16:17], 0
	s_mov_b64 s[0:1], s[64:65]
	s_branch .LBB24_824
.LBB24_708:
	s_mov_b64 s[18:19], -1
	s_mov_b64 s[16:17], 0
	s_mov_b64 s[0:1], s[64:65]
	s_branch .LBB24_782
.LBB24_709:
	s_mov_b64 s[18:19], -1
	s_mov_b64 s[16:17], 0
	s_mov_b64 s[0:1], s[64:65]
	s_branch .LBB24_740
.LBB24_710:
	s_mov_b64 s[18:19], -1
	s_mov_b64 s[16:17], 0
	s_mov_b64 s[0:1], s[64:65]
	s_branch .LBB24_723
.LBB24_711:
	s_mov_b64 s[18:19], -1
	s_mov_b64 s[16:17], 0
	s_mov_b64 s[0:1], s[64:65]
	s_branch .LBB24_719
.LBB24_712:
	s_mov_b64 s[18:19], -1
	s_mov_b64 s[16:17], 0
	s_mov_b64 s[0:1], s[64:65]
.LBB24_713:
	s_and_b64 vcc, exec, s[18:19]
	s_cbranch_vccz .LBB24_718
; %bb.714:
	v_mov_b32_e32 v3, 44
	v_cmp_eq_u16_sdwa s[18:19], s79, v3 src0_sel:BYTE_0 src1_sel:DWORD
	s_mov_b64 s[0:1], -1
	s_and_b64 vcc, exec, s[18:19]
	s_cbranch_vccz .LBB24_718
; %bb.715:
	v_cvt_f32_f16_e32 v3, v2
	s_movk_i32 s0, 0xff
	v_mov_b32_e32 v6, 0xff
	v_bfe_u32 v5, v3, 23, 8
	v_cmp_ne_u32_e32 vcc, s0, v5
	s_and_saveexec_b64 s[16:17], vcc
; %bb.716:
	s_mov_b32 s0, 0x3fffff
	v_lshrrev_b32_e32 v6, 23, v3
	v_and_b32_e32 v7, 0x400000, v3
	v_and_or_b32 v3, v3, s0, v5
	v_cmp_ne_u32_e32 vcc, 0, v7
	v_cmp_ne_u32_e64 s[0:1], 0, v3
	s_and_b64 s[0:1], vcc, s[0:1]
	v_cndmask_b32_e64 v3, 0, 1, s[0:1]
	v_add_u32_e32 v6, v6, v3
; %bb.717:
	s_or_b64 exec, exec, s[16:17]
	s_mov_b64 s[16:17], -1
	s_mov_b64 s[0:1], 0
	global_store_byte v[0:1], v6, off
.LBB24_718:
	s_mov_b64 s[18:19], 0
.LBB24_719:
	s_and_b64 vcc, exec, s[18:19]
	s_cbranch_vccz .LBB24_722
; %bb.720:
	v_mov_b32_e32 v3, 29
	v_cmp_eq_u16_sdwa s[18:19], s79, v3 src0_sel:BYTE_0 src1_sel:DWORD
	s_mov_b64 s[0:1], -1
	s_and_b64 vcc, exec, s[18:19]
	s_cbranch_vccz .LBB24_722
; %bb.721:
	v_cvt_f32_f16_e32 v3, v2
	v_mov_b32_e32 v7, 0
	s_mov_b64 s[16:17], -1
	s_mov_b64 s[0:1], 0
	v_cvt_u32_f32_e32 v6, v3
	s_mov_b64 s[18:19], 0
	global_store_dwordx2 v[0:1], v[6:7], off
	s_branch .LBB24_723
.LBB24_722:
	s_mov_b64 s[18:19], 0
.LBB24_723:
	s_and_b64 vcc, exec, s[18:19]
	s_cbranch_vccz .LBB24_739
; %bb.724:
	v_mov_b32_e32 v3, 27
	v_cmp_lt_i16_sdwa s[18:19], s79, v3 src0_sel:BYTE_0 src1_sel:DWORD
	s_mov_b64 s[16:17], -1
	s_and_b64 vcc, exec, s[18:19]
	s_cbranch_vccnz .LBB24_730
; %bb.725:
	v_cmp_gt_i16_sdwa s[18:19], s79, v3 src0_sel:BYTE_0 src1_sel:DWORD
	s_and_b64 vcc, exec, s[18:19]
	s_cbranch_vccz .LBB24_727
; %bb.726:
	v_cvt_f32_f16_e32 v3, v2
	s_mov_b64 s[16:17], 0
	v_cvt_u32_f32_e32 v3, v3
	global_store_dword v[0:1], v3, off
.LBB24_727:
	s_andn2_b64 vcc, exec, s[16:17]
	s_cbranch_vccnz .LBB24_729
; %bb.728:
	v_cvt_u16_f16_e32 v3, v2
	global_store_short v[0:1], v3, off
.LBB24_729:
	s_mov_b64 s[16:17], 0
.LBB24_730:
	s_andn2_b64 vcc, exec, s[16:17]
	s_cbranch_vccnz .LBB24_738
; %bb.731:
	v_cvt_f32_f16_e32 v3, v2
	s_mov_b32 s16, 0x43800000
	v_mov_b32_e32 v6, 0x80
	v_and_b32_e32 v5, 0x7fffffff, v3
	v_cmp_gt_u32_e32 vcc, s16, v5
	s_and_saveexec_b64 s[16:17], vcc
	s_cbranch_execz .LBB24_737
; %bb.732:
	s_mov_b32 s18, 0x3bffffff
	v_cmp_lt_u32_e32 vcc, s18, v5
	s_mov_b64 s[18:19], 0
                                        ; implicit-def: $vgpr5
	s_and_saveexec_b64 s[20:21], vcc
	s_xor_b64 s[20:21], exec, s[20:21]
	s_cbranch_execz .LBB24_855
; %bb.733:
	v_bfe_u32 v5, v3, 20, 1
	s_mov_b32 s22, 0x487ffff
	v_add3_u32 v5, v3, v5, s22
	s_mov_b64 s[18:19], exec
	v_lshrrev_b32_e32 v5, 20, v5
	s_or_saveexec_b64 s[20:21], s[20:21]
                                        ; implicit-def: $sgpr22
	s_xor_b64 exec, exec, s[20:21]
	s_cbranch_execnz .LBB24_856
.LBB24_734:
	s_or_b64 exec, exec, s[20:21]
	v_mov_b32_e32 v6, s22
	s_and_saveexec_b64 s[20:21], s[18:19]
.LBB24_735:
	v_lshrrev_b32_e32 v3, 24, v3
	s_movk_i32 s18, 0x80
	v_and_or_b32 v6, v3, s18, v5
.LBB24_736:
	s_or_b64 exec, exec, s[20:21]
.LBB24_737:
	s_or_b64 exec, exec, s[16:17]
	global_store_byte v[0:1], v6, off
.LBB24_738:
	s_mov_b64 s[16:17], -1
.LBB24_739:
	s_mov_b64 s[18:19], 0
.LBB24_740:
	s_and_b64 vcc, exec, s[18:19]
	s_cbranch_vccz .LBB24_781
; %bb.741:
	v_mov_b32_e32 v3, 22
	v_cmp_gt_i16_sdwa s[20:21], s79, v3 src0_sel:BYTE_0 src1_sel:DWORD
	s_mov_b64 s[18:19], -1
	s_and_b64 vcc, exec, s[20:21]
	s_cbranch_vccz .LBB24_773
; %bb.742:
	v_mov_b32_e32 v3, 24
	v_cmp_lt_i16_sdwa s[18:19], s79, v3 src0_sel:BYTE_0 src1_sel:DWORD
	s_mov_b64 s[16:17], -1
	s_and_b64 vcc, exec, s[18:19]
	s_cbranch_vccnz .LBB24_762
; %bb.743:
	v_cmp_gt_i16_sdwa s[18:19], s79, v3 src0_sel:BYTE_0 src1_sel:DWORD
	s_and_b64 vcc, exec, s[18:19]
	s_cbranch_vccz .LBB24_751
; %bb.744:
	v_cvt_f32_f16_e32 v3, v2
	s_mov_b32 s16, 0x47800000
	v_mov_b32_e32 v6, 0x80
	v_and_b32_e32 v5, 0x7fffffff, v3
	v_cmp_gt_u32_e32 vcc, s16, v5
	s_and_saveexec_b64 s[16:17], vcc
	s_cbranch_execz .LBB24_750
; %bb.745:
	s_mov_b32 s18, 0x37ffffff
	v_cmp_lt_u32_e32 vcc, s18, v5
	s_mov_b64 s[18:19], 0
                                        ; implicit-def: $vgpr5
	s_and_saveexec_b64 s[20:21], vcc
	s_xor_b64 s[20:21], exec, s[20:21]
	s_cbranch_execz .LBB24_858
; %bb.746:
	v_bfe_u32 v5, v3, 21, 1
	s_mov_b32 s22, 0x88fffff
	v_add3_u32 v5, v3, v5, s22
	s_mov_b64 s[18:19], exec
	v_lshrrev_b32_e32 v5, 21, v5
	s_or_saveexec_b64 s[20:21], s[20:21]
                                        ; implicit-def: $sgpr22
	s_xor_b64 exec, exec, s[20:21]
	s_cbranch_execnz .LBB24_859
.LBB24_747:
	s_or_b64 exec, exec, s[20:21]
	v_mov_b32_e32 v6, s22
	s_and_saveexec_b64 s[20:21], s[18:19]
.LBB24_748:
	v_lshrrev_b32_e32 v3, 24, v3
	s_movk_i32 s18, 0x80
	v_and_or_b32 v6, v3, s18, v5
.LBB24_749:
	s_or_b64 exec, exec, s[20:21]
.LBB24_750:
	s_or_b64 exec, exec, s[16:17]
	s_mov_b64 s[16:17], 0
	global_store_byte v[0:1], v6, off
.LBB24_751:
	s_and_b64 vcc, exec, s[16:17]
	s_cbranch_vccz .LBB24_761
; %bb.752:
	v_cvt_f32_f16_e32 v3, v2
	s_mov_b32 s16, 0x43f00000
                                        ; implicit-def: $vgpr5
	v_and_b32_e32 v6, 0x7fffffff, v3
	v_cmp_gt_u32_e32 vcc, s16, v6
	s_and_saveexec_b64 s[16:17], vcc
	s_xor_b64 s[16:17], exec, s[16:17]
	s_cbranch_execz .LBB24_758
; %bb.753:
	s_mov_b32 s18, 0x3c7fffff
	v_cmp_lt_u32_e32 vcc, s18, v6
                                        ; implicit-def: $vgpr5
	s_and_saveexec_b64 s[18:19], vcc
	s_xor_b64 s[18:19], exec, s[18:19]
; %bb.754:
	v_bfe_u32 v5, v3, 20, 1
	s_mov_b32 s20, 0x407ffff
	v_add3_u32 v5, v3, v5, s20
	v_lshrrev_b32_e32 v6, 20, v5
	v_and_b32_e32 v5, 0xff00000, v5
	s_mov_b32 s20, 0x7f00000
	v_mov_b32_e32 v7, 0x7e
	v_cmp_ne_u32_e32 vcc, s20, v5
	v_cndmask_b32_e32 v5, v7, v6, vcc
; %bb.755:
	s_andn2_saveexec_b64 s[18:19], s[18:19]
; %bb.756:
	s_mov_b32 s20, 0x46800000
	v_add_f32_e64 v5, |v3|, s20
; %bb.757:
	s_or_b64 exec, exec, s[18:19]
                                        ; implicit-def: $vgpr6
.LBB24_758:
	s_andn2_saveexec_b64 s[16:17], s[16:17]
; %bb.759:
	s_mov_b32 s18, 0x7f800000
	v_mov_b32_e32 v5, 0x7e
	v_mov_b32_e32 v7, 0x7f
	v_cmp_lt_u32_e32 vcc, s18, v6
	v_cndmask_b32_e32 v5, v5, v7, vcc
; %bb.760:
	s_or_b64 exec, exec, s[16:17]
	v_lshrrev_b32_e32 v3, 24, v3
	s_movk_i32 s16, 0x80
	v_and_or_b32 v3, v3, s16, v5
	global_store_byte v[0:1], v3, off
.LBB24_761:
	s_mov_b64 s[16:17], 0
.LBB24_762:
	s_andn2_b64 vcc, exec, s[16:17]
	s_cbranch_vccnz .LBB24_772
; %bb.763:
	v_cvt_f32_f16_e32 v3, v2
	s_mov_b32 s16, 0x47800000
                                        ; implicit-def: $vgpr5
	v_and_b32_e32 v6, 0x7fffffff, v3
	v_cmp_gt_u32_e32 vcc, s16, v6
	s_and_saveexec_b64 s[16:17], vcc
	s_xor_b64 s[16:17], exec, s[16:17]
	s_cbranch_execz .LBB24_769
; %bb.764:
	s_mov_b32 s18, 0x387fffff
	v_cmp_lt_u32_e32 vcc, s18, v6
                                        ; implicit-def: $vgpr5
	s_and_saveexec_b64 s[18:19], vcc
	s_xor_b64 s[18:19], exec, s[18:19]
; %bb.765:
	v_bfe_u32 v5, v3, 21, 1
	s_mov_b32 s20, 0x80fffff
	v_add3_u32 v5, v3, v5, s20
	v_lshrrev_b32_e32 v5, 21, v5
; %bb.766:
	s_andn2_saveexec_b64 s[18:19], s[18:19]
; %bb.767:
	s_mov_b32 s20, 0x43000000
	v_add_f32_e64 v5, |v3|, s20
; %bb.768:
	s_or_b64 exec, exec, s[18:19]
                                        ; implicit-def: $vgpr6
.LBB24_769:
	s_andn2_saveexec_b64 s[16:17], s[16:17]
; %bb.770:
	s_mov_b32 s18, 0x7f800000
	v_mov_b32_e32 v5, 0x7c
	v_mov_b32_e32 v7, 0x7f
	v_cmp_lt_u32_e32 vcc, s18, v6
	v_cndmask_b32_e32 v5, v5, v7, vcc
; %bb.771:
	s_or_b64 exec, exec, s[16:17]
	v_lshrrev_b32_e32 v3, 24, v3
	s_movk_i32 s16, 0x80
	v_and_or_b32 v3, v3, s16, v5
	global_store_byte v[0:1], v3, off
.LBB24_772:
	s_mov_b64 s[18:19], 0
	s_mov_b64 s[16:17], -1
.LBB24_773:
	s_andn2_b64 vcc, exec, s[18:19]
	s_cbranch_vccnz .LBB24_781
; %bb.774:
	v_mov_b32_e32 v3, 14
	v_cmp_gt_i16_sdwa s[20:21], s79, v3 src0_sel:BYTE_0 src1_sel:DWORD
	s_mov_b64 s[18:19], -1
	s_and_b64 vcc, exec, s[20:21]
	s_cbranch_vccz .LBB24_778
; %bb.775:
	v_mov_b32_e32 v3, 15
	v_cmp_eq_u16_sdwa s[18:19], s79, v3 src0_sel:BYTE_0 src1_sel:DWORD
	s_mov_b64 s[0:1], -1
	s_and_b64 vcc, exec, s[18:19]
	s_cbranch_vccz .LBB24_777
; %bb.776:
	v_cvt_f32_f16_e32 v3, v2
	s_movk_i32 s0, 0x7fff
	v_mov_b32_e32 v5, 0x7fc0
	v_cmp_o_f16_e32 vcc, v2, v2
	v_bfe_u32 v6, v3, 16, 1
	v_add3_u32 v3, v3, v6, s0
	v_lshrrev_b32_e32 v3, 16, v3
	v_cndmask_b32_e32 v3, v5, v3, vcc
	global_store_short v[0:1], v3, off
	s_mov_b64 s[16:17], -1
	s_mov_b64 s[0:1], 0
.LBB24_777:
	s_mov_b64 s[18:19], 0
.LBB24_778:
	s_and_b64 vcc, exec, s[18:19]
	s_cbranch_vccz .LBB24_781
; %bb.779:
	v_mov_b32_e32 v3, 11
	v_cmp_eq_u16_sdwa s[18:19], s79, v3 src0_sel:BYTE_0 src1_sel:DWORD
	s_mov_b64 s[0:1], -1
	s_and_b64 vcc, exec, s[18:19]
	s_cbranch_vccz .LBB24_781
; %bb.780:
	v_cmp_neq_f16_e32 vcc, 0, v2
	v_cndmask_b32_e64 v3, 0, 1, vcc
	s_mov_b64 s[16:17], -1
	s_mov_b64 s[0:1], 0
	global_store_byte v[0:1], v3, off
.LBB24_781:
	s_mov_b64 s[18:19], 0
.LBB24_782:
	s_and_b64 vcc, exec, s[18:19]
	s_cbranch_vccz .LBB24_821
; %bb.783:
	v_mov_b32_e32 v3, 5
	v_cmp_lt_i16_sdwa s[18:19], s79, v3 src0_sel:BYTE_0 src1_sel:DWORD
	s_mov_b64 s[16:17], -1
	s_and_b64 vcc, exec, s[18:19]
	s_cbranch_vccnz .LBB24_804
; %bb.784:
	v_mov_b32_e32 v3, 8
	v_cmp_lt_i16_sdwa s[18:19], s79, v3 src0_sel:BYTE_0 src1_sel:DWORD
	s_and_b64 vcc, exec, s[18:19]
	s_cbranch_vccnz .LBB24_794
; %bb.785:
	v_mov_b32_e32 v3, 9
	v_cmp_lt_i16_sdwa s[18:19], s79, v3 src0_sel:BYTE_0 src1_sel:DWORD
	s_and_b64 vcc, exec, s[18:19]
	s_cbranch_vccnz .LBB24_791
; %bb.786:
	v_cmp_gt_i16_sdwa s[18:19], s79, v3 src0_sel:BYTE_0 src1_sel:DWORD
	s_and_b64 vcc, exec, s[18:19]
	s_cbranch_vccz .LBB24_788
; %bb.787:
	v_cvt_f32_f16_e32 v3, v2
	v_mov_b32_e32 v12, 0
	v_mov_b32_e32 v13, v12
	s_mov_b64 s[16:17], 0
	v_cvt_f64_f32_e32 v[10:11], v3
	global_store_dwordx4 v[0:1], v[10:13], off
.LBB24_788:
	s_andn2_b64 vcc, exec, s[16:17]
	s_cbranch_vccnz .LBB24_790
; %bb.789:
	v_cvt_f32_f16_e32 v6, v2
	v_mov_b32_e32 v7, 0
	global_store_dwordx2 v[0:1], v[6:7], off
.LBB24_790:
	s_mov_b64 s[16:17], 0
.LBB24_791:
	s_andn2_b64 vcc, exec, s[16:17]
	s_cbranch_vccnz .LBB24_793
; %bb.792:
	v_and_b32_e32 v3, 0xffff, v2
	global_store_dword v[0:1], v3, off
.LBB24_793:
	s_mov_b64 s[16:17], 0
.LBB24_794:
	s_andn2_b64 vcc, exec, s[16:17]
	s_cbranch_vccnz .LBB24_803
; %bb.795:
	v_mov_b32_e32 v3, 6
	v_cmp_lt_i16_sdwa s[18:19], s79, v3 src0_sel:BYTE_0 src1_sel:DWORD
	s_mov_b64 s[16:17], -1
	s_and_b64 vcc, exec, s[18:19]
	s_cbranch_vccnz .LBB24_801
; %bb.796:
	v_cmp_gt_i16_sdwa s[18:19], s79, v3 src0_sel:BYTE_0 src1_sel:DWORD
	s_and_b64 vcc, exec, s[18:19]
	s_cbranch_vccz .LBB24_798
; %bb.797:
	v_cvt_f32_f16_e32 v3, v2
	s_mov_b64 s[16:17], 0
	v_cvt_f64_f32_e32 v[6:7], v3
	global_store_dwordx2 v[0:1], v[6:7], off
.LBB24_798:
	s_andn2_b64 vcc, exec, s[16:17]
	s_cbranch_vccnz .LBB24_800
; %bb.799:
	v_cvt_f32_f16_e32 v3, v2
	global_store_dword v[0:1], v3, off
.LBB24_800:
	s_mov_b64 s[16:17], 0
.LBB24_801:
	s_andn2_b64 vcc, exec, s[16:17]
	s_cbranch_vccnz .LBB24_803
; %bb.802:
	global_store_short v[0:1], v2, off
.LBB24_803:
	s_mov_b64 s[16:17], 0
.LBB24_804:
	s_andn2_b64 vcc, exec, s[16:17]
	s_cbranch_vccnz .LBB24_820
; %bb.805:
	v_mov_b32_e32 v3, 2
	v_cmp_lt_i16_sdwa s[18:19], s79, v3 src0_sel:BYTE_0 src1_sel:DWORD
	s_mov_b64 s[16:17], -1
	s_and_b64 vcc, exec, s[18:19]
	s_cbranch_vccnz .LBB24_815
; %bb.806:
	v_mov_b32_e32 v3, 3
	v_cmp_lt_i16_sdwa s[18:19], s79, v3 src0_sel:BYTE_0 src1_sel:DWORD
	s_and_b64 vcc, exec, s[18:19]
	s_cbranch_vccnz .LBB24_812
; %bb.807:
	v_cmp_gt_i16_sdwa s[18:19], s79, v3 src0_sel:BYTE_0 src1_sel:DWORD
	s_and_b64 vcc, exec, s[18:19]
	s_cbranch_vccz .LBB24_809
; %bb.808:
	v_cvt_f32_f16_e32 v3, v2
	s_mov_b64 s[16:17], 0
	v_cvt_i32_f32_e32 v6, v3
	v_ashrrev_i32_e32 v7, 31, v6
	global_store_dwordx2 v[0:1], v[6:7], off
.LBB24_809:
	s_andn2_b64 vcc, exec, s[16:17]
	s_cbranch_vccnz .LBB24_811
; %bb.810:
	v_cvt_f32_f16_e32 v3, v2
	v_cvt_i32_f32_e32 v3, v3
	global_store_dword v[0:1], v3, off
.LBB24_811:
	s_mov_b64 s[16:17], 0
.LBB24_812:
	s_andn2_b64 vcc, exec, s[16:17]
	s_cbranch_vccnz .LBB24_814
; %bb.813:
	v_cvt_i16_f16_e32 v3, v2
	global_store_short v[0:1], v3, off
.LBB24_814:
	s_mov_b64 s[16:17], 0
.LBB24_815:
	s_andn2_b64 vcc, exec, s[16:17]
	s_cbranch_vccnz .LBB24_820
; %bb.816:
	v_mov_b32_e32 v3, 0
	v_cmp_gt_i16_sdwa s[18:19], s79, v3 src0_sel:BYTE_0 src1_sel:DWORD
	s_mov_b64 s[16:17], -1
	s_and_b64 vcc, exec, s[18:19]
	s_cbranch_vccz .LBB24_818
; %bb.817:
	v_cvt_i16_f16_e32 v3, v2
	s_mov_b64 s[16:17], 0
	global_store_byte v[0:1], v3, off
.LBB24_818:
	s_andn2_b64 vcc, exec, s[16:17]
	s_cbranch_vccnz .LBB24_820
; %bb.819:
	v_cvt_f32_f16_e32 v2, v2
	v_cvt_i32_f32_e32 v2, v2
	global_store_byte v[0:1], v2, off
.LBB24_820:
	s_mov_b64 s[16:17], -1
.LBB24_821:
	s_andn2_b64 vcc, exec, s[16:17]
	s_cbranch_vccnz .LBB24_823
; %bb.822:
	v_add_u32_e32 v8, 0x80, v8
	s_mov_b64 s[16:17], -1
	s_branch .LBB24_825
.LBB24_823:
	s_mov_b64 s[16:17], 0
.LBB24_824:
                                        ; implicit-def: $vgpr8
.LBB24_825:
	s_andn2_b64 s[18:19], s[64:65], exec
	s_and_b64 s[0:1], s[0:1], exec
	s_or_b64 s[72:73], s[18:19], s[0:1]
	s_andn2_b64 s[0:1], s[62:63], exec
	s_and_b64 s[2:3], s[2:3], exec
	s_or_b64 s[70:71], s[0:1], s[2:3]
	s_orn2_b64 s[2:3], s[16:17], exec
.LBB24_826:
	s_or_b64 exec, exec, s[68:69]
	s_mov_b64 s[0:1], 0
	s_mov_b64 s[16:17], 0
	;; [unrolled: 1-line block ×3, first 2 shown]
                                        ; implicit-def: $vgpr2_vgpr3
                                        ; implicit-def: $vgpr0
                                        ; implicit-def: $vgpr5
	s_and_saveexec_b64 s[68:69], s[2:3]
	s_cbranch_execz .LBB24_926
; %bb.827:
	v_cmp_gt_i32_e32 vcc, s76, v8
	s_mov_b64 s[2:3], 0
	s_mov_b64 s[20:21], s[70:71]
                                        ; implicit-def: $vgpr2_vgpr3
                                        ; implicit-def: $vgpr0
                                        ; implicit-def: $vgpr5
	s_and_saveexec_b64 s[74:75], vcc
	s_cbranch_execz .LBB24_925
; %bb.828:
	s_andn2_b64 vcc, exec, s[44:45]
	s_cbranch_vccnz .LBB24_834
; %bb.829:
	s_mov_b32 s76, 0
	s_andn2_b64 vcc, exec, s[54:55]
	v_mov_b32_e32 v2, 0
	v_mov_b32_e32 v0, 0
	s_cbranch_vccnz .LBB24_840
; %bb.830:
	s_add_i32 s80, s77, 1
	s_cmp_eq_u32 s78, 2
	s_cbranch_scc1 .LBB24_835
; %bb.831:
	s_and_b32 s76, s80, 28
	s_mov_b32 s77, 0
	v_mov_b32_e32 v0, 0
	s_mov_b64 s[54:55], s[34:35]
	v_mov_b32_e32 v3, v8
	v_mov_b32_e32 v2, 0
.LBB24_832:                             ; =>This Inner Loop Header: Depth=1
	s_load_dwordx8 s[24:31], s[54:55], 0x4
	s_load_dwordx4 s[0:3], s[54:55], 0x24
	s_load_dwordx8 s[16:23], s[52:53], 0x0
	s_add_u32 s54, s54, 48
	s_addc_u32 s55, s55, 0
	s_waitcnt lgkmcnt(0)
	v_mul_hi_u32 v1, s25, v3
	v_add_u32_e32 v1, v3, v1
	v_lshrrev_b32_e32 v1, s26, v1
	s_waitcnt vmcnt(0)
	v_mul_lo_u32 v5, v1, s24
	v_mul_hi_u32 v6, s28, v1
	v_sub_u32_e32 v3, v3, v5
	v_add_u32_e32 v5, v1, v6
	v_lshrrev_b32_e32 v5, s29, v5
	v_mul_lo_u32 v7, v5, s27
	v_mul_hi_u32 v9, s31, v5
	v_sub_u32_e32 v1, v1, v7
	v_add_u32_e32 v7, v5, v9
	v_mul_lo_u32 v6, v3, s17
	v_mul_lo_u32 v3, v3, s16
	;; [unrolled: 1-line block ×4, first 2 shown]
	v_lshrrev_b32_e32 v7, s0, v7
	v_add3_u32 v0, v3, v0, v1
	v_mul_hi_u32 v3, s2, v7
	v_add_u32_e32 v3, v7, v3
	v_lshrrev_b32_e32 v3, s3, v3
	s_add_i32 s77, s77, 4
	v_add3_u32 v1, v6, v2, v9
	v_mul_lo_u32 v2, v7, s30
	v_mul_lo_u32 v6, v3, s1
	s_add_u32 s52, s52, 32
	v_sub_u32_e32 v2, v5, v2
	v_sub_u32_e32 v6, v7, v6
	s_addc_u32 s53, s53, 0
	v_mul_lo_u32 v5, v2, s20
	v_mul_lo_u32 v2, v2, s21
	;; [unrolled: 1-line block ×4, first 2 shown]
	s_cmp_eq_u32 s76, s77
	v_add3_u32 v2, v2, v1, v6
	v_add3_u32 v0, v5, v0, v7
	s_cbranch_scc0 .LBB24_832
; %bb.833:
	v_mov_b32_e32 v1, v2
	s_branch .LBB24_836
.LBB24_834:
	s_mov_b64 s[0:1], -1
                                        ; implicit-def: $vgpr2
                                        ; implicit-def: $vgpr0
	s_branch .LBB24_841
.LBB24_835:
	s_mov_b32 s77, s76
	v_pk_mov_b32 v[0:1], s[76:77], s[76:77] op_sel:[0,1]
                                        ; implicit-def: $vgpr2
	v_mov_b32_e32 v3, v8
.LBB24_836:
	s_and_b32 s16, s80, 3
	s_cmp_eq_u32 s16, 0
	s_cbranch_scc1 .LBB24_840
; %bb.837:
	s_lshl_b32 s0, s76, 3
	s_add_u32 s0, s0, s34
	s_addc_u32 s1, s35, 0
	s_add_u32 s0, s0, 0xc4
	s_addc_u32 s1, s1, 0
	s_mul_i32 s2, s76, 12
	s_add_u32 s2, s34, s2
	s_addc_u32 s3, s35, 0
.LBB24_838:                             ; =>This Inner Loop Header: Depth=1
	s_load_dwordx2 s[18:19], s[2:3], 0x4
	s_load_dword s17, s[2:3], 0xc
	s_load_dwordx2 s[20:21], s[0:1], 0x0
	v_mov_b32_e32 v2, v1
	s_add_u32 s2, s2, 12
	s_waitcnt lgkmcnt(0)
	v_mul_hi_u32 v1, s19, v3
	v_add_u32_e32 v1, v3, v1
	v_lshrrev_b32_e32 v1, s17, v1
	s_addc_u32 s3, s3, 0
	s_waitcnt vmcnt(0)
	v_mul_lo_u32 v5, v1, s18
	s_add_u32 s0, s0, 8
	v_sub_u32_e32 v5, v3, v5
	v_mov_b32_e32 v3, v1
	s_addc_u32 s1, s1, 0
	s_add_i32 s16, s16, -1
	v_mad_u64_u32 v[6:7], s[18:19], v5, s21, v[2:3]
	v_mad_u64_u32 v[0:1], s[18:19], v5, s20, v[0:1]
	s_cmp_lg_u32 s16, 0
	v_mov_b32_e32 v1, v6
	s_cbranch_scc1 .LBB24_838
; %bb.839:
	v_mov_b32_e32 v2, v1
.LBB24_840:
	s_mov_b64 s[0:1], 0
.LBB24_841:
	s_andn2_b64 vcc, exec, s[0:1]
	s_cbranch_vccnz .LBB24_844
; %bb.842:
	v_mul_hi_u32 v0, s37, v8
	v_add_u32_e32 v0, v8, v0
	v_lshrrev_b32_e32 v1, s38, v0
	v_mul_lo_u32 v0, v1, s36
	v_sub_u32_e32 v0, v8, v0
	v_mul_lo_u32 v2, v0, s41
	s_andn2_b64 vcc, exec, s[50:51]
	v_mul_lo_u32 v0, v0, s40
	s_cbranch_vccnz .LBB24_844
; %bb.843:
	v_mul_hi_u32 v3, s48, v1
	v_add_u32_e32 v3, v1, v3
	v_lshrrev_b32_e32 v3, s49, v3
	v_mul_lo_u32 v3, v3, s39
	v_sub_u32_e32 v3, v1, v3
	v_mad_u64_u32 v[0:1], s[0:1], v3, s42, v[0:1]
	v_mad_u64_u32 v[2:3], s[0:1], v3, s43, v[2:3]
.LBB24_844:
	v_mov_b32_e32 v1, s11
	v_add_co_u32_e32 v2, vcc, s10, v2
	v_addc_co_u32_e32 v3, vcc, 0, v1, vcc
	v_cmp_gt_i16_e32 vcc, 11, v4
	s_cbranch_vccnz .LBB24_851
; %bb.845:
	v_cmp_lt_i16_e32 vcc, 25, v4
	s_mov_b64 s[2:3], 0
	s_cbranch_vccz .LBB24_852
; %bb.846:
	v_cmp_lt_i16_e32 vcc, 28, v4
	s_cbranch_vccz .LBB24_853
; %bb.847:
	v_cmp_lt_i16_e32 vcc, 43, v4
	;; [unrolled: 3-line block ×3, first 2 shown]
	s_cbranch_vccz .LBB24_857
; %bb.849:
	v_cmp_eq_u16_e32 vcc, 46, v4
	s_mov_b64 s[16:17], 0
	s_cbranch_vccz .LBB24_860
; %bb.850:
	global_load_dword v1, v[2:3], off
	s_mov_b64 s[0:1], 0
	s_mov_b64 s[10:11], -1
	s_waitcnt vmcnt(0)
	v_lshlrev_b32_e32 v1, 16, v1
	v_cvt_f16_f32_e32 v5, v1
	s_branch .LBB24_861
.LBB24_851:
	s_mov_b64 s[16:17], -1
	s_mov_b64 s[10:11], 0
	s_mov_b64 s[2:3], 0
	;; [unrolled: 1-line block ×3, first 2 shown]
                                        ; implicit-def: $vgpr5
	s_branch .LBB24_924
.LBB24_852:
	s_mov_b64 s[16:17], -1
	s_mov_b64 s[10:11], 0
	s_mov_b64 s[0:1], s[70:71]
                                        ; implicit-def: $vgpr5
	s_branch .LBB24_890
.LBB24_853:
	s_mov_b64 s[16:17], -1
	s_mov_b64 s[10:11], 0
	s_mov_b64 s[0:1], s[70:71]
                                        ; implicit-def: $vgpr5
	s_branch .LBB24_871
.LBB24_854:
	s_mov_b64 s[16:17], -1
	s_mov_b64 s[10:11], 0
	s_mov_b64 s[0:1], s[70:71]
                                        ; implicit-def: $vgpr5
	s_branch .LBB24_866
.LBB24_855:
	s_or_saveexec_b64 s[20:21], s[20:21]
                                        ; implicit-def: $sgpr22
	s_xor_b64 exec, exec, s[20:21]
	s_cbranch_execz .LBB24_734
.LBB24_856:
	s_mov_b32 s22, 0x46000000
	v_add_f32_e64 v5, |v3|, s22
	v_and_b32_e32 v5, 0xff, v5
	v_cmp_ne_u32_e32 vcc, 0, v5
	s_andn2_b64 s[18:19], s[18:19], exec
	s_and_b64 s[24:25], vcc, exec
	s_mov_b32 s22, 0
	s_or_b64 s[18:19], s[18:19], s[24:25]
	s_or_b64 exec, exec, s[20:21]
	v_mov_b32_e32 v6, s22
	s_and_saveexec_b64 s[20:21], s[18:19]
	s_cbranch_execnz .LBB24_735
	s_branch .LBB24_736
.LBB24_857:
	s_mov_b64 s[16:17], -1
	s_mov_b64 s[10:11], 0
	s_mov_b64 s[0:1], s[70:71]
                                        ; implicit-def: $vgpr5
	s_branch .LBB24_861
.LBB24_858:
	s_or_saveexec_b64 s[20:21], s[20:21]
                                        ; implicit-def: $sgpr22
	s_xor_b64 exec, exec, s[20:21]
	s_cbranch_execz .LBB24_747
.LBB24_859:
	s_mov_b32 s22, 0x42800000
	v_add_f32_e64 v5, |v3|, s22
	v_and_b32_e32 v5, 0xff, v5
	v_cmp_ne_u32_e32 vcc, 0, v5
	s_andn2_b64 s[18:19], s[18:19], exec
	s_and_b64 s[24:25], vcc, exec
	s_mov_b32 s22, 0
	s_or_b64 s[18:19], s[18:19], s[24:25]
	s_or_b64 exec, exec, s[20:21]
	v_mov_b32_e32 v6, s22
	s_and_saveexec_b64 s[20:21], s[18:19]
	s_cbranch_execnz .LBB24_748
	s_branch .LBB24_749
.LBB24_860:
	s_mov_b64 s[0:1], -1
                                        ; implicit-def: $vgpr5
	s_mov_b64 s[10:11], 0
.LBB24_861:
	s_and_b64 vcc, exec, s[16:17]
	s_cbranch_vccz .LBB24_865
; %bb.862:
	v_cmp_eq_u16_e32 vcc, 44, v4
	s_cbranch_vccz .LBB24_864
; %bb.863:
	global_load_ubyte v1, v[2:3], off
	s_movk_i32 s10, 0xff
	v_mov_b32_e32 v6, 0x7e00
	s_mov_b64 s[0:1], 0
	s_waitcnt vmcnt(0)
	v_lshlrev_b32_e32 v5, 23, v1
	v_cvt_f16_f32_e32 v5, v5
	v_cmp_ne_u32_e32 vcc, s10, v1
	s_mov_b64 s[10:11], -1
	v_cndmask_b32_e32 v5, v6, v5, vcc
	v_cmp_ne_u32_e32 vcc, 0, v1
	v_cndmask_b32_e32 v5, 0, v5, vcc
	s_branch .LBB24_865
.LBB24_864:
	s_mov_b64 s[0:1], -1
                                        ; implicit-def: $vgpr5
.LBB24_865:
	s_mov_b64 s[16:17], 0
.LBB24_866:
	s_and_b64 vcc, exec, s[16:17]
	s_cbranch_vccz .LBB24_870
; %bb.867:
	v_cmp_eq_u16_e32 vcc, 29, v4
	s_cbranch_vccz .LBB24_869
; %bb.868:
	global_load_dwordx2 v[6:7], v[2:3], off
	s_mov_b64 s[0:1], 0
	s_mov_b64 s[10:11], -1
	s_mov_b64 s[16:17], 0
	s_waitcnt vmcnt(0)
	v_ffbh_u32_e32 v1, v7
	v_min_u32_e32 v1, 32, v1
	v_lshlrev_b64 v[6:7], v1, v[6:7]
	v_min_u32_e32 v5, 1, v6
	v_or_b32_e32 v5, v7, v5
	v_cvt_f32_u32_e32 v5, v5
	v_sub_u32_e32 v1, 32, v1
	v_ldexp_f32 v1, v5, v1
	v_cvt_f16_f32_e32 v5, v1
	s_branch .LBB24_871
.LBB24_869:
	s_mov_b64 s[0:1], -1
                                        ; implicit-def: $vgpr5
.LBB24_870:
	s_mov_b64 s[16:17], 0
.LBB24_871:
	s_and_b64 vcc, exec, s[16:17]
	s_cbranch_vccz .LBB24_889
; %bb.872:
	v_cmp_gt_i16_e32 vcc, 27, v4
	s_cbranch_vccnz .LBB24_875
; %bb.873:
	v_cmp_lt_i16_e32 vcc, 27, v4
	s_cbranch_vccz .LBB24_876
; %bb.874:
	global_load_dword v1, v[2:3], off
	s_mov_b64 s[10:11], 0
	s_waitcnt vmcnt(0)
	v_cvt_f32_u32_e32 v1, v1
	v_cvt_f16_f32_e32 v5, v1
	s_branch .LBB24_877
.LBB24_875:
	s_mov_b64 s[10:11], -1
                                        ; implicit-def: $vgpr5
	s_branch .LBB24_880
.LBB24_876:
	s_mov_b64 s[10:11], -1
                                        ; implicit-def: $vgpr5
.LBB24_877:
	s_andn2_b64 vcc, exec, s[10:11]
	s_cbranch_vccnz .LBB24_879
; %bb.878:
	global_load_ushort v1, v[2:3], off
	s_waitcnt vmcnt(0)
	v_cvt_f16_u16_e32 v5, v1
.LBB24_879:
	s_mov_b64 s[10:11], 0
.LBB24_880:
	s_andn2_b64 vcc, exec, s[10:11]
	s_cbranch_vccnz .LBB24_888
; %bb.881:
	global_load_ubyte v1, v[2:3], off
	s_movk_i32 s10, 0x7f
                                        ; implicit-def: $sgpr20
	s_waitcnt vmcnt(0)
	v_cmp_lt_i16_e32 vcc, s10, v1
	s_mov_b64 s[10:11], 0
	s_and_saveexec_b64 s[16:17], vcc
	s_xor_b64 s[16:17], exec, s[16:17]
	s_cbranch_execz .LBB24_902
; %bb.882:
	s_movk_i32 s10, 0x80
	v_cmp_eq_u16_e32 vcc, s10, v1
	s_mov_b64 s[10:11], -1
                                        ; implicit-def: $sgpr20
	s_and_saveexec_b64 s[18:19], vcc
; %bb.883:
	s_movk_i32 s20, 0x7e00
	s_xor_b64 s[10:11], exec, -1
; %bb.884:
	s_or_b64 exec, exec, s[18:19]
	s_and_b64 s[10:11], s[10:11], exec
	s_or_saveexec_b64 s[16:17], s[16:17]
	v_mov_b32_e32 v5, s20
	s_xor_b64 exec, exec, s[16:17]
	s_cbranch_execnz .LBB24_903
.LBB24_885:
	s_or_b64 exec, exec, s[16:17]
	s_and_saveexec_b64 s[16:17], s[10:11]
	s_cbranch_execz .LBB24_887
.LBB24_886:
	v_lshlrev_b32_e32 v5, 24, v1
	v_and_b32_e32 v1, 0xffff, v1
	v_and_b32_e32 v6, 7, v1
	v_ffbh_u32_e32 v8, v6
	v_min_u32_e32 v8, 32, v8
	v_subrev_u32_e32 v9, 28, v8
	v_bfe_u32 v7, v1, 3, 4
	v_lshlrev_b32_e32 v1, v9, v1
	v_sub_u32_e32 v8, 29, v8
	v_and_b32_e32 v1, 7, v1
	v_cmp_eq_u32_e32 vcc, 0, v7
	v_cndmask_b32_e32 v7, v7, v8, vcc
	v_cndmask_b32_e32 v1, v6, v1, vcc
	v_mov_b32_e32 v6, 0x3b800000
	v_lshlrev_b32_e32 v1, 20, v1
	v_and_b32_e32 v5, 0x80000000, v5
	v_lshl_add_u32 v6, v7, 23, v6
	v_or3_b32 v1, v5, v6, v1
	v_cvt_f16_f32_e32 v5, v1
.LBB24_887:
	s_or_b64 exec, exec, s[16:17]
.LBB24_888:
	s_mov_b64 s[10:11], -1
.LBB24_889:
	s_mov_b64 s[16:17], 0
.LBB24_890:
	s_and_b64 vcc, exec, s[16:17]
	s_cbranch_vccz .LBB24_923
; %bb.891:
	v_cmp_lt_i16_e32 vcc, 22, v4
	s_cbranch_vccz .LBB24_901
; %bb.892:
	v_cmp_gt_i16_e32 vcc, 24, v4
	s_cbranch_vccnz .LBB24_904
; %bb.893:
	v_cmp_lt_i16_e32 vcc, 24, v4
	s_cbranch_vccz .LBB24_905
; %bb.894:
	global_load_ubyte v1, v[2:3], off
	s_movk_i32 s2, 0x7f
                                        ; implicit-def: $sgpr18
	s_waitcnt vmcnt(0)
	v_cmp_lt_i16_e32 vcc, s2, v1
	s_mov_b64 s[2:3], 0
	s_and_saveexec_b64 s[10:11], vcc
	s_xor_b64 s[10:11], exec, s[10:11]
	s_cbranch_execz .LBB24_917
; %bb.895:
	s_movk_i32 s2, 0x80
	v_cmp_eq_u16_e32 vcc, s2, v1
	s_mov_b64 s[2:3], -1
                                        ; implicit-def: $sgpr18
	s_and_saveexec_b64 s[16:17], vcc
; %bb.896:
	s_movk_i32 s18, 0x7e00
	s_xor_b64 s[2:3], exec, -1
; %bb.897:
	s_or_b64 exec, exec, s[16:17]
	s_and_b64 s[2:3], s[2:3], exec
	s_or_saveexec_b64 s[10:11], s[10:11]
	v_mov_b32_e32 v5, s18
	s_xor_b64 exec, exec, s[10:11]
	s_cbranch_execnz .LBB24_918
.LBB24_898:
	s_or_b64 exec, exec, s[10:11]
	s_and_saveexec_b64 s[10:11], s[2:3]
	s_cbranch_execz .LBB24_900
.LBB24_899:
	v_lshlrev_b32_e32 v5, 24, v1
	v_and_b32_e32 v1, 0xffff, v1
	v_and_b32_e32 v6, 3, v1
	v_ffbh_u32_e32 v8, v6
	v_min_u32_e32 v8, 32, v8
	v_subrev_u32_e32 v9, 29, v8
	v_bfe_u32 v7, v1, 2, 5
	v_lshlrev_b32_e32 v1, v9, v1
	v_sub_u32_e32 v8, 30, v8
	v_and_b32_e32 v1, 3, v1
	v_cmp_eq_u32_e32 vcc, 0, v7
	v_cndmask_b32_e32 v7, v7, v8, vcc
	v_cndmask_b32_e32 v1, v6, v1, vcc
	v_mov_b32_e32 v6, 0x37800000
	v_lshlrev_b32_e32 v1, 21, v1
	v_and_b32_e32 v5, 0x80000000, v5
	v_lshl_add_u32 v6, v7, 23, v6
	v_or3_b32 v1, v5, v6, v1
	v_cvt_f16_f32_e32 v5, v1
.LBB24_900:
	s_or_b64 exec, exec, s[10:11]
	s_mov_b64 s[2:3], 0
	s_branch .LBB24_906
.LBB24_901:
	s_mov_b64 s[2:3], -1
                                        ; implicit-def: $vgpr5
	s_branch .LBB24_912
.LBB24_902:
	s_or_saveexec_b64 s[16:17], s[16:17]
	v_mov_b32_e32 v5, s20
	s_xor_b64 exec, exec, s[16:17]
	s_cbranch_execz .LBB24_885
.LBB24_903:
	v_cmp_ne_u16_e32 vcc, 0, v1
	s_andn2_b64 s[10:11], s[10:11], exec
	s_and_b64 s[18:19], vcc, exec
	s_or_b64 s[10:11], s[10:11], s[18:19]
	v_mov_b32_e32 v5, v1
	s_or_b64 exec, exec, s[16:17]
	s_and_saveexec_b64 s[16:17], s[10:11]
	s_cbranch_execnz .LBB24_886
	s_branch .LBB24_887
.LBB24_904:
	s_mov_b64 s[2:3], -1
                                        ; implicit-def: $vgpr5
	s_branch .LBB24_909
.LBB24_905:
	s_mov_b64 s[2:3], -1
                                        ; implicit-def: $vgpr5
.LBB24_906:
	s_and_b64 vcc, exec, s[2:3]
	s_cbranch_vccz .LBB24_908
; %bb.907:
	global_load_ubyte v1, v[2:3], off
	s_mov_b32 s2, 0x7f800000
	s_waitcnt vmcnt(0)
	v_lshlrev_b32_e32 v1, 24, v1
	v_and_b32_e32 v5, 0x7f000000, v1
	v_ffbh_u32_e32 v6, v5
	v_min_u32_e32 v6, 32, v6
	v_sub_u32_e64 v6, v6, 4 clamp
	v_lshlrev_b32_e32 v8, v6, v5
	v_lshlrev_b32_e32 v6, 23, v6
	v_lshrrev_b32_e32 v8, 4, v8
	v_add_u32_e32 v7, 0x1000000, v5
	v_sub_u32_e32 v6, v8, v6
	v_ashrrev_i32_e32 v7, 8, v7
	v_add_u32_e32 v6, 0x3c000000, v6
	v_and_or_b32 v6, v7, s2, v6
	v_cmp_ne_u32_e32 vcc, 0, v5
	v_cndmask_b32_e32 v5, 0, v6, vcc
	s_brev_b32 s2, 1
	v_and_or_b32 v1, v1, s2, v5
	v_cvt_f16_f32_e32 v5, v1
.LBB24_908:
	s_mov_b64 s[2:3], 0
.LBB24_909:
	s_andn2_b64 vcc, exec, s[2:3]
	s_cbranch_vccnz .LBB24_911
; %bb.910:
	global_load_ubyte v1, v[2:3], off
	s_movk_i32 s2, 0x7f00
	s_brev_b32 s3, 16
	s_waitcnt vmcnt(0)
	v_lshlrev_b16_e32 v5, 8, v1
	v_lshlrev_b32_e32 v1, 25, v1
	v_lshrrev_b32_e32 v6, 4, v1
	v_and_or_b32 v7, v5, s2, 0.5
	v_or_b32_e32 v6, 0x70000000, v6
	v_add_f32_e32 v7, -0.5, v7
	v_mul_f32_e32 v6, 0x7800000, v6
	v_cmp_gt_u32_e32 vcc, s3, v1
	v_bfe_i32 v5, v5, 0, 16
	v_cndmask_b32_e32 v1, v6, v7, vcc
	s_brev_b32 s2, 1
	v_and_or_b32 v1, v5, s2, v1
	v_cvt_f16_f32_e32 v5, v1
.LBB24_911:
	s_mov_b64 s[2:3], 0
	s_mov_b64 s[10:11], -1
.LBB24_912:
	s_andn2_b64 vcc, exec, s[2:3]
	s_mov_b64 s[2:3], 0
	s_cbranch_vccnz .LBB24_923
; %bb.913:
	v_cmp_lt_i16_e32 vcc, 14, v4
	s_cbranch_vccz .LBB24_916
; %bb.914:
	v_cmp_eq_u16_e32 vcc, 15, v4
	s_cbranch_vccz .LBB24_919
; %bb.915:
	global_load_ushort v1, v[2:3], off
	s_mov_b64 s[0:1], 0
	s_mov_b64 s[10:11], -1
	s_waitcnt vmcnt(0)
	v_lshlrev_b32_e32 v1, 16, v1
	v_cvt_f16_f32_e32 v5, v1
	s_branch .LBB24_920
.LBB24_916:
	s_mov_b64 s[16:17], -1
                                        ; implicit-def: $vgpr5
	s_branch .LBB24_921
.LBB24_917:
	s_or_saveexec_b64 s[10:11], s[10:11]
	v_mov_b32_e32 v5, s18
	s_xor_b64 exec, exec, s[10:11]
	s_cbranch_execz .LBB24_898
.LBB24_918:
	v_cmp_ne_u16_e32 vcc, 0, v1
	s_andn2_b64 s[2:3], s[2:3], exec
	s_and_b64 s[16:17], vcc, exec
	s_or_b64 s[2:3], s[2:3], s[16:17]
	v_mov_b32_e32 v5, v1
	s_or_b64 exec, exec, s[10:11]
	s_and_saveexec_b64 s[10:11], s[2:3]
	s_cbranch_execnz .LBB24_899
	s_branch .LBB24_900
.LBB24_919:
	s_mov_b64 s[0:1], -1
                                        ; implicit-def: $vgpr5
.LBB24_920:
	s_mov_b64 s[16:17], 0
.LBB24_921:
	s_and_b64 vcc, exec, s[16:17]
	s_cbranch_vccz .LBB24_923
; %bb.922:
	v_cmp_ne_u16_e32 vcc, 11, v4
	s_andn2_b64 s[0:1], s[0:1], exec
	s_and_b64 s[16:17], vcc, exec
	s_mov_b64 s[2:3], -1
	s_or_b64 s[0:1], s[0:1], s[16:17]
                                        ; implicit-def: $vgpr5
.LBB24_923:
	s_mov_b64 s[16:17], 0
.LBB24_924:
	s_and_b64 s[18:19], s[10:11], exec
	s_andn2_b64 s[10:11], s[70:71], exec
	s_and_b64 s[0:1], s[0:1], exec
	s_and_b64 s[16:17], s[16:17], exec
	;; [unrolled: 1-line block ×3, first 2 shown]
	s_or_b64 s[20:21], s[10:11], s[0:1]
.LBB24_925:
	s_or_b64 exec, exec, s[74:75]
	s_and_b64 s[0:1], s[2:3], exec
	s_andn2_b64 s[2:3], s[70:71], exec
	s_and_b64 s[10:11], s[20:21], exec
	s_and_b64 s[18:19], s[18:19], exec
	;; [unrolled: 1-line block ×3, first 2 shown]
	s_or_b64 s[70:71], s[2:3], s[10:11]
.LBB24_926:
	s_or_b64 exec, exec, s[68:69]
	s_andn2_b64 s[2:3], s[64:65], exec
	s_and_b64 s[10:11], s[72:73], exec
	s_or_b64 s[64:65], s[2:3], s[10:11]
	s_and_b64 s[2:3], s[0:1], exec
	s_andn2_b64 s[0:1], s[62:63], exec
	s_and_b64 s[10:11], s[70:71], exec
	s_and_b64 s[18:19], s[18:19], exec
	;; [unrolled: 1-line block ×3, first 2 shown]
	s_or_b64 s[62:63], s[0:1], s[10:11]
.LBB24_927:
	s_or_b64 exec, exec, s[66:67]
	s_andn2_b64 s[0:1], s[56:57], exec
	s_and_b64 s[10:11], s[64:65], exec
	s_or_b64 s[56:57], s[0:1], s[10:11]
	s_and_b64 s[64:65], s[2:3], exec
	s_andn2_b64 s[2:3], s[58:59], exec
	s_and_b64 s[10:11], s[62:63], exec
	s_and_b64 s[0:1], s[18:19], exec
	;; [unrolled: 1-line block ×3, first 2 shown]
	s_or_b64 s[58:59], s[2:3], s[10:11]
	s_or_b64 exec, exec, s[60:61]
	s_mov_b64 s[2:3], 0
	s_and_saveexec_b64 s[10:11], s[58:59]
	s_cbranch_execz .LBB24_278
.LBB24_928:
	s_mov_b64 s[2:3], exec
	s_andn2_b64 s[64:65], s[64:65], exec
	s_trap 2
                                        ; implicit-def: $vgpr5
	s_or_b64 exec, exec, s[10:11]
	s_and_saveexec_b64 s[10:11], s[64:65]
	s_xor_b64 s[10:11], exec, s[10:11]
	s_cbranch_execnz .LBB24_279
.LBB24_929:
	s_or_b64 exec, exec, s[10:11]
	s_and_saveexec_b64 s[10:11], s[16:17]
	s_cbranch_execz .LBB24_975
.LBB24_930:
	v_cmp_gt_i16_e32 vcc, 5, v4
	s_cbranch_vccnz .LBB24_935
; %bb.931:
	v_cmp_gt_i16_e32 vcc, 8, v4
	s_cbranch_vccnz .LBB24_936
; %bb.932:
	;; [unrolled: 3-line block ×3, first 2 shown]
	v_cmp_lt_i16_e32 vcc, 9, v4
	s_cbranch_vccz .LBB24_938
; %bb.934:
	global_load_dwordx2 v[6:7], v[2:3], off
	s_mov_b64 s[16:17], 0
	s_waitcnt vmcnt(0)
	v_cvt_f32_f64_e32 v1, v[6:7]
	v_cvt_f16_f32_e32 v5, v1
	s_branch .LBB24_939
.LBB24_935:
                                        ; implicit-def: $vgpr5
	s_branch .LBB24_956
.LBB24_936:
                                        ; implicit-def: $vgpr5
	s_branch .LBB24_945
.LBB24_937:
	s_mov_b64 s[16:17], -1
                                        ; implicit-def: $vgpr5
	s_branch .LBB24_942
.LBB24_938:
	s_mov_b64 s[16:17], -1
                                        ; implicit-def: $vgpr5
.LBB24_939:
	s_andn2_b64 vcc, exec, s[16:17]
	s_cbranch_vccnz .LBB24_941
; %bb.940:
	global_load_dword v1, v[2:3], off
	s_waitcnt vmcnt(0)
	v_cvt_f16_f32_e32 v5, v1
.LBB24_941:
	s_mov_b64 s[16:17], 0
.LBB24_942:
	s_andn2_b64 vcc, exec, s[16:17]
	s_cbranch_vccnz .LBB24_944
; %bb.943:
	global_load_dword v5, v[2:3], off
.LBB24_944:
	s_cbranch_execnz .LBB24_955
.LBB24_945:
	v_cmp_gt_i16_e32 vcc, 6, v4
	s_cbranch_vccnz .LBB24_948
; %bb.946:
	v_cmp_lt_i16_e32 vcc, 6, v4
	s_cbranch_vccz .LBB24_949
; %bb.947:
	global_load_dwordx2 v[6:7], v[2:3], off
	s_mov_b64 s[16:17], 0
	s_waitcnt vmcnt(0)
	v_cvt_f32_f64_e32 v1, v[6:7]
	v_cvt_f16_f32_e32 v5, v1
	s_branch .LBB24_950
.LBB24_948:
	s_mov_b64 s[16:17], -1
                                        ; implicit-def: $vgpr5
	s_branch .LBB24_953
.LBB24_949:
	s_mov_b64 s[16:17], -1
                                        ; implicit-def: $vgpr5
.LBB24_950:
	s_andn2_b64 vcc, exec, s[16:17]
	s_cbranch_vccnz .LBB24_952
; %bb.951:
	global_load_dword v1, v[2:3], off
	s_waitcnt vmcnt(0)
	v_cvt_f16_f32_e32 v5, v1
.LBB24_952:
	s_mov_b64 s[16:17], 0
.LBB24_953:
	s_andn2_b64 vcc, exec, s[16:17]
	s_cbranch_vccnz .LBB24_955
; %bb.954:
	global_load_ushort v5, v[2:3], off
.LBB24_955:
	s_cbranch_execnz .LBB24_974
.LBB24_956:
	v_cmp_gt_i16_e32 vcc, 2, v4
	s_cbranch_vccnz .LBB24_960
; %bb.957:
	v_cmp_gt_i16_e32 vcc, 3, v4
	s_cbranch_vccnz .LBB24_961
; %bb.958:
	v_cmp_lt_i16_e32 vcc, 3, v4
	s_cbranch_vccz .LBB24_962
; %bb.959:
	global_load_dwordx2 v[6:7], v[2:3], off
	s_mov_b64 s[16:17], 0
	s_waitcnt vmcnt(0)
	v_xor_b32_e32 v5, v6, v7
	v_ffbh_i32_e32 v1, v7
	v_ashrrev_i32_e32 v5, 31, v5
	v_add_u32_e32 v1, -1, v1
	v_add_u32_e32 v5, 32, v5
	v_min_u32_e32 v1, v1, v5
	v_lshlrev_b64 v[6:7], v1, v[6:7]
	v_min_u32_e32 v5, 1, v6
	v_or_b32_e32 v5, v7, v5
	v_cvt_f32_i32_e32 v5, v5
	v_sub_u32_e32 v1, 32, v1
	v_ldexp_f32 v1, v5, v1
	v_cvt_f16_f32_e32 v5, v1
	s_branch .LBB24_963
.LBB24_960:
                                        ; implicit-def: $vgpr5
	s_branch .LBB24_969
.LBB24_961:
	s_mov_b64 s[16:17], -1
                                        ; implicit-def: $vgpr5
	s_branch .LBB24_966
.LBB24_962:
	s_mov_b64 s[16:17], -1
                                        ; implicit-def: $vgpr5
.LBB24_963:
	s_andn2_b64 vcc, exec, s[16:17]
	s_cbranch_vccnz .LBB24_965
; %bb.964:
	global_load_dword v1, v[2:3], off
	s_waitcnt vmcnt(0)
	v_cvt_f32_i32_e32 v1, v1
	v_cvt_f16_f32_e32 v5, v1
.LBB24_965:
	s_mov_b64 s[16:17], 0
.LBB24_966:
	s_andn2_b64 vcc, exec, s[16:17]
	s_cbranch_vccnz .LBB24_968
; %bb.967:
	global_load_ushort v1, v[2:3], off
	s_waitcnt vmcnt(0)
	v_cvt_f16_i16_e32 v5, v1
.LBB24_968:
	s_cbranch_execnz .LBB24_974
.LBB24_969:
	v_cmp_lt_i16_e32 vcc, 0, v4
	s_cbranch_vccz .LBB24_971
; %bb.970:
	global_load_sbyte v1, v[2:3], off
	s_mov_b64 s[16:17], 0
	s_waitcnt vmcnt(0)
	v_cvt_f16_i16_e32 v5, v1
	s_branch .LBB24_972
.LBB24_971:
	s_mov_b64 s[16:17], -1
                                        ; implicit-def: $vgpr5
.LBB24_972:
	s_andn2_b64 vcc, exec, s[16:17]
	s_cbranch_vccnz .LBB24_974
; %bb.973:
	global_load_ubyte v1, v[2:3], off
	s_waitcnt vmcnt(0)
	v_cvt_f16_u16_e32 v5, v1
.LBB24_974:
	s_or_b64 s[0:1], s[0:1], exec
.LBB24_975:
	s_or_b64 exec, exec, s[10:11]
	s_mov_b64 s[18:19], 0
	s_mov_b64 s[16:17], 0
                                        ; implicit-def: $vgpr4
                                        ; implicit-def: $vgpr2_vgpr3
                                        ; implicit-def: $vgpr1
	s_and_saveexec_b64 s[10:11], s[0:1]
	s_cbranch_execz .LBB24_995
; %bb.976:
	s_waitcnt vmcnt(0)
	v_cvt_f32_f16_e32 v1, v5
	s_mov_b32 s0, 0x7f800000
	v_cmp_nlg_f32_e64 s[16:17], |v1|, s0
	s_and_saveexec_b64 s[0:1], s[16:17]
	s_cbranch_execz .LBB24_978
; %bb.977:
	v_mov_b32_e32 v2, 0
	v_mov_b32_e32 v3, 1.0
	global_store_dword v2, v3, s[12:13]
.LBB24_978:
	s_or_b64 exec, exec, s[0:1]
	v_mov_b32_e32 v2, 0
	global_load_dword v6, v2, s[14:15]
	v_mov_b32_e32 v3, s9
	v_mov_b32_e32 v4, 0xff
	v_add_co_u32_e32 v2, vcc, s8, v0
	v_addc_co_u32_e32 v3, vcc, 0, v3, vcc
	v_and_b32_e32 v4, s79, v4
	v_cmp_gt_i16_e32 vcc, 11, v4
	s_and_b64 vcc, exec, vcc
	s_waitcnt vmcnt(0)
	v_fma_mixlo_f16 v0, v6, v1, 0
	v_cmp_eq_f32_e64 s[0:1], 1.0, v6
	v_cndmask_b32_e64 v1, v0, v5, s[0:1]
	s_cbranch_vccnz .LBB24_998
; %bb.979:
	v_cmp_lt_i16_e32 vcc, 25, v4
	s_mov_b64 s[12:13], -1
	s_mov_b64 s[0:1], s[56:57]
	s_cbranch_vccz .LBB24_1016
; %bb.980:
	v_cmp_lt_i16_e32 vcc, 28, v4
	s_mov_b64 s[8:9], -1
	s_mov_b64 s[0:1], s[56:57]
	s_cbranch_vccz .LBB24_1000
; %bb.981:
	v_cmp_lt_i16_e32 vcc, 43, v4
	s_mov_b64 s[0:1], s[56:57]
	s_cbranch_vccz .LBB24_992
; %bb.982:
	v_cmp_lt_i16_e32 vcc, 45, v4
	s_mov_b64 s[0:1], s[56:57]
	s_cbranch_vccz .LBB24_986
; %bb.983:
	v_cmp_eq_u16_e32 vcc, 46, v4
	s_mov_b64 s[0:1], -1
	s_cbranch_vccz .LBB24_985
; %bb.984:
	v_cvt_f32_f16_e32 v0, v1
	s_movk_i32 s0, 0x7fff
	v_mov_b32_e32 v5, 0x7fc0
	v_cmp_o_f16_e32 vcc, v1, v1
	v_bfe_u32 v6, v0, 16, 1
	v_add3_u32 v0, v0, v6, s0
	v_lshrrev_b32_e32 v0, 16, v0
	v_cndmask_b32_e32 v0, v5, v0, vcc
	global_store_dword v[2:3], v0, off
	s_mov_b64 s[0:1], 0
.LBB24_985:
	s_mov_b64 s[8:9], 0
.LBB24_986:
	s_and_b64 vcc, exec, s[8:9]
	s_cbranch_vccz .LBB24_991
; %bb.987:
	v_cmp_eq_u16_e32 vcc, 44, v4
	s_mov_b64 s[0:1], -1
	s_cbranch_vccz .LBB24_991
; %bb.988:
	v_cvt_f32_f16_e32 v0, v1
	s_movk_i32 s0, 0xff
	v_mov_b32_e32 v6, 0xff
	v_bfe_u32 v5, v0, 23, 8
	v_cmp_ne_u32_e32 vcc, s0, v5
	s_and_saveexec_b64 s[8:9], vcc
; %bb.989:
	s_mov_b32 s0, 0x3fffff
	v_lshrrev_b32_e32 v6, 23, v0
	v_and_b32_e32 v7, 0x400000, v0
	v_and_or_b32 v0, v0, s0, v5
	v_cmp_ne_u32_e32 vcc, 0, v7
	v_cmp_ne_u32_e64 s[0:1], 0, v0
	s_and_b64 s[0:1], vcc, s[0:1]
	v_cndmask_b32_e64 v0, 0, 1, s[0:1]
	v_add_u32_e32 v6, v6, v0
; %bb.990:
	s_or_b64 exec, exec, s[8:9]
	s_mov_b64 s[0:1], 0
	global_store_byte v[2:3], v6, off
.LBB24_991:
	s_mov_b64 s[8:9], 0
.LBB24_992:
	s_and_b64 vcc, exec, s[8:9]
	s_cbranch_vccz .LBB24_999
; %bb.993:
	v_cmp_eq_u16_e32 vcc, 29, v4
	s_mov_b64 s[0:1], -1
	s_cbranch_vccz .LBB24_999
; %bb.994:
	v_cvt_f32_f16_e32 v0, v1
	v_mov_b32_e32 v7, 0
	s_mov_b64 s[0:1], 0
	s_mov_b64 s[8:9], 0
	v_cvt_u32_f32_e32 v6, v0
	global_store_dwordx2 v[2:3], v[6:7], off
	s_branch .LBB24_1000
.LBB24_995:
	s_or_b64 exec, exec, s[10:11]
	s_and_saveexec_b64 s[0:1], s[56:57]
	s_cbranch_execnz .LBB24_1058
.LBB24_996:
	s_or_b64 exec, exec, s[0:1]
	s_and_saveexec_b64 s[0:1], s[18:19]
	s_xor_b64 s[0:1], exec, s[0:1]
	s_cbranch_execz .LBB24_1059
.LBB24_997:
	v_cmp_neq_f16_e32 vcc, 0, v1
	v_cndmask_b32_e64 v0, 0, 1, vcc
	global_store_byte v[2:3], v0, off
	s_or_b64 exec, exec, s[0:1]
	s_and_saveexec_b64 s[0:1], s[16:17]
	s_xor_b64 s[0:1], exec, s[0:1]
	s_cbranch_execz .LBB24_1097
	s_branch .LBB24_1060
.LBB24_998:
	s_mov_b64 s[12:13], 0
	s_mov_b64 s[8:9], -1
	s_mov_b64 s[0:1], s[56:57]
	s_branch .LBB24_1057
.LBB24_999:
	s_mov_b64 s[8:9], 0
.LBB24_1000:
	s_and_b64 vcc, exec, s[8:9]
	s_cbranch_vccz .LBB24_1015
; %bb.1001:
	v_cmp_gt_i16_e32 vcc, 27, v4
	s_mov_b64 s[8:9], -1
	s_cbranch_vccnz .LBB24_1007
; %bb.1002:
	v_cmp_lt_i16_e32 vcc, 27, v4
	s_cbranch_vccz .LBB24_1004
; %bb.1003:
	v_cvt_f32_f16_e32 v0, v1
	s_mov_b64 s[8:9], 0
	v_cvt_u32_f32_e32 v0, v0
	global_store_dword v[2:3], v0, off
.LBB24_1004:
	s_andn2_b64 vcc, exec, s[8:9]
	s_cbranch_vccnz .LBB24_1006
; %bb.1005:
	v_cvt_u16_f16_e32 v0, v1
	global_store_short v[2:3], v0, off
.LBB24_1006:
	s_mov_b64 s[8:9], 0
.LBB24_1007:
	s_andn2_b64 vcc, exec, s[8:9]
	s_cbranch_vccnz .LBB24_1015
; %bb.1008:
	v_cvt_f32_f16_e32 v0, v1
	s_mov_b32 s8, 0x43800000
	v_mov_b32_e32 v6, 0x80
	v_and_b32_e32 v5, 0x7fffffff, v0
	v_cmp_gt_u32_e32 vcc, s8, v5
	s_and_saveexec_b64 s[8:9], vcc
	s_cbranch_execz .LBB24_1014
; %bb.1009:
	s_mov_b32 s12, 0x3bffffff
	v_cmp_lt_u32_e32 vcc, s12, v5
	s_mov_b64 s[12:13], 0
                                        ; implicit-def: $vgpr5
	s_and_saveexec_b64 s[14:15], vcc
	s_xor_b64 s[14:15], exec, s[14:15]
	s_cbranch_execz .LBB24_1168
; %bb.1010:
	v_bfe_u32 v5, v0, 20, 1
	s_mov_b32 s16, 0x487ffff
	v_add3_u32 v5, v0, v5, s16
	s_mov_b64 s[12:13], exec
	v_lshrrev_b32_e32 v5, 20, v5
	s_or_saveexec_b64 s[14:15], s[14:15]
                                        ; implicit-def: $sgpr16
	s_xor_b64 exec, exec, s[14:15]
	s_cbranch_execnz .LBB24_1169
.LBB24_1011:
	s_or_b64 exec, exec, s[14:15]
	v_mov_b32_e32 v6, s16
	s_and_saveexec_b64 s[14:15], s[12:13]
.LBB24_1012:
	v_lshrrev_b32_e32 v0, 24, v0
	s_movk_i32 s12, 0x80
	v_and_or_b32 v6, v0, s12, v5
.LBB24_1013:
	s_or_b64 exec, exec, s[14:15]
.LBB24_1014:
	s_or_b64 exec, exec, s[8:9]
	global_store_byte v[2:3], v6, off
.LBB24_1015:
	s_mov_b64 s[12:13], 0
.LBB24_1016:
	s_mov_b64 s[8:9], 0
	s_and_b64 vcc, exec, s[12:13]
	s_cbranch_vccz .LBB24_1056
; %bb.1017:
	v_cmp_lt_i16_e32 vcc, 22, v4
	s_mov_b64 s[12:13], -1
	s_cbranch_vccz .LBB24_1049
; %bb.1018:
	v_cmp_gt_i16_e32 vcc, 24, v4
	s_cbranch_vccnz .LBB24_1038
; %bb.1019:
	v_cmp_lt_i16_e32 vcc, 24, v4
	s_cbranch_vccz .LBB24_1027
; %bb.1020:
	v_cvt_f32_f16_e32 v0, v1
	s_mov_b32 s12, 0x47800000
	v_mov_b32_e32 v6, 0x80
	v_and_b32_e32 v5, 0x7fffffff, v0
	v_cmp_gt_u32_e32 vcc, s12, v5
	s_and_saveexec_b64 s[12:13], vcc
	s_cbranch_execz .LBB24_1026
; %bb.1021:
	s_mov_b32 s14, 0x37ffffff
	v_cmp_lt_u32_e32 vcc, s14, v5
	s_mov_b64 s[14:15], 0
                                        ; implicit-def: $vgpr5
	s_and_saveexec_b64 s[16:17], vcc
	s_xor_b64 s[16:17], exec, s[16:17]
	s_cbranch_execz .LBB24_1295
; %bb.1022:
	v_bfe_u32 v5, v0, 21, 1
	s_mov_b32 s18, 0x88fffff
	v_add3_u32 v5, v0, v5, s18
	s_mov_b64 s[14:15], exec
	v_lshrrev_b32_e32 v5, 21, v5
	s_or_saveexec_b64 s[16:17], s[16:17]
                                        ; implicit-def: $sgpr18
	s_xor_b64 exec, exec, s[16:17]
	s_cbranch_execnz .LBB24_1296
.LBB24_1023:
	s_or_b64 exec, exec, s[16:17]
	v_mov_b32_e32 v6, s18
	s_and_saveexec_b64 s[16:17], s[14:15]
.LBB24_1024:
	v_lshrrev_b32_e32 v0, 24, v0
	s_movk_i32 s14, 0x80
	v_and_or_b32 v6, v0, s14, v5
.LBB24_1025:
	s_or_b64 exec, exec, s[16:17]
.LBB24_1026:
	s_or_b64 exec, exec, s[12:13]
	s_mov_b64 s[12:13], 0
	global_store_byte v[2:3], v6, off
.LBB24_1027:
	s_and_b64 vcc, exec, s[12:13]
	s_cbranch_vccz .LBB24_1037
; %bb.1028:
	v_cvt_f32_f16_e32 v0, v1
	s_mov_b32 s12, 0x43f00000
                                        ; implicit-def: $vgpr5
	v_and_b32_e32 v6, 0x7fffffff, v0
	v_cmp_gt_u32_e32 vcc, s12, v6
	s_and_saveexec_b64 s[12:13], vcc
	s_xor_b64 s[12:13], exec, s[12:13]
	s_cbranch_execz .LBB24_1034
; %bb.1029:
	s_mov_b32 s14, 0x3c7fffff
	v_cmp_lt_u32_e32 vcc, s14, v6
                                        ; implicit-def: $vgpr5
	s_and_saveexec_b64 s[14:15], vcc
	s_xor_b64 s[14:15], exec, s[14:15]
; %bb.1030:
	v_bfe_u32 v5, v0, 20, 1
	s_mov_b32 s16, 0x407ffff
	v_add3_u32 v5, v0, v5, s16
	v_lshrrev_b32_e32 v6, 20, v5
	v_and_b32_e32 v5, 0xff00000, v5
	s_mov_b32 s16, 0x7f00000
	v_mov_b32_e32 v7, 0x7e
	v_cmp_ne_u32_e32 vcc, s16, v5
	v_cndmask_b32_e32 v5, v7, v6, vcc
; %bb.1031:
	s_andn2_saveexec_b64 s[14:15], s[14:15]
; %bb.1032:
	s_mov_b32 s16, 0x46800000
	v_add_f32_e64 v5, |v0|, s16
; %bb.1033:
	s_or_b64 exec, exec, s[14:15]
                                        ; implicit-def: $vgpr6
.LBB24_1034:
	s_andn2_saveexec_b64 s[12:13], s[12:13]
; %bb.1035:
	s_mov_b32 s14, 0x7f800000
	v_mov_b32_e32 v5, 0x7e
	v_mov_b32_e32 v7, 0x7f
	v_cmp_lt_u32_e32 vcc, s14, v6
	v_cndmask_b32_e32 v5, v5, v7, vcc
; %bb.1036:
	s_or_b64 exec, exec, s[12:13]
	v_lshrrev_b32_e32 v0, 24, v0
	s_movk_i32 s12, 0x80
	v_and_or_b32 v0, v0, s12, v5
	global_store_byte v[2:3], v0, off
.LBB24_1037:
	s_mov_b64 s[12:13], 0
.LBB24_1038:
	s_andn2_b64 vcc, exec, s[12:13]
	s_cbranch_vccnz .LBB24_1048
; %bb.1039:
	v_cvt_f32_f16_e32 v0, v1
	s_mov_b32 s12, 0x47800000
                                        ; implicit-def: $vgpr5
	v_and_b32_e32 v6, 0x7fffffff, v0
	v_cmp_gt_u32_e32 vcc, s12, v6
	s_and_saveexec_b64 s[12:13], vcc
	s_xor_b64 s[12:13], exec, s[12:13]
	s_cbranch_execz .LBB24_1045
; %bb.1040:
	s_mov_b32 s14, 0x387fffff
	v_cmp_lt_u32_e32 vcc, s14, v6
                                        ; implicit-def: $vgpr5
	s_and_saveexec_b64 s[14:15], vcc
	s_xor_b64 s[14:15], exec, s[14:15]
; %bb.1041:
	v_bfe_u32 v5, v0, 21, 1
	s_mov_b32 s16, 0x80fffff
	v_add3_u32 v5, v0, v5, s16
	v_lshrrev_b32_e32 v5, 21, v5
; %bb.1042:
	s_andn2_saveexec_b64 s[14:15], s[14:15]
; %bb.1043:
	s_mov_b32 s16, 0x43000000
	v_add_f32_e64 v5, |v0|, s16
; %bb.1044:
	s_or_b64 exec, exec, s[14:15]
                                        ; implicit-def: $vgpr6
.LBB24_1045:
	s_andn2_saveexec_b64 s[12:13], s[12:13]
; %bb.1046:
	s_mov_b32 s14, 0x7f800000
	v_mov_b32_e32 v5, 0x7c
	v_mov_b32_e32 v7, 0x7f
	v_cmp_lt_u32_e32 vcc, s14, v6
	v_cndmask_b32_e32 v5, v5, v7, vcc
; %bb.1047:
	s_or_b64 exec, exec, s[12:13]
	v_lshrrev_b32_e32 v0, 24, v0
	s_movk_i32 s12, 0x80
	v_and_or_b32 v0, v0, s12, v5
	global_store_byte v[2:3], v0, off
.LBB24_1048:
	s_mov_b64 s[12:13], 0
.LBB24_1049:
	s_andn2_b64 vcc, exec, s[12:13]
	s_mov_b64 s[12:13], 0
	s_cbranch_vccnz .LBB24_1057
; %bb.1050:
	v_cmp_lt_i16_e32 vcc, 14, v4
	s_mov_b64 s[14:15], -1
	s_cbranch_vccz .LBB24_1054
; %bb.1051:
	v_cmp_eq_u16_e32 vcc, 15, v4
	s_mov_b64 s[0:1], -1
	s_cbranch_vccz .LBB24_1053
; %bb.1052:
	v_cvt_f32_f16_e32 v0, v1
	s_movk_i32 s0, 0x7fff
	v_mov_b32_e32 v5, 0x7fc0
	v_cmp_o_f16_e32 vcc, v1, v1
	v_bfe_u32 v6, v0, 16, 1
	v_add3_u32 v0, v0, v6, s0
	v_lshrrev_b32_e32 v0, 16, v0
	v_cndmask_b32_e32 v0, v5, v0, vcc
	global_store_short v[2:3], v0, off
	s_mov_b64 s[0:1], 0
.LBB24_1053:
	s_mov_b64 s[14:15], 0
.LBB24_1054:
	s_and_b64 vcc, exec, s[14:15]
	s_cbranch_vccz .LBB24_1057
; %bb.1055:
	v_cmp_ne_u16_e32 vcc, 11, v4
	s_andn2_b64 s[0:1], s[0:1], exec
	s_and_b64 s[14:15], vcc, exec
	s_mov_b64 s[12:13], -1
	s_or_b64 s[0:1], s[0:1], s[14:15]
	s_branch .LBB24_1057
.LBB24_1056:
	s_mov_b64 s[12:13], 0
.LBB24_1057:
	s_and_b64 s[16:17], s[8:9], exec
	s_andn2_b64 s[8:9], s[56:57], exec
	s_and_b64 s[0:1], s[0:1], exec
	s_and_b64 s[18:19], s[12:13], exec
	s_or_b64 s[56:57], s[8:9], s[0:1]
	s_or_b64 exec, exec, s[10:11]
	s_and_saveexec_b64 s[0:1], s[56:57]
	s_cbranch_execz .LBB24_996
.LBB24_1058:
	s_or_b64 s[2:3], s[2:3], exec
	s_andn2_b64 s[18:19], s[18:19], exec
	s_trap 2
	s_or_b64 exec, exec, s[0:1]
	s_and_saveexec_b64 s[0:1], s[18:19]
	s_xor_b64 s[0:1], exec, s[0:1]
	s_cbranch_execnz .LBB24_997
.LBB24_1059:
	s_or_b64 exec, exec, s[0:1]
	s_and_saveexec_b64 s[0:1], s[16:17]
	s_xor_b64 s[0:1], exec, s[0:1]
	s_cbranch_execz .LBB24_1097
.LBB24_1060:
	v_cmp_gt_i16_e32 vcc, 5, v4
	s_mov_b64 s[8:9], -1
	s_cbranch_vccnz .LBB24_1081
; %bb.1061:
	v_cmp_gt_i16_e32 vcc, 8, v4
	s_cbranch_vccnz .LBB24_1071
; %bb.1062:
	v_cmp_gt_i16_e32 vcc, 9, v4
	s_cbranch_vccnz .LBB24_1068
; %bb.1063:
	v_cmp_lt_i16_e32 vcc, 9, v4
	s_cbranch_vccz .LBB24_1065
; %bb.1064:
	v_cvt_f32_f16_e32 v0, v1
	v_mov_b32_e32 v8, 0
	v_mov_b32_e32 v9, v8
	s_mov_b64 s[8:9], 0
	v_cvt_f64_f32_e32 v[6:7], v0
	global_store_dwordx4 v[2:3], v[6:9], off
.LBB24_1065:
	s_andn2_b64 vcc, exec, s[8:9]
	s_cbranch_vccnz .LBB24_1067
; %bb.1066:
	v_cvt_f32_f16_e32 v6, v1
	v_mov_b32_e32 v7, 0
	global_store_dwordx2 v[2:3], v[6:7], off
.LBB24_1067:
	s_mov_b64 s[8:9], 0
.LBB24_1068:
	s_andn2_b64 vcc, exec, s[8:9]
	s_cbranch_vccnz .LBB24_1070
; %bb.1069:
	v_and_b32_e32 v0, 0xffff, v1
	global_store_dword v[2:3], v0, off
.LBB24_1070:
	s_mov_b64 s[8:9], 0
.LBB24_1071:
	s_andn2_b64 vcc, exec, s[8:9]
	s_cbranch_vccnz .LBB24_1080
; %bb.1072:
	v_cmp_gt_i16_e32 vcc, 6, v4
	s_mov_b64 s[8:9], -1
	s_cbranch_vccnz .LBB24_1078
; %bb.1073:
	v_cmp_lt_i16_e32 vcc, 6, v4
	s_cbranch_vccz .LBB24_1075
; %bb.1074:
	v_cvt_f32_f16_e32 v0, v1
	s_mov_b64 s[8:9], 0
	v_cvt_f64_f32_e32 v[6:7], v0
	global_store_dwordx2 v[2:3], v[6:7], off
.LBB24_1075:
	s_andn2_b64 vcc, exec, s[8:9]
	s_cbranch_vccnz .LBB24_1077
; %bb.1076:
	v_cvt_f32_f16_e32 v0, v1
	global_store_dword v[2:3], v0, off
.LBB24_1077:
	s_mov_b64 s[8:9], 0
.LBB24_1078:
	s_andn2_b64 vcc, exec, s[8:9]
	s_cbranch_vccnz .LBB24_1080
; %bb.1079:
	global_store_short v[2:3], v1, off
.LBB24_1080:
	s_mov_b64 s[8:9], 0
.LBB24_1081:
	s_andn2_b64 vcc, exec, s[8:9]
	s_cbranch_vccnz .LBB24_1097
; %bb.1082:
	v_cmp_gt_i16_e32 vcc, 2, v4
	s_mov_b64 s[8:9], -1
	s_cbranch_vccnz .LBB24_1092
; %bb.1083:
	v_cmp_gt_i16_e32 vcc, 3, v4
	s_cbranch_vccnz .LBB24_1089
; %bb.1084:
	v_cmp_lt_i16_e32 vcc, 3, v4
	s_cbranch_vccz .LBB24_1086
; %bb.1085:
	v_cvt_f32_f16_e32 v0, v1
	s_mov_b64 s[8:9], 0
	v_cvt_i32_f32_e32 v6, v0
	v_ashrrev_i32_e32 v7, 31, v6
	global_store_dwordx2 v[2:3], v[6:7], off
.LBB24_1086:
	s_andn2_b64 vcc, exec, s[8:9]
	s_cbranch_vccnz .LBB24_1088
; %bb.1087:
	v_cvt_f32_f16_e32 v0, v1
	v_cvt_i32_f32_e32 v0, v0
	global_store_dword v[2:3], v0, off
.LBB24_1088:
	s_mov_b64 s[8:9], 0
.LBB24_1089:
	s_andn2_b64 vcc, exec, s[8:9]
	s_cbranch_vccnz .LBB24_1091
; %bb.1090:
	v_cvt_i16_f16_e32 v0, v1
	global_store_short v[2:3], v0, off
.LBB24_1091:
	s_mov_b64 s[8:9], 0
.LBB24_1092:
	s_andn2_b64 vcc, exec, s[8:9]
	s_cbranch_vccnz .LBB24_1097
; %bb.1093:
	v_cmp_lt_i16_e32 vcc, 0, v4
	s_mov_b64 s[8:9], -1
	s_cbranch_vccz .LBB24_1095
; %bb.1094:
	v_cvt_i16_f16_e32 v0, v1
	s_mov_b64 s[8:9], 0
	global_store_byte v[2:3], v0, off
.LBB24_1095:
	s_andn2_b64 vcc, exec, s[8:9]
	s_cbranch_vccnz .LBB24_1097
; %bb.1096:
	v_cvt_f32_f16_e32 v0, v1
	v_cvt_i32_f32_e32 v0, v0
	global_store_byte v[2:3], v0, off
.LBB24_1097:
	s_or_b64 exec, exec, s[0:1]
	s_and_b64 s[28:29], s[2:3], exec
                                        ; implicit-def: $vgpr9
                                        ; implicit-def: $vgpr8
.LBB24_1098:
	s_or_saveexec_b64 s[30:31], s[46:47]
	s_mov_b64 s[0:1], 0
                                        ; implicit-def: $vgpr0_vgpr1
                                        ; implicit-def: $sgpr16
                                        ; implicit-def: $vgpr2
	s_xor_b64 exec, exec, s[30:31]
	s_cbranch_execz .LBB24_2062
; %bb.1099:
	v_cndmask_b32_e64 v0, 0, 1, s[44:45]
	v_cmp_ne_u32_e64 s[0:1], 1, v0
	s_andn2_b64 vcc, exec, s[44:45]
	s_cbranch_vccnz .LBB24_1106
; %bb.1100:
	s_mov_b32 s2, 0
	s_cmp_lg_u32 s33, 0
	v_mov_b32_e32 v14, 0
	v_mov_b32_e32 v6, 0
	s_cbranch_scc0 .LBB24_1105
; %bb.1101:
	s_min_u32 s38, s78, 15
	s_add_i32 s38, s38, 1
	s_cmp_eq_u32 s78, 2
	s_cbranch_scc1 .LBB24_1107
; %bb.1102:
	s_add_u32 s6, s34, 0xc4
	s_addc_u32 s7, s35, 0
	s_and_b32 s2, s38, 28
	s_mov_b32 s3, 0
	v_mov_b32_e32 v6, 0
	s_mov_b64 s[36:37], s[34:35]
	v_mov_b32_e32 v0, v8
	v_mov_b32_e32 v14, 0
.LBB24_1103:                            ; =>This Inner Loop Header: Depth=1
	s_load_dwordx8 s[16:23], s[36:37], 0x4
	s_load_dwordx4 s[24:27], s[36:37], 0x24
	s_load_dwordx8 s[8:15], s[6:7], 0x0
	s_add_u32 s36, s36, 48
	s_addc_u32 s37, s37, 0
	s_waitcnt lgkmcnt(0)
	v_mul_hi_u32 v1, s17, v0
	v_add_u32_e32 v1, v0, v1
	v_lshrrev_b32_e32 v1, s18, v1
	v_mul_lo_u32 v2, v1, s16
	v_mul_hi_u32 v3, s20, v1
	v_sub_u32_e32 v0, v0, v2
	v_add_u32_e32 v2, v1, v3
	v_lshrrev_b32_e32 v2, s21, v2
	v_mul_lo_u32 v4, v2, s19
	s_waitcnt vmcnt(0)
	v_mul_hi_u32 v5, s23, v2
	v_sub_u32_e32 v1, v1, v4
	v_add_u32_e32 v4, v2, v5
	v_mul_lo_u32 v3, v0, s9
	v_mul_lo_u32 v0, v0, s8
	;; [unrolled: 1-line block ×4, first 2 shown]
	v_lshrrev_b32_e32 v4, s24, v4
	v_add3_u32 v1, v0, v6, v1
	v_add3_u32 v3, v3, v14, v5
	v_mul_lo_u32 v0, v4, s22
	v_mul_hi_u32 v5, s26, v4
	v_sub_u32_e32 v0, v2, v0
	v_add_u32_e32 v2, v4, v5
	v_mul_lo_u32 v5, v0, s12
	v_mul_lo_u32 v6, v0, s13
	v_lshrrev_b32_e32 v0, s27, v2
	s_add_i32 s3, s3, 4
	v_mul_lo_u32 v2, v0, s25
	s_add_u32 s6, s6, 32
	v_sub_u32_e32 v2, v4, v2
	s_addc_u32 s7, s7, 0
	v_mul_lo_u32 v4, v2, s14
	v_mul_lo_u32 v2, v2, s15
	s_cmp_lg_u32 s2, s3
	v_add3_u32 v14, v6, v3, v2
	v_add3_u32 v6, v5, v1, v4
	s_cbranch_scc1 .LBB24_1103
; %bb.1104:
	v_mov_b32_e32 v7, v14
	s_and_b32 s8, s38, 3
	s_cmp_eq_u32 s8, 0
	s_cbranch_scc0 .LBB24_1108
.LBB24_1105:
	s_cbranch_execz .LBB24_1111
	s_branch .LBB24_1113
.LBB24_1106:
                                        ; implicit-def: $vgpr14
                                        ; implicit-def: $vgpr6
	s_branch .LBB24_1111
.LBB24_1107:
	s_mov_b32 s3, s2
	v_pk_mov_b32 v[6:7], s[2:3], s[2:3] op_sel:[0,1]
                                        ; implicit-def: $vgpr14
	v_mov_b32_e32 v0, v8
	s_and_b32 s8, s38, 3
	s_cmp_eq_u32 s8, 0
	s_cbranch_scc1 .LBB24_1105
.LBB24_1108:
	s_lshl_b32 s3, s2, 3
	s_add_u32 s3, s3, s34
	s_addc_u32 s7, 0, s35
	s_add_u32 s6, s3, 0xc4
	s_addc_u32 s7, s7, 0
	s_mul_i32 s2, s2, 12
	s_add_u32 s2, s34, s2
	s_addc_u32 s3, 0, s35
.LBB24_1109:                            ; =>This Inner Loop Header: Depth=1
	s_load_dwordx2 s[10:11], s[2:3], 0x4
	s_load_dword s9, s[2:3], 0xc
	s_load_dwordx2 s[12:13], s[6:7], 0x0
	s_add_u32 s2, s2, 12
	s_addc_u32 s3, s3, 0
	s_waitcnt lgkmcnt(0)
	v_mul_hi_u32 v1, s11, v0
	v_add_u32_e32 v1, v0, v1
	v_lshrrev_b32_e32 v1, s9, v1
	v_mul_lo_u32 v3, v1, s10
	v_mov_b32_e32 v2, v7
	s_add_u32 s6, s6, 8
	v_sub_u32_e32 v4, v0, v3
	s_addc_u32 s7, s7, 0
	s_add_i32 s8, s8, -1
	v_mad_u64_u32 v[2:3], s[10:11], v4, s13, v[2:3]
	v_mad_u64_u32 v[6:7], s[10:11], v4, s12, v[6:7]
	s_cmp_lg_u32 s8, 0
	v_mov_b32_e32 v0, v1
	v_mov_b32_e32 v7, v2
	s_cbranch_scc1 .LBB24_1109
; %bb.1110:
	v_mov_b32_e32 v14, v7
	s_cbranch_execnz .LBB24_1113
.LBB24_1111:
	s_load_dwordx4 s[8:11], s[34:35], 0x4
	s_load_dwordx2 s[2:3], s[34:35], 0xc4
	s_cmp_lt_u32 s33, 2
	s_waitcnt lgkmcnt(0)
	v_mul_hi_u32 v0, s9, v8
	v_add_u32_e32 v0, v8, v0
	v_lshrrev_b32_e32 v0, s10, v0
	v_mul_lo_u32 v1, v0, s8
	v_sub_u32_e32 v1, v8, v1
	v_mul_lo_u32 v14, v1, s3
	v_mul_lo_u32 v6, v1, s2
	s_cbranch_scc1 .LBB24_1113
; %bb.1112:
	s_load_dwordx4 s[8:11], s[34:35], 0x10
	s_load_dwordx2 s[2:3], s[34:35], 0xcc
	s_waitcnt lgkmcnt(0)
	v_mul_hi_u32 v1, s9, v0
	v_add_u32_e32 v1, v0, v1
	v_lshrrev_b32_e32 v1, s10, v1
	v_mul_lo_u32 v1, v1, s8
	v_sub_u32_e32 v0, v0, v1
	v_mad_u64_u32 v[6:7], s[6:7], v0, s2, v[6:7]
	v_mad_u64_u32 v[14:15], s[2:3], v0, s3, v[14:15]
.LBB24_1113:
	s_and_b64 vcc, exec, s[0:1]
	v_add_u32_e32 v0, 0x80, v8
	s_cbranch_vccnz .LBB24_1120
; %bb.1114:
	s_mov_b32 s2, 0
	s_cmp_lg_u32 s33, 0
	v_mov_b32_e32 v12, 0
	v_mov_b32_e32 v4, 0
	s_cbranch_scc0 .LBB24_1119
; %bb.1115:
	s_min_u32 s38, s78, 15
	s_add_i32 s38, s38, 1
	s_cmp_eq_u32 s78, 2
	s_cbranch_scc1 .LBB24_1121
; %bb.1116:
	s_add_u32 s6, s34, 0xc4
	s_addc_u32 s7, s35, 0
	s_and_b32 s2, s38, 28
	s_mov_b32 s3, 0
	v_mov_b32_e32 v4, 0
	s_mov_b64 s[36:37], s[34:35]
	v_mov_b32_e32 v1, v0
	v_mov_b32_e32 v12, 0
.LBB24_1117:                            ; =>This Inner Loop Header: Depth=1
	s_load_dwordx8 s[16:23], s[36:37], 0x4
	s_load_dwordx4 s[24:27], s[36:37], 0x24
	s_load_dwordx8 s[8:15], s[6:7], 0x0
	s_add_u32 s36, s36, 48
	s_addc_u32 s37, s37, 0
	s_waitcnt lgkmcnt(0)
	v_mul_hi_u32 v2, s17, v1
	v_add_u32_e32 v2, v1, v2
	v_lshrrev_b32_e32 v2, s18, v2
	v_mul_lo_u32 v3, v2, s16
	s_waitcnt vmcnt(0)
	v_mul_hi_u32 v5, s20, v2
	v_sub_u32_e32 v1, v1, v3
	v_add_u32_e32 v3, v2, v5
	v_lshrrev_b32_e32 v3, s21, v3
	v_mul_lo_u32 v7, v3, s19
	v_mul_hi_u32 v10, s23, v3
	v_sub_u32_e32 v2, v2, v7
	v_add_u32_e32 v7, v3, v10
	v_mul_lo_u32 v5, v1, s9
	v_mul_lo_u32 v1, v1, s8
	;; [unrolled: 1-line block ×4, first 2 shown]
	v_lshrrev_b32_e32 v7, s24, v7
	v_add3_u32 v2, v1, v4, v2
	v_add3_u32 v4, v5, v12, v10
	v_mul_lo_u32 v1, v7, s22
	v_mul_hi_u32 v5, s26, v7
	v_sub_u32_e32 v1, v3, v1
	v_add_u32_e32 v3, v7, v5
	v_mul_lo_u32 v5, v1, s12
	v_mul_lo_u32 v10, v1, s13
	v_lshrrev_b32_e32 v1, s27, v3
	s_add_i32 s3, s3, 4
	v_mul_lo_u32 v3, v1, s25
	s_add_u32 s6, s6, 32
	v_sub_u32_e32 v3, v7, v3
	s_addc_u32 s7, s7, 0
	v_mul_lo_u32 v7, v3, s14
	v_mul_lo_u32 v3, v3, s15
	s_cmp_lg_u32 s2, s3
	v_add3_u32 v12, v10, v4, v3
	v_add3_u32 v4, v5, v2, v7
	s_cbranch_scc1 .LBB24_1117
; %bb.1118:
	v_mov_b32_e32 v5, v12
	s_and_b32 s8, s38, 3
	s_cmp_eq_u32 s8, 0
	s_cbranch_scc0 .LBB24_1122
.LBB24_1119:
	s_cbranch_execz .LBB24_1125
	s_branch .LBB24_1127
.LBB24_1120:
                                        ; implicit-def: $vgpr12
                                        ; implicit-def: $vgpr4
	s_branch .LBB24_1125
.LBB24_1121:
	s_mov_b32 s3, s2
	s_waitcnt vmcnt(0)
	v_pk_mov_b32 v[4:5], s[2:3], s[2:3] op_sel:[0,1]
                                        ; implicit-def: $vgpr12
	v_mov_b32_e32 v1, v0
	s_and_b32 s8, s38, 3
	s_cmp_eq_u32 s8, 0
	s_cbranch_scc1 .LBB24_1119
.LBB24_1122:
	s_lshl_b32 s3, s2, 3
	s_add_u32 s3, s3, s34
	s_addc_u32 s7, 0, s35
	s_add_u32 s6, s3, 0xc4
	s_addc_u32 s7, s7, 0
	s_mul_i32 s2, s2, 12
	s_add_u32 s2, s34, s2
	s_addc_u32 s3, 0, s35
.LBB24_1123:                            ; =>This Inner Loop Header: Depth=1
	s_load_dwordx2 s[10:11], s[2:3], 0x4
	s_load_dword s9, s[2:3], 0xc
	s_load_dwordx2 s[12:13], s[6:7], 0x0
	s_add_u32 s2, s2, 12
	v_mov_b32_e32 v2, v5
	s_waitcnt lgkmcnt(0)
	v_mul_hi_u32 v3, s11, v1
	v_add_u32_e32 v3, v1, v3
	v_lshrrev_b32_e32 v3, s9, v3
	s_addc_u32 s3, s3, 0
	v_mul_lo_u32 v5, v3, s10
	s_add_u32 s6, s6, 8
	v_sub_u32_e32 v5, v1, v5
	s_addc_u32 s7, s7, 0
	s_add_i32 s8, s8, -1
	v_mov_b32_e32 v1, v3
	v_mad_u64_u32 v[2:3], s[10:11], v5, s13, v[2:3]
	v_mad_u64_u32 v[4:5], s[10:11], v5, s12, v[4:5]
	s_cmp_lg_u32 s8, 0
	v_mov_b32_e32 v5, v2
	s_cbranch_scc1 .LBB24_1123
; %bb.1124:
	v_mov_b32_e32 v12, v5
	s_cbranch_execnz .LBB24_1127
.LBB24_1125:
	s_load_dwordx4 s[8:11], s[34:35], 0x4
	s_load_dwordx2 s[2:3], s[34:35], 0xc4
	s_cmp_lt_u32 s33, 2
	s_waitcnt lgkmcnt(0)
	v_mul_hi_u32 v1, s9, v0
	v_add_u32_e32 v1, v0, v1
	v_lshrrev_b32_e32 v1, s10, v1
	v_mul_lo_u32 v2, v1, s8
	v_sub_u32_e32 v0, v0, v2
	v_mul_lo_u32 v12, v0, s3
	v_mul_lo_u32 v4, v0, s2
	s_cbranch_scc1 .LBB24_1127
; %bb.1126:
	s_load_dwordx4 s[8:11], s[34:35], 0x10
	s_load_dwordx2 s[2:3], s[34:35], 0xcc
	s_waitcnt lgkmcnt(0)
	v_mul_hi_u32 v0, s9, v1
	v_add_u32_e32 v0, v1, v0
	v_lshrrev_b32_e32 v0, s10, v0
	v_mul_lo_u32 v0, v0, s8
	v_sub_u32_e32 v0, v1, v0
	s_waitcnt vmcnt(0)
	v_mad_u64_u32 v[4:5], s[6:7], v0, s2, v[4:5]
	v_mad_u64_u32 v[12:13], s[2:3], v0, s3, v[12:13]
.LBB24_1127:
	s_and_b64 vcc, exec, s[0:1]
	v_add_u32_e32 v0, 0x100, v8
	s_cbranch_vccnz .LBB24_1134
; %bb.1128:
	s_mov_b32 s2, 0
	s_cmp_lg_u32 s33, 0
	v_mov_b32_e32 v10, 0
	v_mov_b32_e32 v2, 0
	s_cbranch_scc0 .LBB24_1133
; %bb.1129:
	s_min_u32 s38, s78, 15
	s_add_i32 s38, s38, 1
	s_cmp_eq_u32 s78, 2
	s_cbranch_scc1 .LBB24_1135
; %bb.1130:
	s_add_u32 s6, s34, 0xc4
	s_addc_u32 s7, s35, 0
	s_and_b32 s2, s38, 28
	s_mov_b32 s3, 0
	v_mov_b32_e32 v2, 0
	s_mov_b64 s[36:37], s[34:35]
	v_mov_b32_e32 v1, v0
	v_mov_b32_e32 v10, 0
.LBB24_1131:                            ; =>This Inner Loop Header: Depth=1
	s_load_dwordx8 s[16:23], s[36:37], 0x4
	s_load_dwordx4 s[24:27], s[36:37], 0x24
	s_load_dwordx8 s[8:15], s[6:7], 0x0
	s_add_u32 s36, s36, 48
	s_addc_u32 s37, s37, 0
	s_waitcnt lgkmcnt(0)
	v_mul_hi_u32 v3, s17, v1
	v_add_u32_e32 v3, v1, v3
	v_lshrrev_b32_e32 v3, s18, v3
	s_waitcnt vmcnt(0)
	v_mul_lo_u32 v5, v3, s16
	v_mul_hi_u32 v7, s20, v3
	v_sub_u32_e32 v1, v1, v5
	v_add_u32_e32 v5, v3, v7
	v_lshrrev_b32_e32 v5, s21, v5
	v_mul_lo_u32 v8, v5, s19
	v_mul_hi_u32 v11, s23, v5
	v_sub_u32_e32 v3, v3, v8
	v_add_u32_e32 v8, v5, v11
	v_mul_lo_u32 v7, v1, s9
	v_mul_lo_u32 v1, v1, s8
	;; [unrolled: 1-line block ×4, first 2 shown]
	v_lshrrev_b32_e32 v8, s24, v8
	v_add3_u32 v2, v1, v2, v3
	v_add3_u32 v3, v7, v10, v11
	v_mul_lo_u32 v1, v8, s22
	v_mul_hi_u32 v7, s26, v8
	v_sub_u32_e32 v1, v5, v1
	v_add_u32_e32 v5, v8, v7
	v_mul_lo_u32 v7, v1, s12
	v_mul_lo_u32 v10, v1, s13
	v_lshrrev_b32_e32 v1, s27, v5
	s_add_i32 s3, s3, 4
	v_mul_lo_u32 v5, v1, s25
	s_add_u32 s6, s6, 32
	v_sub_u32_e32 v5, v8, v5
	s_addc_u32 s7, s7, 0
	v_mul_lo_u32 v8, v5, s14
	v_mul_lo_u32 v5, v5, s15
	s_cmp_lg_u32 s2, s3
	v_add3_u32 v10, v10, v3, v5
	v_add3_u32 v2, v7, v2, v8
	s_cbranch_scc1 .LBB24_1131
; %bb.1132:
	v_mov_b32_e32 v3, v10
	s_and_b32 s8, s38, 3
	s_cmp_eq_u32 s8, 0
	s_cbranch_scc0 .LBB24_1136
.LBB24_1133:
	s_cbranch_execz .LBB24_1139
	s_branch .LBB24_1141
.LBB24_1134:
                                        ; implicit-def: $vgpr10
                                        ; implicit-def: $vgpr2
	s_branch .LBB24_1139
.LBB24_1135:
	s_mov_b32 s3, s2
	v_pk_mov_b32 v[2:3], s[2:3], s[2:3] op_sel:[0,1]
                                        ; implicit-def: $vgpr10
	v_mov_b32_e32 v1, v0
	s_and_b32 s8, s38, 3
	s_cmp_eq_u32 s8, 0
	s_cbranch_scc1 .LBB24_1133
.LBB24_1136:
	s_lshl_b32 s3, s2, 3
	s_add_u32 s3, s3, s34
	s_addc_u32 s7, 0, s35
	s_add_u32 s6, s3, 0xc4
	s_addc_u32 s7, s7, 0
	s_mul_i32 s2, s2, 12
	s_add_u32 s2, s34, s2
	s_addc_u32 s3, 0, s35
.LBB24_1137:                            ; =>This Inner Loop Header: Depth=1
	s_load_dwordx2 s[10:11], s[2:3], 0x4
	s_load_dword s9, s[2:3], 0xc
	s_load_dwordx2 s[12:13], s[6:7], 0x0
	v_mov_b32_e32 v8, v3
	s_add_u32 s2, s2, 12
	s_waitcnt lgkmcnt(0)
	v_mul_hi_u32 v3, s11, v1
	v_add_u32_e32 v3, v1, v3
	v_lshrrev_b32_e32 v3, s9, v3
	s_addc_u32 s3, s3, 0
	s_waitcnt vmcnt(0)
	v_mul_lo_u32 v5, v3, s10
	s_add_u32 s6, s6, 8
	v_sub_u32_e32 v5, v1, v5
	s_addc_u32 s7, s7, 0
	s_add_i32 s8, s8, -1
	v_mov_b32_e32 v1, v3
	v_mad_u64_u32 v[10:11], s[10:11], v5, s13, v[8:9]
	v_mad_u64_u32 v[2:3], s[10:11], v5, s12, v[2:3]
	s_cmp_lg_u32 s8, 0
	v_mov_b32_e32 v3, v10
	s_cbranch_scc1 .LBB24_1137
; %bb.1138:
	v_mov_b32_e32 v10, v3
	s_cbranch_execnz .LBB24_1141
.LBB24_1139:
	s_load_dwordx4 s[8:11], s[34:35], 0x4
	s_load_dwordx2 s[2:3], s[34:35], 0xc4
	s_cmp_lt_u32 s33, 2
	s_waitcnt lgkmcnt(0)
	v_mul_hi_u32 v1, s9, v0
	v_add_u32_e32 v1, v0, v1
	v_lshrrev_b32_e32 v1, s10, v1
	v_mul_lo_u32 v2, v1, s8
	v_sub_u32_e32 v0, v0, v2
	v_mul_lo_u32 v10, v0, s3
	v_mul_lo_u32 v2, v0, s2
	s_cbranch_scc1 .LBB24_1141
; %bb.1140:
	s_load_dwordx4 s[8:11], s[34:35], 0x10
	s_load_dwordx2 s[2:3], s[34:35], 0xcc
	s_waitcnt lgkmcnt(0)
	v_mul_hi_u32 v0, s9, v1
	v_add_u32_e32 v0, v1, v0
	v_lshrrev_b32_e32 v0, s10, v0
	v_mul_lo_u32 v0, v0, s8
	v_sub_u32_e32 v0, v1, v0
	v_mad_u64_u32 v[2:3], s[6:7], v0, s2, v[2:3]
	v_mad_u64_u32 v[10:11], s[2:3], v0, s3, v[10:11]
.LBB24_1141:
	s_and_b64 vcc, exec, s[0:1]
	s_cbranch_vccnz .LBB24_1148
; %bb.1142:
	s_mov_b32 s6, 0
	s_cmp_lg_u32 s33, 0
	v_mov_b32_e32 v8, 0
	v_mov_b32_e32 v0, 0
	s_cbranch_scc0 .LBB24_1147
; %bb.1143:
	s_min_u32 s36, s78, 15
	s_add_i32 s36, s36, 1
	s_cmp_eq_u32 s78, 2
	s_cbranch_scc1 .LBB24_1149
; %bb.1144:
	s_add_u32 s24, s34, 0xc4
	s_addc_u32 s25, s35, 0
	s_and_b32 s6, s36, 28
	s_mov_b32 s7, 0
	v_mov_b32_e32 v0, 0
	s_mov_b64 s[26:27], s[34:35]
	v_mov_b32_e32 v3, v9
	v_mov_b32_e32 v8, 0
.LBB24_1145:                            ; =>This Inner Loop Header: Depth=1
	s_load_dwordx8 s[16:23], s[26:27], 0x4
	s_load_dwordx4 s[0:3], s[26:27], 0x24
	s_load_dwordx8 s[8:15], s[24:25], 0x0
	s_add_u32 s26, s26, 48
	s_addc_u32 s27, s27, 0
	s_waitcnt lgkmcnt(0)
	v_mul_hi_u32 v1, s17, v3
	v_add_u32_e32 v1, v3, v1
	v_lshrrev_b32_e32 v1, s18, v1
	s_waitcnt vmcnt(0)
	v_mul_lo_u32 v5, v1, s16
	v_mul_hi_u32 v7, s20, v1
	v_sub_u32_e32 v3, v3, v5
	v_add_u32_e32 v5, v1, v7
	v_lshrrev_b32_e32 v5, s21, v5
	v_mul_lo_u32 v11, v5, s19
	v_mul_hi_u32 v13, s23, v5
	v_sub_u32_e32 v1, v1, v11
	v_add_u32_e32 v11, v5, v13
	v_mul_lo_u32 v7, v3, s9
	v_mul_lo_u32 v3, v3, s8
	;; [unrolled: 1-line block ×4, first 2 shown]
	v_lshrrev_b32_e32 v11, s0, v11
	v_add3_u32 v0, v3, v0, v1
	v_add3_u32 v1, v7, v8, v13
	v_mul_lo_u32 v3, v11, s22
	v_mul_hi_u32 v7, s2, v11
	v_sub_u32_e32 v3, v5, v3
	v_add_u32_e32 v5, v11, v7
	v_mul_lo_u32 v7, v3, s12
	v_mul_lo_u32 v8, v3, s13
	v_lshrrev_b32_e32 v3, s3, v5
	s_add_i32 s7, s7, 4
	v_mul_lo_u32 v5, v3, s1
	s_add_u32 s24, s24, 32
	v_sub_u32_e32 v5, v11, v5
	s_addc_u32 s25, s25, 0
	v_mul_lo_u32 v11, v5, s14
	v_mul_lo_u32 v5, v5, s15
	s_cmp_lg_u32 s6, s7
	v_add3_u32 v8, v8, v1, v5
	v_add3_u32 v0, v7, v0, v11
	s_cbranch_scc1 .LBB24_1145
; %bb.1146:
	v_mov_b32_e32 v1, v8
	s_and_b32 s7, s36, 3
	s_cmp_eq_u32 s7, 0
	s_cbranch_scc0 .LBB24_1150
.LBB24_1147:
	s_cbranch_execz .LBB24_1153
	s_branch .LBB24_1155
.LBB24_1148:
                                        ; implicit-def: $vgpr8
                                        ; implicit-def: $vgpr0
	s_branch .LBB24_1153
.LBB24_1149:
	s_mov_b32 s7, s6
	v_pk_mov_b32 v[0:1], s[6:7], s[6:7] op_sel:[0,1]
                                        ; implicit-def: $vgpr8
	v_mov_b32_e32 v3, v9
	s_and_b32 s7, s36, 3
	s_cmp_eq_u32 s7, 0
	s_cbranch_scc1 .LBB24_1147
.LBB24_1150:
	s_lshl_b32 s0, s6, 3
	s_add_u32 s0, s0, s34
	s_addc_u32 s1, 0, s35
	s_add_u32 s0, s0, 0xc4
	s_addc_u32 s1, s1, 0
	s_mul_i32 s2, s6, 12
	s_add_u32 s2, s34, s2
	s_addc_u32 s3, 0, s35
.LBB24_1151:                            ; =>This Inner Loop Header: Depth=1
	s_load_dwordx2 s[8:9], s[2:3], 0x4
	s_load_dword s6, s[2:3], 0xc
	s_load_dwordx2 s[10:11], s[0:1], 0x0
	v_mov_b32_e32 v8, v1
	s_add_u32 s2, s2, 12
	s_waitcnt lgkmcnt(0)
	v_mul_hi_u32 v1, s9, v3
	v_add_u32_e32 v1, v3, v1
	v_lshrrev_b32_e32 v1, s6, v1
	s_addc_u32 s3, s3, 0
	s_waitcnt vmcnt(0)
	v_mul_lo_u32 v5, v1, s8
	s_add_u32 s0, s0, 8
	v_sub_u32_e32 v5, v3, v5
	s_addc_u32 s1, s1, 0
	s_add_i32 s7, s7, -1
	v_mov_b32_e32 v3, v1
	v_mad_u64_u32 v[16:17], s[8:9], v5, s11, v[8:9]
	v_mad_u64_u32 v[0:1], s[8:9], v5, s10, v[0:1]
	s_cmp_lg_u32 s7, 0
	v_mov_b32_e32 v1, v16
	s_cbranch_scc1 .LBB24_1151
; %bb.1152:
	v_mov_b32_e32 v8, v1
	s_cbranch_execnz .LBB24_1155
.LBB24_1153:
	s_load_dwordx4 s[0:3], s[34:35], 0x4
	s_load_dwordx2 s[6:7], s[34:35], 0xc4
	s_cmp_lt_u32 s33, 2
	s_waitcnt lgkmcnt(0)
	v_mul_hi_u32 v0, s1, v9
	v_add_u32_e32 v0, v9, v0
	v_lshrrev_b32_e32 v1, s2, v0
	v_mul_lo_u32 v0, v1, s0
	v_sub_u32_e32 v0, v9, v0
	v_mul_lo_u32 v8, v0, s7
	v_mul_lo_u32 v0, v0, s6
	s_cbranch_scc1 .LBB24_1155
; %bb.1154:
	s_load_dwordx4 s[0:3], s[34:35], 0x10
	s_load_dwordx2 s[6:7], s[34:35], 0xcc
	s_waitcnt lgkmcnt(0)
	v_mul_hi_u32 v3, s1, v1
	v_add_u32_e32 v3, v1, v3
	v_lshrrev_b32_e32 v3, s2, v3
	v_mul_lo_u32 v3, v3, s0
	v_sub_u32_e32 v3, v1, v3
	v_mad_u64_u32 v[0:1], s[0:1], v3, s6, v[0:1]
	v_mad_u64_u32 v[8:9], s[0:1], v3, s7, v[8:9]
.LBB24_1155:
	s_load_dword s0, s[4:5], 0x170
	s_load_dwordx8 s[8:15], s[34:35], 0x148
	s_waitcnt lgkmcnt(0)
	s_lshr_b32 s20, s0, 8
	v_mov_b32_e32 v1, s11
	v_add_co_u32_e32 v14, vcc, s10, v14
	v_addc_co_u32_e32 v15, vcc, 0, v1, vcc
	v_mov_b32_e32 v1, 11
	v_cmp_lt_i16_sdwa s[0:1], s20, v1 src0_sel:BYTE_0 src1_sel:DWORD
	s_and_b64 vcc, exec, s[0:1]
	s_cbranch_vccnz .LBB24_1162
; %bb.1156:
	v_mov_b32_e32 v1, 25
	v_cmp_gt_i16_sdwa s[0:1], s20, v1 src0_sel:BYTE_0 src1_sel:DWORD
	s_mov_b64 s[4:5], 0
	s_and_b64 vcc, exec, s[0:1]
	s_cbranch_vccz .LBB24_1164
; %bb.1157:
	v_mov_b32_e32 v1, 28
	v_cmp_gt_i16_sdwa s[0:1], s20, v1 src0_sel:BYTE_0 src1_sel:DWORD
	s_and_b64 vcc, exec, s[0:1]
	s_cbranch_vccz .LBB24_1165
; %bb.1158:
	v_mov_b32_e32 v1, 43
	v_cmp_gt_i16_sdwa s[0:1], s20, v1 src0_sel:BYTE_0 src1_sel:DWORD
	;; [unrolled: 5-line block ×3, first 2 shown]
	s_and_b64 vcc, exec, s[0:1]
	s_cbranch_vccz .LBB24_1167
; %bb.1160:
	v_mov_b32_e32 v1, 46
	v_cmp_eq_u16_sdwa s[0:1], s20, v1 src0_sel:BYTE_0 src1_sel:DWORD
	s_mov_b64 s[2:3], 0
	s_and_b64 vcc, exec, s[0:1]
	s_cbranch_vccz .LBB24_1170
; %bb.1161:
	global_load_dword v1, v[14:15], off
	s_mov_b64 s[0:1], 0
	s_mov_b64 s[6:7], -1
	s_waitcnt vmcnt(0)
	v_lshlrev_b32_e32 v1, 16, v1
	v_cvt_f16_f32_e32 v1, v1
	s_branch .LBB24_1171
.LBB24_1162:
	s_mov_b64 s[6:7], 0
                                        ; implicit-def: $vgpr1
	s_mov_b64 s[2:3], s[28:29]
	s_cbranch_execnz .LBB24_1234
.LBB24_1163:
	s_andn2_b64 vcc, exec, s[6:7]
	s_cbranch_vccz .LBB24_1279
	s_branch .LBB24_2060
.LBB24_1164:
	s_mov_b64 s[6:7], 0
	s_mov_b64 s[0:1], 0
                                        ; implicit-def: $vgpr1
	s_cbranch_execnz .LBB24_1199
	s_branch .LBB24_1230
.LBB24_1165:
	s_mov_b64 s[2:3], -1
	s_mov_b64 s[6:7], 0
	s_mov_b64 s[0:1], 0
                                        ; implicit-def: $vgpr1
	s_branch .LBB24_1180
.LBB24_1166:
	s_mov_b64 s[6:7], 0
	s_mov_b64 s[0:1], 0
                                        ; implicit-def: $vgpr1
	s_cbranch_execnz .LBB24_1176
	s_branch .LBB24_1179
.LBB24_1167:
	s_mov_b64 s[2:3], -1
	s_mov_b64 s[6:7], 0
	s_mov_b64 s[0:1], 0
                                        ; implicit-def: $vgpr1
	s_branch .LBB24_1171
.LBB24_1168:
	s_or_saveexec_b64 s[14:15], s[14:15]
                                        ; implicit-def: $sgpr16
	s_xor_b64 exec, exec, s[14:15]
	s_cbranch_execz .LBB24_1011
.LBB24_1169:
	s_mov_b32 s16, 0x46000000
	v_add_f32_e64 v5, |v0|, s16
	v_and_b32_e32 v5, 0xff, v5
	v_cmp_ne_u32_e32 vcc, 0, v5
	s_andn2_b64 s[12:13], s[12:13], exec
	s_and_b64 s[18:19], vcc, exec
	s_mov_b32 s16, 0
	s_or_b64 s[12:13], s[12:13], s[18:19]
	s_or_b64 exec, exec, s[14:15]
	v_mov_b32_e32 v6, s16
	s_and_saveexec_b64 s[14:15], s[12:13]
	s_cbranch_execnz .LBB24_1012
	s_branch .LBB24_1013
.LBB24_1170:
	s_mov_b64 s[0:1], -1
                                        ; implicit-def: $vgpr1
	s_mov_b64 s[6:7], 0
.LBB24_1171:
	s_and_b64 vcc, exec, s[2:3]
	s_cbranch_vccz .LBB24_1174
; %bb.1172:
	v_mov_b32_e32 v1, 44
	v_cmp_eq_u16_sdwa s[0:1], s20, v1 src0_sel:BYTE_0 src1_sel:DWORD
	s_and_b64 vcc, exec, s[0:1]
	s_cbranch_vccz .LBB24_1175
; %bb.1173:
	global_load_ubyte v1, v[14:15], off
	s_movk_i32 s2, 0xff
	s_waitcnt vmcnt(1)
	v_mov_b32_e32 v5, 0x7e00
	s_mov_b64 s[0:1], 0
	s_mov_b64 s[6:7], -1
	s_waitcnt vmcnt(0)
	v_lshlrev_b32_e32 v3, 23, v1
	v_cvt_f16_f32_e32 v3, v3
	v_cmp_ne_u32_e32 vcc, s2, v1
	v_cndmask_b32_e32 v3, v5, v3, vcc
	v_cmp_ne_u32_e32 vcc, 0, v1
	v_cndmask_b32_e32 v1, 0, v3, vcc
.LBB24_1174:
	s_branch .LBB24_1179
.LBB24_1175:
	s_mov_b64 s[0:1], -1
                                        ; implicit-def: $vgpr1
	s_branch .LBB24_1179
.LBB24_1176:
	v_mov_b32_e32 v1, 29
	v_cmp_eq_u16_sdwa s[0:1], s20, v1 src0_sel:BYTE_0 src1_sel:DWORD
	s_and_b64 vcc, exec, s[0:1]
	s_cbranch_vccz .LBB24_1178
; %bb.1177:
	global_load_dwordx2 v[16:17], v[14:15], off
	s_mov_b64 s[0:1], 0
	s_mov_b64 s[6:7], -1
	s_mov_b64 s[2:3], 0
	s_waitcnt vmcnt(0)
	v_ffbh_u32_e32 v1, v17
	v_min_u32_e32 v1, 32, v1
	v_lshlrev_b64 v[16:17], v1, v[16:17]
	v_min_u32_e32 v3, 1, v16
	v_or_b32_e32 v3, v17, v3
	v_cvt_f32_u32_e32 v3, v3
	v_sub_u32_e32 v1, 32, v1
	v_ldexp_f32 v1, v3, v1
	v_cvt_f16_f32_e32 v1, v1
	s_branch .LBB24_1180
.LBB24_1178:
	s_mov_b64 s[0:1], -1
                                        ; implicit-def: $vgpr1
.LBB24_1179:
	s_mov_b64 s[2:3], 0
.LBB24_1180:
	s_and_b64 vcc, exec, s[2:3]
	s_cbranch_vccz .LBB24_1198
; %bb.1181:
	v_mov_b32_e32 v1, 27
	v_cmp_lt_i16_sdwa s[2:3], s20, v1 src0_sel:BYTE_0 src1_sel:DWORD
	s_and_b64 vcc, exec, s[2:3]
	s_cbranch_vccnz .LBB24_1184
; %bb.1182:
	v_cmp_gt_i16_sdwa s[2:3], s20, v1 src0_sel:BYTE_0 src1_sel:DWORD
	s_and_b64 vcc, exec, s[2:3]
	s_cbranch_vccz .LBB24_1185
; %bb.1183:
	global_load_dword v1, v[14:15], off
	s_mov_b64 s[2:3], 0
	s_waitcnt vmcnt(0)
	v_cvt_f32_u32_e32 v1, v1
	v_cvt_f16_f32_e32 v1, v1
	s_branch .LBB24_1186
.LBB24_1184:
	s_mov_b64 s[2:3], -1
                                        ; implicit-def: $vgpr1
	s_branch .LBB24_1189
.LBB24_1185:
	s_mov_b64 s[2:3], -1
                                        ; implicit-def: $vgpr1
.LBB24_1186:
	s_andn2_b64 vcc, exec, s[2:3]
	s_cbranch_vccnz .LBB24_1188
; %bb.1187:
	global_load_ushort v1, v[14:15], off
	s_waitcnt vmcnt(0)
	v_cvt_f16_u16_e32 v1, v1
.LBB24_1188:
	s_mov_b64 s[2:3], 0
.LBB24_1189:
	s_andn2_b64 vcc, exec, s[2:3]
	s_cbranch_vccnz .LBB24_1197
; %bb.1190:
	global_load_ubyte v3, v[14:15], off
	s_movk_i32 s2, 0x7f
                                        ; implicit-def: $sgpr18
	s_waitcnt vmcnt(0)
	v_cmp_lt_i16_e32 vcc, s2, v3
	s_mov_b64 s[2:3], 0
	s_and_saveexec_b64 s[6:7], vcc
	s_xor_b64 s[6:7], exec, s[6:7]
	s_cbranch_execz .LBB24_1210
; %bb.1191:
	s_movk_i32 s2, 0x80
	v_cmp_eq_u16_e32 vcc, s2, v3
	s_mov_b64 s[2:3], -1
                                        ; implicit-def: $sgpr18
	s_and_saveexec_b64 s[16:17], vcc
; %bb.1192:
	s_movk_i32 s18, 0x7e00
	s_xor_b64 s[2:3], exec, -1
; %bb.1193:
	s_or_b64 exec, exec, s[16:17]
	s_and_b64 s[2:3], s[2:3], exec
	s_or_saveexec_b64 s[6:7], s[6:7]
	v_mov_b32_e32 v1, s18
	s_xor_b64 exec, exec, s[6:7]
	s_cbranch_execnz .LBB24_1211
.LBB24_1194:
	s_or_b64 exec, exec, s[6:7]
	s_and_saveexec_b64 s[6:7], s[2:3]
	s_cbranch_execz .LBB24_1196
.LBB24_1195:
	v_lshlrev_b32_e32 v1, 24, v3
	v_and_b32_e32 v3, 0xffff, v3
	v_and_b32_e32 v5, 7, v3
	v_ffbh_u32_e32 v9, v5
	v_min_u32_e32 v9, 32, v9
	v_subrev_u32_e32 v11, 28, v9
	v_bfe_u32 v7, v3, 3, 4
	v_lshlrev_b32_e32 v3, v11, v3
	v_sub_u32_e32 v9, 29, v9
	v_and_b32_e32 v3, 7, v3
	v_cmp_eq_u32_e32 vcc, 0, v7
	v_cndmask_b32_e32 v7, v7, v9, vcc
	v_cndmask_b32_e32 v3, v5, v3, vcc
	v_mov_b32_e32 v5, 0x3b800000
	v_lshlrev_b32_e32 v3, 20, v3
	v_and_b32_e32 v1, 0x80000000, v1
	v_lshl_add_u32 v5, v7, 23, v5
	v_or3_b32 v1, v1, v5, v3
	v_cvt_f16_f32_e32 v1, v1
.LBB24_1196:
	s_or_b64 exec, exec, s[6:7]
.LBB24_1197:
	s_mov_b64 s[6:7], -1
.LBB24_1198:
	s_branch .LBB24_1230
.LBB24_1199:
	v_mov_b32_e32 v1, 22
	v_cmp_gt_i16_sdwa s[2:3], s20, v1 src0_sel:BYTE_0 src1_sel:DWORD
	s_and_b64 vcc, exec, s[2:3]
	s_cbranch_vccz .LBB24_1209
; %bb.1200:
	v_mov_b32_e32 v1, 24
	v_cmp_lt_i16_sdwa s[2:3], s20, v1 src0_sel:BYTE_0 src1_sel:DWORD
	s_and_b64 vcc, exec, s[2:3]
	s_cbranch_vccnz .LBB24_1212
; %bb.1201:
	v_cmp_gt_i16_sdwa s[2:3], s20, v1 src0_sel:BYTE_0 src1_sel:DWORD
	s_and_b64 vcc, exec, s[2:3]
	s_cbranch_vccz .LBB24_1213
; %bb.1202:
	global_load_ubyte v3, v[14:15], off
	s_movk_i32 s2, 0x7f
                                        ; implicit-def: $sgpr16
	s_waitcnt vmcnt(0)
	v_cmp_lt_i16_e32 vcc, s2, v3
	s_mov_b64 s[2:3], 0
	s_and_saveexec_b64 s[4:5], vcc
	s_xor_b64 s[4:5], exec, s[4:5]
	s_cbranch_execz .LBB24_1224
; %bb.1203:
	s_movk_i32 s2, 0x80
	v_cmp_eq_u16_e32 vcc, s2, v3
	s_mov_b64 s[2:3], -1
                                        ; implicit-def: $sgpr16
	s_and_saveexec_b64 s[6:7], vcc
; %bb.1204:
	s_movk_i32 s16, 0x7e00
	s_xor_b64 s[2:3], exec, -1
; %bb.1205:
	s_or_b64 exec, exec, s[6:7]
	s_and_b64 s[2:3], s[2:3], exec
	s_or_saveexec_b64 s[4:5], s[4:5]
	v_mov_b32_e32 v1, s16
	s_xor_b64 exec, exec, s[4:5]
	s_cbranch_execnz .LBB24_1225
.LBB24_1206:
	s_or_b64 exec, exec, s[4:5]
	s_and_saveexec_b64 s[4:5], s[2:3]
	s_cbranch_execz .LBB24_1208
.LBB24_1207:
	v_lshlrev_b32_e32 v1, 24, v3
	v_and_b32_e32 v3, 0xffff, v3
	v_and_b32_e32 v5, 3, v3
	v_ffbh_u32_e32 v9, v5
	v_min_u32_e32 v9, 32, v9
	v_subrev_u32_e32 v11, 29, v9
	v_bfe_u32 v7, v3, 2, 5
	v_lshlrev_b32_e32 v3, v11, v3
	v_sub_u32_e32 v9, 30, v9
	v_and_b32_e32 v3, 3, v3
	v_cmp_eq_u32_e32 vcc, 0, v7
	v_cndmask_b32_e32 v7, v7, v9, vcc
	v_cndmask_b32_e32 v3, v5, v3, vcc
	v_mov_b32_e32 v5, 0x37800000
	v_lshlrev_b32_e32 v3, 21, v3
	v_and_b32_e32 v1, 0x80000000, v1
	v_lshl_add_u32 v5, v7, 23, v5
	v_or3_b32 v1, v1, v5, v3
	v_cvt_f16_f32_e32 v1, v1
.LBB24_1208:
	s_or_b64 exec, exec, s[4:5]
	s_mov_b64 s[2:3], 0
	s_branch .LBB24_1214
.LBB24_1209:
                                        ; implicit-def: $vgpr1
	s_mov_b64 s[4:5], 0
	s_branch .LBB24_1220
.LBB24_1210:
	s_or_saveexec_b64 s[6:7], s[6:7]
	v_mov_b32_e32 v1, s18
	s_xor_b64 exec, exec, s[6:7]
	s_cbranch_execz .LBB24_1194
.LBB24_1211:
	v_cmp_ne_u16_e32 vcc, 0, v3
	s_andn2_b64 s[2:3], s[2:3], exec
	s_and_b64 s[16:17], vcc, exec
	s_or_b64 s[2:3], s[2:3], s[16:17]
	v_mov_b32_e32 v1, v3
	s_or_b64 exec, exec, s[6:7]
	s_and_saveexec_b64 s[6:7], s[2:3]
	s_cbranch_execnz .LBB24_1195
	s_branch .LBB24_1196
.LBB24_1212:
	s_mov_b64 s[2:3], -1
                                        ; implicit-def: $vgpr1
	s_branch .LBB24_1217
.LBB24_1213:
	s_mov_b64 s[2:3], -1
                                        ; implicit-def: $vgpr1
.LBB24_1214:
	s_and_b64 vcc, exec, s[2:3]
	s_cbranch_vccz .LBB24_1216
; %bb.1215:
	global_load_ubyte v1, v[14:15], off
	s_mov_b32 s2, 0x7f800000
	s_waitcnt vmcnt(0)
	v_lshlrev_b32_e32 v1, 24, v1
	v_and_b32_e32 v3, 0x7f000000, v1
	v_ffbh_u32_e32 v5, v3
	v_min_u32_e32 v5, 32, v5
	v_sub_u32_e64 v5, v5, 4 clamp
	v_lshlrev_b32_e32 v9, v5, v3
	v_lshlrev_b32_e32 v5, 23, v5
	v_lshrrev_b32_e32 v9, 4, v9
	v_add_u32_e32 v7, 0x1000000, v3
	v_sub_u32_e32 v5, v9, v5
	v_ashrrev_i32_e32 v7, 8, v7
	v_add_u32_e32 v5, 0x3c000000, v5
	v_and_or_b32 v5, v7, s2, v5
	v_cmp_ne_u32_e32 vcc, 0, v3
	v_cndmask_b32_e32 v3, 0, v5, vcc
	s_brev_b32 s2, 1
	v_and_or_b32 v1, v1, s2, v3
	v_cvt_f16_f32_e32 v1, v1
.LBB24_1216:
	s_mov_b64 s[2:3], 0
.LBB24_1217:
	s_andn2_b64 vcc, exec, s[2:3]
	s_cbranch_vccnz .LBB24_1219
; %bb.1218:
	global_load_ubyte v1, v[14:15], off
	s_movk_i32 s2, 0x7f00
	s_brev_b32 s3, 16
	s_waitcnt vmcnt(0)
	v_lshlrev_b16_e32 v3, 8, v1
	v_lshlrev_b32_e32 v1, 25, v1
	v_lshrrev_b32_e32 v5, 4, v1
	v_and_or_b32 v7, v3, s2, 0.5
	v_or_b32_e32 v5, 0x70000000, v5
	v_add_f32_e32 v7, -0.5, v7
	v_mul_f32_e32 v5, 0x7800000, v5
	v_cmp_gt_u32_e32 vcc, s3, v1
	v_bfe_i32 v3, v3, 0, 16
	v_cndmask_b32_e32 v1, v5, v7, vcc
	s_brev_b32 s2, 1
	v_and_or_b32 v1, v3, s2, v1
	v_cvt_f16_f32_e32 v1, v1
.LBB24_1219:
	s_mov_b64 s[6:7], -1
	s_mov_b64 s[4:5], 0
	s_cbranch_execnz .LBB24_1230
.LBB24_1220:
	v_mov_b32_e32 v1, 14
	v_cmp_gt_i16_sdwa s[2:3], s20, v1 src0_sel:BYTE_0 src1_sel:DWORD
	s_and_b64 vcc, exec, s[2:3]
	s_cbranch_vccz .LBB24_1223
; %bb.1221:
	v_mov_b32_e32 v1, 15
	v_cmp_eq_u16_sdwa s[0:1], s20, v1 src0_sel:BYTE_0 src1_sel:DWORD
	s_and_b64 vcc, exec, s[0:1]
	s_cbranch_vccz .LBB24_1226
; %bb.1222:
	global_load_ushort v1, v[14:15], off
	s_mov_b64 s[0:1], 0
	s_mov_b64 s[6:7], -1
	s_waitcnt vmcnt(0)
	v_lshlrev_b32_e32 v1, 16, v1
	v_cvt_f16_f32_e32 v1, v1
	s_branch .LBB24_1227
.LBB24_1223:
	s_mov_b64 s[2:3], -1
                                        ; implicit-def: $vgpr1
	s_branch .LBB24_1228
.LBB24_1224:
	s_or_saveexec_b64 s[4:5], s[4:5]
	v_mov_b32_e32 v1, s16
	s_xor_b64 exec, exec, s[4:5]
	s_cbranch_execz .LBB24_1206
.LBB24_1225:
	v_cmp_ne_u16_e32 vcc, 0, v3
	s_andn2_b64 s[2:3], s[2:3], exec
	s_and_b64 s[6:7], vcc, exec
	s_or_b64 s[2:3], s[2:3], s[6:7]
	v_mov_b32_e32 v1, v3
	s_or_b64 exec, exec, s[4:5]
	s_and_saveexec_b64 s[4:5], s[2:3]
	s_cbranch_execnz .LBB24_1207
	s_branch .LBB24_1208
.LBB24_1226:
	s_mov_b64 s[0:1], -1
                                        ; implicit-def: $vgpr1
.LBB24_1227:
	s_mov_b64 s[2:3], 0
.LBB24_1228:
	s_and_b64 vcc, exec, s[2:3]
	s_cbranch_vccz .LBB24_1230
; %bb.1229:
	v_mov_b32_e32 v1, 11
	v_cmp_ne_u16_sdwa s[0:1], s20, v1 src0_sel:BYTE_0 src1_sel:DWORD
	s_mov_b64 s[4:5], -1
                                        ; implicit-def: $vgpr1
.LBB24_1230:
	s_and_b64 vcc, exec, s[0:1]
	s_mov_b64 s[2:3], s[28:29]
	s_cbranch_vccnz .LBB24_1293
; %bb.1231:
	s_andn2_b64 vcc, exec, s[4:5]
	s_cbranch_vccnz .LBB24_1233
.LBB24_1232:
	global_load_ubyte v1, v[14:15], off
	v_mov_b32_e32 v3, 0x3c00
	s_mov_b64 s[6:7], -1
	s_waitcnt vmcnt(0)
	v_cmp_ne_u16_e32 vcc, 0, v1
	v_cndmask_b32_e32 v1, 0, v3, vcc
.LBB24_1233:
	s_branch .LBB24_1163
.LBB24_1234:
	v_mov_b32_e32 v1, 5
	v_cmp_lt_i16_sdwa s[0:1], s20, v1 src0_sel:BYTE_0 src1_sel:DWORD
	s_and_b64 vcc, exec, s[0:1]
	s_cbranch_vccnz .LBB24_1239
; %bb.1235:
	v_mov_b32_e32 v1, 8
	v_cmp_lt_i16_sdwa s[0:1], s20, v1 src0_sel:BYTE_0 src1_sel:DWORD
	s_and_b64 vcc, exec, s[0:1]
	s_cbranch_vccnz .LBB24_1240
; %bb.1236:
	;; [unrolled: 5-line block ×3, first 2 shown]
	v_cmp_gt_i16_sdwa s[0:1], s20, v1 src0_sel:BYTE_0 src1_sel:DWORD
	s_and_b64 vcc, exec, s[0:1]
	s_cbranch_vccz .LBB24_1242
; %bb.1238:
	global_load_dwordx2 v[16:17], v[14:15], off
	s_mov_b64 s[0:1], 0
	s_waitcnt vmcnt(0)
	v_cvt_f32_f64_e32 v1, v[16:17]
	v_cvt_f16_f32_e32 v1, v1
	s_branch .LBB24_1243
.LBB24_1239:
                                        ; implicit-def: $vgpr1
	s_branch .LBB24_1260
.LBB24_1240:
                                        ; implicit-def: $vgpr1
	s_branch .LBB24_1249
.LBB24_1241:
	s_mov_b64 s[0:1], -1
                                        ; implicit-def: $vgpr1
	s_branch .LBB24_1246
.LBB24_1242:
	s_mov_b64 s[0:1], -1
                                        ; implicit-def: $vgpr1
.LBB24_1243:
	s_andn2_b64 vcc, exec, s[0:1]
	s_cbranch_vccnz .LBB24_1245
; %bb.1244:
	global_load_dword v1, v[14:15], off
	s_waitcnt vmcnt(0)
	v_cvt_f16_f32_e32 v1, v1
.LBB24_1245:
	s_mov_b64 s[0:1], 0
.LBB24_1246:
	s_andn2_b64 vcc, exec, s[0:1]
	s_cbranch_vccnz .LBB24_1248
; %bb.1247:
	global_load_dword v1, v[14:15], off
.LBB24_1248:
	s_cbranch_execnz .LBB24_1259
.LBB24_1249:
	s_waitcnt vmcnt(0)
	v_mov_b32_e32 v1, 6
	v_cmp_lt_i16_sdwa s[0:1], s20, v1 src0_sel:BYTE_0 src1_sel:DWORD
	s_and_b64 vcc, exec, s[0:1]
	s_cbranch_vccnz .LBB24_1252
; %bb.1250:
	v_cmp_gt_i16_sdwa s[0:1], s20, v1 src0_sel:BYTE_0 src1_sel:DWORD
	s_and_b64 vcc, exec, s[0:1]
	s_cbranch_vccz .LBB24_1253
; %bb.1251:
	global_load_dwordx2 v[16:17], v[14:15], off
	s_mov_b64 s[0:1], 0
	s_waitcnt vmcnt(0)
	v_cvt_f32_f64_e32 v1, v[16:17]
	v_cvt_f16_f32_e32 v1, v1
	s_branch .LBB24_1254
.LBB24_1252:
	s_mov_b64 s[0:1], -1
                                        ; implicit-def: $vgpr1
	s_branch .LBB24_1257
.LBB24_1253:
	s_mov_b64 s[0:1], -1
                                        ; implicit-def: $vgpr1
.LBB24_1254:
	s_andn2_b64 vcc, exec, s[0:1]
	s_cbranch_vccnz .LBB24_1256
; %bb.1255:
	global_load_dword v1, v[14:15], off
	s_waitcnt vmcnt(0)
	v_cvt_f16_f32_e32 v1, v1
.LBB24_1256:
	s_mov_b64 s[0:1], 0
.LBB24_1257:
	s_andn2_b64 vcc, exec, s[0:1]
	s_cbranch_vccnz .LBB24_1259
; %bb.1258:
	global_load_ushort v1, v[14:15], off
.LBB24_1259:
	s_cbranch_execnz .LBB24_1278
.LBB24_1260:
	s_waitcnt vmcnt(0)
	v_mov_b32_e32 v1, 2
	v_cmp_lt_i16_sdwa s[0:1], s20, v1 src0_sel:BYTE_0 src1_sel:DWORD
	s_and_b64 vcc, exec, s[0:1]
	s_cbranch_vccnz .LBB24_1264
; %bb.1261:
	v_mov_b32_e32 v1, 3
	v_cmp_lt_i16_sdwa s[0:1], s20, v1 src0_sel:BYTE_0 src1_sel:DWORD
	s_and_b64 vcc, exec, s[0:1]
	s_cbranch_vccnz .LBB24_1265
; %bb.1262:
	v_cmp_gt_i16_sdwa s[0:1], s20, v1 src0_sel:BYTE_0 src1_sel:DWORD
	s_and_b64 vcc, exec, s[0:1]
	s_cbranch_vccz .LBB24_1266
; %bb.1263:
	global_load_dwordx2 v[16:17], v[14:15], off
	s_mov_b64 s[0:1], 0
	s_waitcnt vmcnt(0)
	v_xor_b32_e32 v3, v16, v17
	v_ffbh_i32_e32 v1, v17
	v_ashrrev_i32_e32 v3, 31, v3
	v_add_u32_e32 v1, -1, v1
	v_add_u32_e32 v3, 32, v3
	v_min_u32_e32 v1, v1, v3
	v_lshlrev_b64 v[16:17], v1, v[16:17]
	v_min_u32_e32 v3, 1, v16
	v_or_b32_e32 v3, v17, v3
	v_cvt_f32_i32_e32 v3, v3
	v_sub_u32_e32 v1, 32, v1
	v_ldexp_f32 v1, v3, v1
	v_cvt_f16_f32_e32 v1, v1
	s_branch .LBB24_1267
.LBB24_1264:
                                        ; implicit-def: $vgpr1
	s_branch .LBB24_1273
.LBB24_1265:
	s_mov_b64 s[0:1], -1
                                        ; implicit-def: $vgpr1
	s_branch .LBB24_1270
.LBB24_1266:
	s_mov_b64 s[0:1], -1
                                        ; implicit-def: $vgpr1
.LBB24_1267:
	s_andn2_b64 vcc, exec, s[0:1]
	s_cbranch_vccnz .LBB24_1269
; %bb.1268:
	global_load_dword v1, v[14:15], off
	s_waitcnt vmcnt(0)
	v_cvt_f32_i32_e32 v1, v1
	v_cvt_f16_f32_e32 v1, v1
.LBB24_1269:
	s_mov_b64 s[0:1], 0
.LBB24_1270:
	s_andn2_b64 vcc, exec, s[0:1]
	s_cbranch_vccnz .LBB24_1272
; %bb.1271:
	global_load_ushort v1, v[14:15], off
	s_waitcnt vmcnt(0)
	v_cvt_f16_i16_e32 v1, v1
.LBB24_1272:
	s_cbranch_execnz .LBB24_1278
.LBB24_1273:
	v_mov_b32_e32 v1, 0
	v_cmp_gt_i16_sdwa s[0:1], s20, v1 src0_sel:BYTE_0 src1_sel:DWORD
	s_and_b64 vcc, exec, s[0:1]
	s_cbranch_vccz .LBB24_1275
; %bb.1274:
	global_load_sbyte v1, v[14:15], off
	s_mov_b64 s[0:1], 0
	s_waitcnt vmcnt(0)
	v_cvt_f16_i16_e32 v1, v1
	s_branch .LBB24_1276
.LBB24_1275:
	s_mov_b64 s[0:1], -1
                                        ; implicit-def: $vgpr1
.LBB24_1276:
	s_andn2_b64 vcc, exec, s[0:1]
	s_cbranch_vccnz .LBB24_1278
; %bb.1277:
	global_load_ubyte v1, v[14:15], off
	s_waitcnt vmcnt(0)
	v_cvt_f16_u16_e32 v1, v1
.LBB24_1278:
.LBB24_1279:
	s_waitcnt vmcnt(0)
	v_cvt_f32_f16_e32 v5, v1
	s_mov_b32 s0, 0x7f800000
	v_cmp_nlg_f32_e64 s[4:5], |v5|, s0
	s_and_saveexec_b64 s[0:1], s[4:5]
	s_cbranch_execz .LBB24_1281
; %bb.1280:
	v_mov_b32_e32 v3, 0
	v_mov_b32_e32 v7, 1.0
	global_store_dword v3, v7, s[12:13]
.LBB24_1281:
	s_or_b64 exec, exec, s[0:1]
	v_mov_b32_e32 v3, 0
	global_load_dword v7, v3, s[14:15]
	v_mov_b32_e32 v3, s11
	v_add_co_u32_e32 v12, vcc, s10, v12
	v_addc_co_u32_e32 v13, vcc, 0, v3, vcc
	v_mov_b32_e32 v3, 11
	v_cmp_lt_i16_sdwa s[0:1], s20, v3 src0_sel:BYTE_0 src1_sel:DWORD
	s_and_b64 vcc, exec, s[0:1]
	s_cbranch_vccnz .LBB24_1288
; %bb.1282:
	v_mov_b32_e32 v3, 25
	v_cmp_gt_i16_sdwa s[0:1], s20, v3 src0_sel:BYTE_0 src1_sel:DWORD
	s_mov_b64 s[4:5], 0
	s_and_b64 vcc, exec, s[0:1]
	s_cbranch_vccz .LBB24_1290
; %bb.1283:
	v_mov_b32_e32 v3, 28
	v_cmp_gt_i16_sdwa s[0:1], s20, v3 src0_sel:BYTE_0 src1_sel:DWORD
	s_and_b64 vcc, exec, s[0:1]
	s_cbranch_vccz .LBB24_1291
; %bb.1284:
	v_mov_b32_e32 v3, 43
	v_cmp_gt_i16_sdwa s[0:1], s20, v3 src0_sel:BYTE_0 src1_sel:DWORD
	s_and_b64 vcc, exec, s[0:1]
	s_cbranch_vccz .LBB24_1292
; %bb.1285:
	v_mov_b32_e32 v3, 45
	v_cmp_gt_i16_sdwa s[0:1], s20, v3 src0_sel:BYTE_0 src1_sel:DWORD
	s_and_b64 vcc, exec, s[0:1]
	s_cbranch_vccz .LBB24_1294
; %bb.1286:
	v_mov_b32_e32 v3, 46
	v_cmp_eq_u16_sdwa s[0:1], s20, v3 src0_sel:BYTE_0 src1_sel:DWORD
	s_mov_b64 s[16:17], 0
	s_and_b64 vcc, exec, s[0:1]
	s_cbranch_vccz .LBB24_1297
; %bb.1287:
	global_load_dword v3, v[12:13], off
	s_mov_b64 s[0:1], 0
	s_mov_b64 s[6:7], -1
	s_waitcnt vmcnt(0)
	v_lshlrev_b32_e32 v3, 16, v3
	v_cvt_f16_f32_e32 v3, v3
	s_branch .LBB24_1298
.LBB24_1288:
	s_mov_b64 s[6:7], 0
                                        ; implicit-def: $vgpr3
	s_cbranch_execnz .LBB24_1363
.LBB24_1289:
	s_andn2_b64 vcc, exec, s[6:7]
	s_cbranch_vccnz .LBB24_2060
	s_branch .LBB24_1410
.LBB24_1290:
	s_mov_b64 s[6:7], 0
	s_mov_b64 s[0:1], 0
                                        ; implicit-def: $vgpr3
	s_cbranch_execnz .LBB24_1327
	s_branch .LBB24_1359
.LBB24_1291:
	s_mov_b64 s[16:17], -1
	s_mov_b64 s[6:7], 0
	s_mov_b64 s[0:1], 0
                                        ; implicit-def: $vgpr3
	s_branch .LBB24_1308
.LBB24_1292:
	s_mov_b64 s[16:17], -1
	s_mov_b64 s[6:7], 0
	s_mov_b64 s[0:1], 0
                                        ; implicit-def: $vgpr3
	s_branch .LBB24_1303
.LBB24_1293:
	s_or_b64 s[2:3], s[28:29], exec
	s_trap 2
                                        ; implicit-def: $vgpr1
	s_cbranch_execz .LBB24_1232
	s_branch .LBB24_1233
.LBB24_1294:
	s_mov_b64 s[16:17], -1
	s_mov_b64 s[6:7], 0
	s_mov_b64 s[0:1], 0
                                        ; implicit-def: $vgpr3
	s_branch .LBB24_1298
.LBB24_1295:
	s_or_saveexec_b64 s[16:17], s[16:17]
                                        ; implicit-def: $sgpr18
	s_xor_b64 exec, exec, s[16:17]
	s_cbranch_execz .LBB24_1023
.LBB24_1296:
	s_mov_b32 s18, 0x42800000
	v_add_f32_e64 v5, |v0|, s18
	v_and_b32_e32 v5, 0xff, v5
	v_cmp_ne_u32_e32 vcc, 0, v5
	s_andn2_b64 s[14:15], s[14:15], exec
	s_and_b64 s[20:21], vcc, exec
	s_mov_b32 s18, 0
	s_or_b64 s[14:15], s[14:15], s[20:21]
	s_or_b64 exec, exec, s[16:17]
	v_mov_b32_e32 v6, s18
	s_and_saveexec_b64 s[16:17], s[14:15]
	s_cbranch_execnz .LBB24_1024
	s_branch .LBB24_1025
.LBB24_1297:
	s_mov_b64 s[0:1], -1
                                        ; implicit-def: $vgpr3
	s_mov_b64 s[6:7], 0
.LBB24_1298:
	s_and_b64 vcc, exec, s[16:17]
	s_cbranch_vccz .LBB24_1302
; %bb.1299:
	v_mov_b32_e32 v3, 44
	v_cmp_eq_u16_sdwa s[0:1], s20, v3 src0_sel:BYTE_0 src1_sel:DWORD
	s_and_b64 vcc, exec, s[0:1]
	s_cbranch_vccz .LBB24_1301
; %bb.1300:
	global_load_ubyte v3, v[12:13], off
	s_movk_i32 s6, 0xff
	v_mov_b32_e32 v11, 0x7e00
	s_mov_b64 s[0:1], 0
	s_waitcnt vmcnt(0)
	v_lshlrev_b32_e32 v9, 23, v3
	v_cvt_f16_f32_e32 v9, v9
	v_cmp_ne_u32_e32 vcc, s6, v3
	s_mov_b64 s[6:7], -1
	v_cndmask_b32_e32 v9, v11, v9, vcc
	v_cmp_ne_u32_e32 vcc, 0, v3
	v_cndmask_b32_e32 v3, 0, v9, vcc
	s_branch .LBB24_1302
.LBB24_1301:
	s_mov_b64 s[0:1], -1
                                        ; implicit-def: $vgpr3
.LBB24_1302:
	s_mov_b64 s[16:17], 0
.LBB24_1303:
	s_and_b64 vcc, exec, s[16:17]
	s_cbranch_vccz .LBB24_1307
; %bb.1304:
	v_mov_b32_e32 v3, 29
	v_cmp_eq_u16_sdwa s[0:1], s20, v3 src0_sel:BYTE_0 src1_sel:DWORD
	s_and_b64 vcc, exec, s[0:1]
	s_cbranch_vccz .LBB24_1306
; %bb.1305:
	global_load_dwordx2 v[14:15], v[12:13], off
	s_mov_b64 s[0:1], 0
	s_mov_b64 s[6:7], -1
	s_mov_b64 s[16:17], 0
	s_waitcnt vmcnt(0)
	v_ffbh_u32_e32 v3, v15
	v_min_u32_e32 v3, 32, v3
	v_lshlrev_b64 v[14:15], v3, v[14:15]
	v_min_u32_e32 v9, 1, v14
	v_or_b32_e32 v9, v15, v9
	v_cvt_f32_u32_e32 v9, v9
	v_sub_u32_e32 v3, 32, v3
	v_ldexp_f32 v3, v9, v3
	v_cvt_f16_f32_e32 v3, v3
	s_branch .LBB24_1308
.LBB24_1306:
	s_mov_b64 s[0:1], -1
                                        ; implicit-def: $vgpr3
.LBB24_1307:
	s_mov_b64 s[16:17], 0
.LBB24_1308:
	s_and_b64 vcc, exec, s[16:17]
	s_cbranch_vccz .LBB24_1326
; %bb.1309:
	v_mov_b32_e32 v3, 27
	v_cmp_lt_i16_sdwa s[6:7], s20, v3 src0_sel:BYTE_0 src1_sel:DWORD
	s_and_b64 vcc, exec, s[6:7]
	s_cbranch_vccnz .LBB24_1312
; %bb.1310:
	v_cmp_gt_i16_sdwa s[6:7], s20, v3 src0_sel:BYTE_0 src1_sel:DWORD
	s_and_b64 vcc, exec, s[6:7]
	s_cbranch_vccz .LBB24_1313
; %bb.1311:
	global_load_dword v3, v[12:13], off
	s_mov_b64 s[6:7], 0
	s_waitcnt vmcnt(0)
	v_cvt_f32_u32_e32 v3, v3
	v_cvt_f16_f32_e32 v3, v3
	s_branch .LBB24_1314
.LBB24_1312:
	s_mov_b64 s[6:7], -1
                                        ; implicit-def: $vgpr3
	s_branch .LBB24_1317
.LBB24_1313:
	s_mov_b64 s[6:7], -1
                                        ; implicit-def: $vgpr3
.LBB24_1314:
	s_andn2_b64 vcc, exec, s[6:7]
	s_cbranch_vccnz .LBB24_1316
; %bb.1315:
	global_load_ushort v3, v[12:13], off
	s_waitcnt vmcnt(0)
	v_cvt_f16_u16_e32 v3, v3
.LBB24_1316:
	s_mov_b64 s[6:7], 0
.LBB24_1317:
	s_andn2_b64 vcc, exec, s[6:7]
	s_cbranch_vccnz .LBB24_1325
; %bb.1318:
	global_load_ubyte v9, v[12:13], off
	s_movk_i32 s6, 0x7f
                                        ; implicit-def: $sgpr21
	s_waitcnt vmcnt(0)
	v_cmp_lt_i16_e32 vcc, s6, v9
	s_mov_b64 s[6:7], 0
	s_and_saveexec_b64 s[16:17], vcc
	s_xor_b64 s[16:17], exec, s[16:17]
	s_cbranch_execz .LBB24_1338
; %bb.1319:
	s_movk_i32 s6, 0x80
	v_cmp_eq_u16_e32 vcc, s6, v9
	s_mov_b64 s[6:7], -1
                                        ; implicit-def: $sgpr21
	s_and_saveexec_b64 s[18:19], vcc
; %bb.1320:
	s_movk_i32 s21, 0x7e00
	s_xor_b64 s[6:7], exec, -1
; %bb.1321:
	s_or_b64 exec, exec, s[18:19]
	s_and_b64 s[6:7], s[6:7], exec
	s_or_saveexec_b64 s[16:17], s[16:17]
	v_mov_b32_e32 v3, s21
	s_xor_b64 exec, exec, s[16:17]
	s_cbranch_execnz .LBB24_1339
.LBB24_1322:
	s_or_b64 exec, exec, s[16:17]
	s_and_saveexec_b64 s[16:17], s[6:7]
	s_cbranch_execz .LBB24_1324
.LBB24_1323:
	v_lshlrev_b32_e32 v3, 24, v9
	v_and_b32_e32 v9, 0xffff, v9
	v_and_b32_e32 v11, 7, v9
	v_ffbh_u32_e32 v15, v11
	v_min_u32_e32 v15, 32, v15
	v_subrev_u32_e32 v16, 28, v15
	v_bfe_u32 v14, v9, 3, 4
	v_lshlrev_b32_e32 v9, v16, v9
	v_sub_u32_e32 v15, 29, v15
	v_and_b32_e32 v9, 7, v9
	v_cmp_eq_u32_e32 vcc, 0, v14
	v_cndmask_b32_e32 v14, v14, v15, vcc
	v_cndmask_b32_e32 v9, v11, v9, vcc
	v_mov_b32_e32 v11, 0x3b800000
	v_lshlrev_b32_e32 v9, 20, v9
	v_and_b32_e32 v3, 0x80000000, v3
	v_lshl_add_u32 v11, v14, 23, v11
	v_or3_b32 v3, v3, v11, v9
	v_cvt_f16_f32_e32 v3, v3
.LBB24_1324:
	s_or_b64 exec, exec, s[16:17]
.LBB24_1325:
	s_mov_b64 s[6:7], -1
.LBB24_1326:
	s_branch .LBB24_1359
.LBB24_1327:
	v_mov_b32_e32 v3, 22
	v_cmp_gt_i16_sdwa s[4:5], s20, v3 src0_sel:BYTE_0 src1_sel:DWORD
	s_and_b64 vcc, exec, s[4:5]
	s_cbranch_vccz .LBB24_1337
; %bb.1328:
	v_mov_b32_e32 v3, 24
	v_cmp_lt_i16_sdwa s[4:5], s20, v3 src0_sel:BYTE_0 src1_sel:DWORD
	s_and_b64 vcc, exec, s[4:5]
	s_cbranch_vccnz .LBB24_1340
; %bb.1329:
	v_cmp_gt_i16_sdwa s[4:5], s20, v3 src0_sel:BYTE_0 src1_sel:DWORD
	s_and_b64 vcc, exec, s[4:5]
	s_cbranch_vccz .LBB24_1341
; %bb.1330:
	global_load_ubyte v9, v[12:13], off
	s_movk_i32 s4, 0x7f
                                        ; implicit-def: $sgpr18
	s_waitcnt vmcnt(0)
	v_cmp_lt_i16_e32 vcc, s4, v9
	s_mov_b64 s[4:5], 0
	s_and_saveexec_b64 s[6:7], vcc
	s_xor_b64 s[6:7], exec, s[6:7]
	s_cbranch_execz .LBB24_1353
; %bb.1331:
	s_movk_i32 s4, 0x80
	v_cmp_eq_u16_e32 vcc, s4, v9
	s_mov_b64 s[4:5], -1
                                        ; implicit-def: $sgpr18
	s_and_saveexec_b64 s[16:17], vcc
; %bb.1332:
	s_movk_i32 s18, 0x7e00
	s_xor_b64 s[4:5], exec, -1
; %bb.1333:
	s_or_b64 exec, exec, s[16:17]
	s_and_b64 s[4:5], s[4:5], exec
	s_or_saveexec_b64 s[6:7], s[6:7]
	v_mov_b32_e32 v3, s18
	s_xor_b64 exec, exec, s[6:7]
	s_cbranch_execnz .LBB24_1354
.LBB24_1334:
	s_or_b64 exec, exec, s[6:7]
	s_and_saveexec_b64 s[6:7], s[4:5]
	s_cbranch_execz .LBB24_1336
.LBB24_1335:
	v_lshlrev_b32_e32 v3, 24, v9
	v_and_b32_e32 v9, 0xffff, v9
	v_and_b32_e32 v11, 3, v9
	v_ffbh_u32_e32 v15, v11
	v_min_u32_e32 v15, 32, v15
	v_subrev_u32_e32 v16, 29, v15
	v_bfe_u32 v14, v9, 2, 5
	v_lshlrev_b32_e32 v9, v16, v9
	v_sub_u32_e32 v15, 30, v15
	v_and_b32_e32 v9, 3, v9
	v_cmp_eq_u32_e32 vcc, 0, v14
	v_cndmask_b32_e32 v14, v14, v15, vcc
	v_cndmask_b32_e32 v9, v11, v9, vcc
	v_mov_b32_e32 v11, 0x37800000
	v_lshlrev_b32_e32 v9, 21, v9
	v_and_b32_e32 v3, 0x80000000, v3
	v_lshl_add_u32 v11, v14, 23, v11
	v_or3_b32 v3, v3, v11, v9
	v_cvt_f16_f32_e32 v3, v3
.LBB24_1336:
	s_or_b64 exec, exec, s[6:7]
	s_mov_b64 s[4:5], 0
	s_branch .LBB24_1342
.LBB24_1337:
	s_mov_b64 s[4:5], -1
                                        ; implicit-def: $vgpr3
	s_branch .LBB24_1348
.LBB24_1338:
	s_or_saveexec_b64 s[16:17], s[16:17]
	v_mov_b32_e32 v3, s21
	s_xor_b64 exec, exec, s[16:17]
	s_cbranch_execz .LBB24_1322
.LBB24_1339:
	v_cmp_ne_u16_e32 vcc, 0, v9
	s_andn2_b64 s[6:7], s[6:7], exec
	s_and_b64 s[18:19], vcc, exec
	s_or_b64 s[6:7], s[6:7], s[18:19]
	v_mov_b32_e32 v3, v9
	s_or_b64 exec, exec, s[16:17]
	s_and_saveexec_b64 s[16:17], s[6:7]
	s_cbranch_execnz .LBB24_1323
	s_branch .LBB24_1324
.LBB24_1340:
	s_mov_b64 s[4:5], -1
                                        ; implicit-def: $vgpr3
	s_branch .LBB24_1345
.LBB24_1341:
	s_mov_b64 s[4:5], -1
                                        ; implicit-def: $vgpr3
.LBB24_1342:
	s_and_b64 vcc, exec, s[4:5]
	s_cbranch_vccz .LBB24_1344
; %bb.1343:
	global_load_ubyte v3, v[12:13], off
	s_mov_b32 s4, 0x7f800000
	s_waitcnt vmcnt(0)
	v_lshlrev_b32_e32 v3, 24, v3
	v_and_b32_e32 v9, 0x7f000000, v3
	v_ffbh_u32_e32 v11, v9
	v_min_u32_e32 v11, 32, v11
	v_sub_u32_e64 v11, v11, 4 clamp
	v_lshlrev_b32_e32 v15, v11, v9
	v_lshlrev_b32_e32 v11, 23, v11
	v_lshrrev_b32_e32 v15, 4, v15
	v_add_u32_e32 v14, 0x1000000, v9
	v_sub_u32_e32 v11, v15, v11
	v_ashrrev_i32_e32 v14, 8, v14
	v_add_u32_e32 v11, 0x3c000000, v11
	v_and_or_b32 v11, v14, s4, v11
	v_cmp_ne_u32_e32 vcc, 0, v9
	v_cndmask_b32_e32 v9, 0, v11, vcc
	s_brev_b32 s4, 1
	v_and_or_b32 v3, v3, s4, v9
	v_cvt_f16_f32_e32 v3, v3
.LBB24_1344:
	s_mov_b64 s[4:5], 0
.LBB24_1345:
	s_andn2_b64 vcc, exec, s[4:5]
	s_cbranch_vccnz .LBB24_1347
; %bb.1346:
	global_load_ubyte v3, v[12:13], off
	s_movk_i32 s4, 0x7f00
	s_brev_b32 s5, 16
	s_waitcnt vmcnt(0)
	v_lshlrev_b16_e32 v9, 8, v3
	v_lshlrev_b32_e32 v3, 25, v3
	v_lshrrev_b32_e32 v11, 4, v3
	v_and_or_b32 v14, v9, s4, 0.5
	v_or_b32_e32 v11, 0x70000000, v11
	v_add_f32_e32 v14, -0.5, v14
	v_mul_f32_e32 v11, 0x7800000, v11
	v_cmp_gt_u32_e32 vcc, s5, v3
	v_bfe_i32 v9, v9, 0, 16
	v_cndmask_b32_e32 v3, v11, v14, vcc
	s_brev_b32 s4, 1
	v_and_or_b32 v3, v9, s4, v3
	v_cvt_f16_f32_e32 v3, v3
.LBB24_1347:
	s_mov_b64 s[4:5], 0
	s_mov_b64 s[6:7], -1
.LBB24_1348:
	s_andn2_b64 vcc, exec, s[4:5]
	s_mov_b64 s[4:5], 0
	s_cbranch_vccnz .LBB24_1359
; %bb.1349:
	v_mov_b32_e32 v3, 14
	v_cmp_gt_i16_sdwa s[4:5], s20, v3 src0_sel:BYTE_0 src1_sel:DWORD
	s_and_b64 vcc, exec, s[4:5]
	s_cbranch_vccz .LBB24_1352
; %bb.1350:
	v_mov_b32_e32 v3, 15
	v_cmp_eq_u16_sdwa s[0:1], s20, v3 src0_sel:BYTE_0 src1_sel:DWORD
	s_and_b64 vcc, exec, s[0:1]
	s_cbranch_vccz .LBB24_1355
; %bb.1351:
	global_load_ushort v3, v[12:13], off
	s_mov_b64 s[0:1], 0
	s_mov_b64 s[6:7], -1
	s_waitcnt vmcnt(0)
	v_lshlrev_b32_e32 v3, 16, v3
	v_cvt_f16_f32_e32 v3, v3
	s_branch .LBB24_1356
.LBB24_1352:
	s_mov_b64 s[16:17], -1
                                        ; implicit-def: $vgpr3
	s_branch .LBB24_1357
.LBB24_1353:
	s_or_saveexec_b64 s[6:7], s[6:7]
	v_mov_b32_e32 v3, s18
	s_xor_b64 exec, exec, s[6:7]
	s_cbranch_execz .LBB24_1334
.LBB24_1354:
	v_cmp_ne_u16_e32 vcc, 0, v9
	s_andn2_b64 s[4:5], s[4:5], exec
	s_and_b64 s[16:17], vcc, exec
	s_or_b64 s[4:5], s[4:5], s[16:17]
	v_mov_b32_e32 v3, v9
	s_or_b64 exec, exec, s[6:7]
	s_and_saveexec_b64 s[6:7], s[4:5]
	s_cbranch_execnz .LBB24_1335
	s_branch .LBB24_1336
.LBB24_1355:
	s_mov_b64 s[0:1], -1
                                        ; implicit-def: $vgpr3
.LBB24_1356:
	s_mov_b64 s[16:17], 0
.LBB24_1357:
	s_mov_b64 s[4:5], 0
	s_and_b64 vcc, exec, s[16:17]
	s_cbranch_vccz .LBB24_1359
; %bb.1358:
	v_mov_b32_e32 v3, 11
	v_cmp_ne_u16_sdwa s[0:1], s20, v3 src0_sel:BYTE_0 src1_sel:DWORD
	s_mov_b64 s[4:5], -1
                                        ; implicit-def: $vgpr3
.LBB24_1359:
	s_and_b64 vcc, exec, s[0:1]
	s_cbranch_vccnz .LBB24_1424
; %bb.1360:
	s_andn2_b64 vcc, exec, s[4:5]
	s_cbranch_vccnz .LBB24_1362
.LBB24_1361:
	global_load_ubyte v3, v[12:13], off
	v_mov_b32_e32 v9, 0x3c00
	s_mov_b64 s[6:7], -1
	s_waitcnt vmcnt(0)
	v_cmp_ne_u16_e32 vcc, 0, v3
	v_cndmask_b32_e32 v3, 0, v9, vcc
.LBB24_1362:
	s_branch .LBB24_1289
.LBB24_1363:
	v_mov_b32_e32 v3, 5
	v_cmp_lt_i16_sdwa s[0:1], s20, v3 src0_sel:BYTE_0 src1_sel:DWORD
	s_and_b64 vcc, exec, s[0:1]
	s_cbranch_vccnz .LBB24_1368
; %bb.1364:
	v_mov_b32_e32 v3, 8
	v_cmp_lt_i16_sdwa s[0:1], s20, v3 src0_sel:BYTE_0 src1_sel:DWORD
	s_and_b64 vcc, exec, s[0:1]
	s_cbranch_vccnz .LBB24_1369
; %bb.1365:
	;; [unrolled: 5-line block ×3, first 2 shown]
	v_cmp_gt_i16_sdwa s[0:1], s20, v3 src0_sel:BYTE_0 src1_sel:DWORD
	s_and_b64 vcc, exec, s[0:1]
	s_cbranch_vccz .LBB24_1371
; %bb.1367:
	global_load_dwordx2 v[14:15], v[12:13], off
	s_mov_b64 s[0:1], 0
	s_waitcnt vmcnt(0)
	v_cvt_f32_f64_e32 v3, v[14:15]
	v_cvt_f16_f32_e32 v3, v3
	s_branch .LBB24_1372
.LBB24_1368:
                                        ; implicit-def: $vgpr3
	s_branch .LBB24_1390
.LBB24_1369:
	s_mov_b64 s[0:1], -1
                                        ; implicit-def: $vgpr3
	s_branch .LBB24_1378
.LBB24_1370:
	s_mov_b64 s[0:1], -1
                                        ; implicit-def: $vgpr3
	s_branch .LBB24_1375
.LBB24_1371:
	s_mov_b64 s[0:1], -1
                                        ; implicit-def: $vgpr3
.LBB24_1372:
	s_andn2_b64 vcc, exec, s[0:1]
	s_cbranch_vccnz .LBB24_1374
; %bb.1373:
	global_load_dword v3, v[12:13], off
	s_waitcnt vmcnt(0)
	v_cvt_f16_f32_e32 v3, v3
.LBB24_1374:
	s_mov_b64 s[0:1], 0
.LBB24_1375:
	s_andn2_b64 vcc, exec, s[0:1]
	s_cbranch_vccnz .LBB24_1377
; %bb.1376:
	global_load_dword v3, v[12:13], off
.LBB24_1377:
	s_mov_b64 s[0:1], 0
.LBB24_1378:
	s_andn2_b64 vcc, exec, s[0:1]
	s_cbranch_vccnz .LBB24_1389
; %bb.1379:
	s_waitcnt vmcnt(0)
	v_mov_b32_e32 v3, 6
	v_cmp_lt_i16_sdwa s[0:1], s20, v3 src0_sel:BYTE_0 src1_sel:DWORD
	s_and_b64 vcc, exec, s[0:1]
	s_cbranch_vccnz .LBB24_1382
; %bb.1380:
	v_cmp_gt_i16_sdwa s[0:1], s20, v3 src0_sel:BYTE_0 src1_sel:DWORD
	s_and_b64 vcc, exec, s[0:1]
	s_cbranch_vccz .LBB24_1383
; %bb.1381:
	global_load_dwordx2 v[14:15], v[12:13], off
	s_mov_b64 s[0:1], 0
	s_waitcnt vmcnt(0)
	v_cvt_f32_f64_e32 v3, v[14:15]
	v_cvt_f16_f32_e32 v3, v3
	s_branch .LBB24_1384
.LBB24_1382:
	s_mov_b64 s[0:1], -1
                                        ; implicit-def: $vgpr3
	s_branch .LBB24_1387
.LBB24_1383:
	s_mov_b64 s[0:1], -1
                                        ; implicit-def: $vgpr3
.LBB24_1384:
	s_andn2_b64 vcc, exec, s[0:1]
	s_cbranch_vccnz .LBB24_1386
; %bb.1385:
	global_load_dword v3, v[12:13], off
	s_waitcnt vmcnt(0)
	v_cvt_f16_f32_e32 v3, v3
.LBB24_1386:
	s_mov_b64 s[0:1], 0
.LBB24_1387:
	s_andn2_b64 vcc, exec, s[0:1]
	s_cbranch_vccnz .LBB24_1389
; %bb.1388:
	global_load_ushort v3, v[12:13], off
.LBB24_1389:
	s_cbranch_execnz .LBB24_1409
.LBB24_1390:
	s_waitcnt vmcnt(0)
	v_mov_b32_e32 v3, 2
	v_cmp_lt_i16_sdwa s[0:1], s20, v3 src0_sel:BYTE_0 src1_sel:DWORD
	s_and_b64 vcc, exec, s[0:1]
	s_cbranch_vccnz .LBB24_1394
; %bb.1391:
	v_mov_b32_e32 v3, 3
	v_cmp_lt_i16_sdwa s[0:1], s20, v3 src0_sel:BYTE_0 src1_sel:DWORD
	s_and_b64 vcc, exec, s[0:1]
	s_cbranch_vccnz .LBB24_1395
; %bb.1392:
	v_cmp_gt_i16_sdwa s[0:1], s20, v3 src0_sel:BYTE_0 src1_sel:DWORD
	s_and_b64 vcc, exec, s[0:1]
	s_cbranch_vccz .LBB24_1396
; %bb.1393:
	global_load_dwordx2 v[14:15], v[12:13], off
	s_mov_b64 s[0:1], 0
	s_waitcnt vmcnt(0)
	v_xor_b32_e32 v9, v14, v15
	v_ffbh_i32_e32 v3, v15
	v_ashrrev_i32_e32 v9, 31, v9
	v_add_u32_e32 v3, -1, v3
	v_add_u32_e32 v9, 32, v9
	v_min_u32_e32 v3, v3, v9
	v_lshlrev_b64 v[14:15], v3, v[14:15]
	v_min_u32_e32 v9, 1, v14
	v_or_b32_e32 v9, v15, v9
	v_cvt_f32_i32_e32 v9, v9
	v_sub_u32_e32 v3, 32, v3
	v_ldexp_f32 v3, v9, v3
	v_cvt_f16_f32_e32 v3, v3
	s_branch .LBB24_1397
.LBB24_1394:
	s_mov_b64 s[0:1], -1
                                        ; implicit-def: $vgpr3
	s_branch .LBB24_1403
.LBB24_1395:
	s_mov_b64 s[0:1], -1
                                        ; implicit-def: $vgpr3
	s_branch .LBB24_1400
.LBB24_1396:
	s_mov_b64 s[0:1], -1
                                        ; implicit-def: $vgpr3
.LBB24_1397:
	s_andn2_b64 vcc, exec, s[0:1]
	s_cbranch_vccnz .LBB24_1399
; %bb.1398:
	global_load_dword v3, v[12:13], off
	s_waitcnt vmcnt(0)
	v_cvt_f32_i32_e32 v3, v3
	v_cvt_f16_f32_e32 v3, v3
.LBB24_1399:
	s_mov_b64 s[0:1], 0
.LBB24_1400:
	s_andn2_b64 vcc, exec, s[0:1]
	s_cbranch_vccnz .LBB24_1402
; %bb.1401:
	global_load_ushort v3, v[12:13], off
	s_waitcnt vmcnt(0)
	v_cvt_f16_i16_e32 v3, v3
.LBB24_1402:
	s_mov_b64 s[0:1], 0
.LBB24_1403:
	s_andn2_b64 vcc, exec, s[0:1]
	s_cbranch_vccnz .LBB24_1409
; %bb.1404:
	v_mov_b32_e32 v3, 0
	v_cmp_gt_i16_sdwa s[0:1], s20, v3 src0_sel:BYTE_0 src1_sel:DWORD
	s_and_b64 vcc, exec, s[0:1]
	s_cbranch_vccz .LBB24_1406
; %bb.1405:
	global_load_sbyte v3, v[12:13], off
	s_mov_b64 s[0:1], 0
	s_waitcnt vmcnt(0)
	v_cvt_f16_i16_e32 v3, v3
	s_branch .LBB24_1407
.LBB24_1406:
	s_mov_b64 s[0:1], -1
                                        ; implicit-def: $vgpr3
.LBB24_1407:
	s_andn2_b64 vcc, exec, s[0:1]
	s_cbranch_vccnz .LBB24_1409
; %bb.1408:
	global_load_ubyte v3, v[12:13], off
	s_waitcnt vmcnt(0)
	v_cvt_f16_u16_e32 v3, v3
.LBB24_1409:
.LBB24_1410:
	s_waitcnt vmcnt(0)
	v_cvt_f32_f16_e32 v13, v3
	s_mov_b32 s0, 0x7f800000
	v_mov_b32_e32 v14, v7
	v_cmp_nlg_f32_e64 s[4:5], |v13|, s0
	s_and_saveexec_b64 s[0:1], s[4:5]
	s_cbranch_execz .LBB24_1412
; %bb.1411:
	v_mov_b32_e32 v9, 0
	v_mov_b32_e32 v11, 1.0
	global_store_dword v9, v11, s[12:13]
	global_load_dword v14, v9, s[14:15]
.LBB24_1412:
	s_or_b64 exec, exec, s[0:1]
	v_mov_b32_e32 v9, s11
	v_add_co_u32_e32 v10, vcc, s10, v10
	v_addc_co_u32_e32 v11, vcc, 0, v9, vcc
	v_mov_b32_e32 v9, 11
	v_cmp_lt_i16_sdwa s[0:1], s20, v9 src0_sel:BYTE_0 src1_sel:DWORD
	s_and_b64 vcc, exec, s[0:1]
	s_cbranch_vccnz .LBB24_1419
; %bb.1413:
	v_mov_b32_e32 v9, 25
	v_cmp_gt_i16_sdwa s[0:1], s20, v9 src0_sel:BYTE_0 src1_sel:DWORD
	s_mov_b64 s[4:5], 0
	s_and_b64 vcc, exec, s[0:1]
	s_cbranch_vccz .LBB24_1421
; %bb.1414:
	v_mov_b32_e32 v9, 28
	v_cmp_gt_i16_sdwa s[0:1], s20, v9 src0_sel:BYTE_0 src1_sel:DWORD
	s_and_b64 vcc, exec, s[0:1]
	s_cbranch_vccz .LBB24_1422
; %bb.1415:
	v_mov_b32_e32 v9, 43
	v_cmp_gt_i16_sdwa s[0:1], s20, v9 src0_sel:BYTE_0 src1_sel:DWORD
	s_and_b64 vcc, exec, s[0:1]
	s_cbranch_vccz .LBB24_1423
; %bb.1416:
	v_mov_b32_e32 v9, 45
	v_cmp_gt_i16_sdwa s[0:1], s20, v9 src0_sel:BYTE_0 src1_sel:DWORD
	s_and_b64 vcc, exec, s[0:1]
	s_cbranch_vccz .LBB24_1425
; %bb.1417:
	v_mov_b32_e32 v9, 46
	v_cmp_eq_u16_sdwa s[0:1], s20, v9 src0_sel:BYTE_0 src1_sel:DWORD
	s_mov_b64 s[16:17], 0
	s_and_b64 vcc, exec, s[0:1]
	s_cbranch_vccz .LBB24_1426
; %bb.1418:
	global_load_dword v9, v[10:11], off
	s_mov_b64 s[0:1], 0
	s_mov_b64 s[6:7], -1
	s_waitcnt vmcnt(0)
	v_lshlrev_b32_e32 v9, 16, v9
	v_cvt_f16_f32_e32 v12, v9
	s_branch .LBB24_1427
.LBB24_1419:
	s_mov_b64 s[6:7], 0
                                        ; implicit-def: $vgpr12
	s_cbranch_execnz .LBB24_1493
.LBB24_1420:
	s_andn2_b64 vcc, exec, s[6:7]
	s_cbranch_vccnz .LBB24_2060
	s_branch .LBB24_1541
.LBB24_1421:
	s_mov_b64 s[16:17], -1
	s_mov_b64 s[6:7], 0
	s_mov_b64 s[0:1], 0
                                        ; implicit-def: $vgpr12
	s_branch .LBB24_1456
.LBB24_1422:
	s_mov_b64 s[16:17], -1
	s_mov_b64 s[6:7], 0
	s_mov_b64 s[0:1], 0
                                        ; implicit-def: $vgpr12
	s_branch .LBB24_1437
.LBB24_1423:
	s_mov_b64 s[16:17], -1
	s_mov_b64 s[6:7], 0
	s_mov_b64 s[0:1], 0
                                        ; implicit-def: $vgpr12
	s_branch .LBB24_1432
.LBB24_1424:
	s_trap 2
	s_or_b64 s[2:3], s[2:3], exec
                                        ; implicit-def: $vgpr3
	s_cbranch_execz .LBB24_1361
	s_branch .LBB24_1362
.LBB24_1425:
	s_mov_b64 s[16:17], -1
	s_mov_b64 s[6:7], 0
	s_mov_b64 s[0:1], 0
                                        ; implicit-def: $vgpr12
	s_branch .LBB24_1427
.LBB24_1426:
	s_mov_b64 s[0:1], -1
                                        ; implicit-def: $vgpr12
	s_mov_b64 s[6:7], 0
.LBB24_1427:
	s_and_b64 vcc, exec, s[16:17]
	s_cbranch_vccz .LBB24_1431
; %bb.1428:
	v_mov_b32_e32 v9, 44
	v_cmp_eq_u16_sdwa s[0:1], s20, v9 src0_sel:BYTE_0 src1_sel:DWORD
	s_and_b64 vcc, exec, s[0:1]
	s_cbranch_vccz .LBB24_1430
; %bb.1429:
	global_load_ubyte v9, v[10:11], off
	s_movk_i32 s6, 0xff
	v_mov_b32_e32 v15, 0x7e00
	s_mov_b64 s[0:1], 0
	s_waitcnt vmcnt(0)
	v_lshlrev_b32_e32 v12, 23, v9
	v_cvt_f16_f32_e32 v12, v12
	v_cmp_ne_u32_e32 vcc, s6, v9
	s_mov_b64 s[6:7], -1
	v_cndmask_b32_e32 v12, v15, v12, vcc
	v_cmp_ne_u32_e32 vcc, 0, v9
	v_cndmask_b32_e32 v12, 0, v12, vcc
	s_branch .LBB24_1431
.LBB24_1430:
	s_mov_b64 s[0:1], -1
                                        ; implicit-def: $vgpr12
.LBB24_1431:
	s_mov_b64 s[16:17], 0
.LBB24_1432:
	s_and_b64 vcc, exec, s[16:17]
	s_cbranch_vccz .LBB24_1436
; %bb.1433:
	v_mov_b32_e32 v9, 29
	v_cmp_eq_u16_sdwa s[0:1], s20, v9 src0_sel:BYTE_0 src1_sel:DWORD
	s_and_b64 vcc, exec, s[0:1]
	s_cbranch_vccz .LBB24_1435
; %bb.1434:
	global_load_dwordx2 v[16:17], v[10:11], off
	s_mov_b64 s[0:1], 0
	s_mov_b64 s[6:7], -1
	s_mov_b64 s[16:17], 0
	s_waitcnt vmcnt(0)
	v_ffbh_u32_e32 v9, v17
	v_min_u32_e32 v9, 32, v9
	v_lshlrev_b64 v[16:17], v9, v[16:17]
	v_min_u32_e32 v12, 1, v16
	v_or_b32_e32 v12, v17, v12
	v_cvt_f32_u32_e32 v12, v12
	v_sub_u32_e32 v9, 32, v9
	v_ldexp_f32 v9, v12, v9
	v_cvt_f16_f32_e32 v12, v9
	s_branch .LBB24_1437
.LBB24_1435:
	s_mov_b64 s[0:1], -1
                                        ; implicit-def: $vgpr12
.LBB24_1436:
	s_mov_b64 s[16:17], 0
.LBB24_1437:
	s_and_b64 vcc, exec, s[16:17]
	s_cbranch_vccz .LBB24_1455
; %bb.1438:
	v_mov_b32_e32 v9, 27
	v_cmp_lt_i16_sdwa s[6:7], s20, v9 src0_sel:BYTE_0 src1_sel:DWORD
	s_and_b64 vcc, exec, s[6:7]
	s_cbranch_vccnz .LBB24_1441
; %bb.1439:
	v_cmp_gt_i16_sdwa s[6:7], s20, v9 src0_sel:BYTE_0 src1_sel:DWORD
	s_and_b64 vcc, exec, s[6:7]
	s_cbranch_vccz .LBB24_1442
; %bb.1440:
	global_load_dword v9, v[10:11], off
	s_mov_b64 s[6:7], 0
	s_waitcnt vmcnt(0)
	v_cvt_f32_u32_e32 v9, v9
	v_cvt_f16_f32_e32 v12, v9
	s_branch .LBB24_1443
.LBB24_1441:
	s_mov_b64 s[6:7], -1
                                        ; implicit-def: $vgpr12
	s_branch .LBB24_1446
.LBB24_1442:
	s_mov_b64 s[6:7], -1
                                        ; implicit-def: $vgpr12
.LBB24_1443:
	s_andn2_b64 vcc, exec, s[6:7]
	s_cbranch_vccnz .LBB24_1445
; %bb.1444:
	global_load_ushort v9, v[10:11], off
	s_waitcnt vmcnt(0)
	v_cvt_f16_u16_e32 v12, v9
.LBB24_1445:
	s_mov_b64 s[6:7], 0
.LBB24_1446:
	s_andn2_b64 vcc, exec, s[6:7]
	s_cbranch_vccnz .LBB24_1454
; %bb.1447:
	global_load_ubyte v9, v[10:11], off
	s_movk_i32 s6, 0x7f
                                        ; implicit-def: $sgpr21
	s_waitcnt vmcnt(0)
	v_cmp_lt_i16_e32 vcc, s6, v9
	s_mov_b64 s[6:7], 0
	s_and_saveexec_b64 s[16:17], vcc
	s_xor_b64 s[16:17], exec, s[16:17]
	s_cbranch_execz .LBB24_1468
; %bb.1448:
	s_movk_i32 s6, 0x80
	v_cmp_eq_u16_e32 vcc, s6, v9
	s_mov_b64 s[6:7], -1
                                        ; implicit-def: $sgpr21
	s_and_saveexec_b64 s[18:19], vcc
; %bb.1449:
	s_movk_i32 s21, 0x7e00
	s_xor_b64 s[6:7], exec, -1
; %bb.1450:
	s_or_b64 exec, exec, s[18:19]
	s_and_b64 s[6:7], s[6:7], exec
	s_or_saveexec_b64 s[16:17], s[16:17]
	v_mov_b32_e32 v12, s21
	s_xor_b64 exec, exec, s[16:17]
	s_cbranch_execnz .LBB24_1469
.LBB24_1451:
	s_or_b64 exec, exec, s[16:17]
	s_and_saveexec_b64 s[16:17], s[6:7]
	s_cbranch_execz .LBB24_1453
.LBB24_1452:
	v_lshlrev_b32_e32 v12, 24, v9
	v_and_b32_e32 v9, 0xffff, v9
	v_and_b32_e32 v15, 7, v9
	v_ffbh_u32_e32 v17, v15
	v_min_u32_e32 v17, 32, v17
	v_subrev_u32_e32 v18, 28, v17
	v_bfe_u32 v16, v9, 3, 4
	v_lshlrev_b32_e32 v9, v18, v9
	v_sub_u32_e32 v17, 29, v17
	v_and_b32_e32 v9, 7, v9
	v_cmp_eq_u32_e32 vcc, 0, v16
	v_cndmask_b32_e32 v16, v16, v17, vcc
	v_cndmask_b32_e32 v9, v15, v9, vcc
	v_mov_b32_e32 v15, 0x3b800000
	v_lshlrev_b32_e32 v9, 20, v9
	v_and_b32_e32 v12, 0x80000000, v12
	v_lshl_add_u32 v15, v16, 23, v15
	v_or3_b32 v9, v12, v15, v9
	v_cvt_f16_f32_e32 v12, v9
.LBB24_1453:
	s_or_b64 exec, exec, s[16:17]
.LBB24_1454:
	s_mov_b64 s[6:7], -1
.LBB24_1455:
	s_mov_b64 s[16:17], 0
.LBB24_1456:
	s_and_b64 vcc, exec, s[16:17]
	s_cbranch_vccz .LBB24_1489
; %bb.1457:
	v_mov_b32_e32 v9, 22
	v_cmp_gt_i16_sdwa s[4:5], s20, v9 src0_sel:BYTE_0 src1_sel:DWORD
	s_and_b64 vcc, exec, s[4:5]
	s_cbranch_vccz .LBB24_1467
; %bb.1458:
	v_mov_b32_e32 v9, 24
	v_cmp_lt_i16_sdwa s[4:5], s20, v9 src0_sel:BYTE_0 src1_sel:DWORD
	s_and_b64 vcc, exec, s[4:5]
	s_cbranch_vccnz .LBB24_1470
; %bb.1459:
	v_cmp_gt_i16_sdwa s[4:5], s20, v9 src0_sel:BYTE_0 src1_sel:DWORD
	s_and_b64 vcc, exec, s[4:5]
	s_cbranch_vccz .LBB24_1471
; %bb.1460:
	global_load_ubyte v9, v[10:11], off
	s_movk_i32 s4, 0x7f
                                        ; implicit-def: $sgpr18
	s_waitcnt vmcnt(0)
	v_cmp_lt_i16_e32 vcc, s4, v9
	s_mov_b64 s[4:5], 0
	s_and_saveexec_b64 s[6:7], vcc
	s_xor_b64 s[6:7], exec, s[6:7]
	s_cbranch_execz .LBB24_1483
; %bb.1461:
	s_movk_i32 s4, 0x80
	v_cmp_eq_u16_e32 vcc, s4, v9
	s_mov_b64 s[4:5], -1
                                        ; implicit-def: $sgpr18
	s_and_saveexec_b64 s[16:17], vcc
; %bb.1462:
	s_movk_i32 s18, 0x7e00
	s_xor_b64 s[4:5], exec, -1
; %bb.1463:
	s_or_b64 exec, exec, s[16:17]
	s_and_b64 s[4:5], s[4:5], exec
	s_or_saveexec_b64 s[6:7], s[6:7]
	v_mov_b32_e32 v12, s18
	s_xor_b64 exec, exec, s[6:7]
	s_cbranch_execnz .LBB24_1484
.LBB24_1464:
	s_or_b64 exec, exec, s[6:7]
	s_and_saveexec_b64 s[6:7], s[4:5]
	s_cbranch_execz .LBB24_1466
.LBB24_1465:
	v_lshlrev_b32_e32 v12, 24, v9
	v_and_b32_e32 v9, 0xffff, v9
	v_and_b32_e32 v15, 3, v9
	v_ffbh_u32_e32 v17, v15
	v_min_u32_e32 v17, 32, v17
	v_subrev_u32_e32 v18, 29, v17
	v_bfe_u32 v16, v9, 2, 5
	v_lshlrev_b32_e32 v9, v18, v9
	v_sub_u32_e32 v17, 30, v17
	v_and_b32_e32 v9, 3, v9
	v_cmp_eq_u32_e32 vcc, 0, v16
	v_cndmask_b32_e32 v16, v16, v17, vcc
	v_cndmask_b32_e32 v9, v15, v9, vcc
	v_mov_b32_e32 v15, 0x37800000
	v_lshlrev_b32_e32 v9, 21, v9
	v_and_b32_e32 v12, 0x80000000, v12
	v_lshl_add_u32 v15, v16, 23, v15
	v_or3_b32 v9, v12, v15, v9
	v_cvt_f16_f32_e32 v12, v9
.LBB24_1466:
	s_or_b64 exec, exec, s[6:7]
	s_mov_b64 s[4:5], 0
	s_branch .LBB24_1472
.LBB24_1467:
	s_mov_b64 s[4:5], -1
                                        ; implicit-def: $vgpr12
	s_branch .LBB24_1478
.LBB24_1468:
	s_or_saveexec_b64 s[16:17], s[16:17]
	v_mov_b32_e32 v12, s21
	s_xor_b64 exec, exec, s[16:17]
	s_cbranch_execz .LBB24_1451
.LBB24_1469:
	v_cmp_ne_u16_e32 vcc, 0, v9
	s_andn2_b64 s[6:7], s[6:7], exec
	s_and_b64 s[18:19], vcc, exec
	s_or_b64 s[6:7], s[6:7], s[18:19]
	v_mov_b32_e32 v12, v9
	s_or_b64 exec, exec, s[16:17]
	s_and_saveexec_b64 s[16:17], s[6:7]
	s_cbranch_execnz .LBB24_1452
	s_branch .LBB24_1453
.LBB24_1470:
	s_mov_b64 s[4:5], -1
                                        ; implicit-def: $vgpr12
	s_branch .LBB24_1475
.LBB24_1471:
	s_mov_b64 s[4:5], -1
                                        ; implicit-def: $vgpr12
.LBB24_1472:
	s_and_b64 vcc, exec, s[4:5]
	s_cbranch_vccz .LBB24_1474
; %bb.1473:
	global_load_ubyte v9, v[10:11], off
	s_mov_b32 s4, 0x7f800000
	s_waitcnt vmcnt(0)
	v_lshlrev_b32_e32 v9, 24, v9
	v_and_b32_e32 v12, 0x7f000000, v9
	v_ffbh_u32_e32 v15, v12
	v_min_u32_e32 v15, 32, v15
	v_sub_u32_e64 v15, v15, 4 clamp
	v_lshlrev_b32_e32 v17, v15, v12
	v_lshlrev_b32_e32 v15, 23, v15
	v_lshrrev_b32_e32 v17, 4, v17
	v_add_u32_e32 v16, 0x1000000, v12
	v_sub_u32_e32 v15, v17, v15
	v_ashrrev_i32_e32 v16, 8, v16
	v_add_u32_e32 v15, 0x3c000000, v15
	v_and_or_b32 v15, v16, s4, v15
	v_cmp_ne_u32_e32 vcc, 0, v12
	v_cndmask_b32_e32 v12, 0, v15, vcc
	s_brev_b32 s4, 1
	v_and_or_b32 v9, v9, s4, v12
	v_cvt_f16_f32_e32 v12, v9
.LBB24_1474:
	s_mov_b64 s[4:5], 0
.LBB24_1475:
	s_andn2_b64 vcc, exec, s[4:5]
	s_cbranch_vccnz .LBB24_1477
; %bb.1476:
	global_load_ubyte v9, v[10:11], off
	s_movk_i32 s4, 0x7f00
	s_brev_b32 s5, 16
	s_waitcnt vmcnt(0)
	v_lshlrev_b16_e32 v12, 8, v9
	v_lshlrev_b32_e32 v9, 25, v9
	v_lshrrev_b32_e32 v15, 4, v9
	v_and_or_b32 v16, v12, s4, 0.5
	v_or_b32_e32 v15, 0x70000000, v15
	v_add_f32_e32 v16, -0.5, v16
	v_mul_f32_e32 v15, 0x7800000, v15
	v_cmp_gt_u32_e32 vcc, s5, v9
	v_bfe_i32 v12, v12, 0, 16
	v_cndmask_b32_e32 v9, v15, v16, vcc
	s_brev_b32 s4, 1
	v_and_or_b32 v9, v12, s4, v9
	v_cvt_f16_f32_e32 v12, v9
.LBB24_1477:
	s_mov_b64 s[4:5], 0
	s_mov_b64 s[6:7], -1
.LBB24_1478:
	s_andn2_b64 vcc, exec, s[4:5]
	s_mov_b64 s[4:5], 0
	s_cbranch_vccnz .LBB24_1489
; %bb.1479:
	v_mov_b32_e32 v9, 14
	v_cmp_gt_i16_sdwa s[4:5], s20, v9 src0_sel:BYTE_0 src1_sel:DWORD
	s_and_b64 vcc, exec, s[4:5]
	s_cbranch_vccz .LBB24_1482
; %bb.1480:
	v_mov_b32_e32 v9, 15
	v_cmp_eq_u16_sdwa s[0:1], s20, v9 src0_sel:BYTE_0 src1_sel:DWORD
	s_and_b64 vcc, exec, s[0:1]
	s_cbranch_vccz .LBB24_1485
; %bb.1481:
	global_load_ushort v9, v[10:11], off
	s_mov_b64 s[0:1], 0
	s_mov_b64 s[6:7], -1
	s_waitcnt vmcnt(0)
	v_lshlrev_b32_e32 v9, 16, v9
	v_cvt_f16_f32_e32 v12, v9
	s_branch .LBB24_1486
.LBB24_1482:
	s_mov_b64 s[16:17], -1
                                        ; implicit-def: $vgpr12
	s_branch .LBB24_1487
.LBB24_1483:
	s_or_saveexec_b64 s[6:7], s[6:7]
	v_mov_b32_e32 v12, s18
	s_xor_b64 exec, exec, s[6:7]
	s_cbranch_execz .LBB24_1464
.LBB24_1484:
	v_cmp_ne_u16_e32 vcc, 0, v9
	s_andn2_b64 s[4:5], s[4:5], exec
	s_and_b64 s[16:17], vcc, exec
	s_or_b64 s[4:5], s[4:5], s[16:17]
	v_mov_b32_e32 v12, v9
	s_or_b64 exec, exec, s[6:7]
	s_and_saveexec_b64 s[6:7], s[4:5]
	s_cbranch_execnz .LBB24_1465
	s_branch .LBB24_1466
.LBB24_1485:
	s_mov_b64 s[0:1], -1
                                        ; implicit-def: $vgpr12
.LBB24_1486:
	s_mov_b64 s[16:17], 0
.LBB24_1487:
	s_mov_b64 s[4:5], 0
	s_and_b64 vcc, exec, s[16:17]
	s_cbranch_vccz .LBB24_1489
; %bb.1488:
	v_mov_b32_e32 v9, 11
	v_cmp_ne_u16_sdwa s[0:1], s20, v9 src0_sel:BYTE_0 src1_sel:DWORD
	s_mov_b64 s[4:5], -1
                                        ; implicit-def: $vgpr12
.LBB24_1489:
	s_and_b64 vcc, exec, s[0:1]
	s_cbranch_vccnz .LBB24_1554
; %bb.1490:
	s_andn2_b64 vcc, exec, s[4:5]
	s_cbranch_vccnz .LBB24_1492
.LBB24_1491:
	global_load_ubyte v9, v[10:11], off
	v_mov_b32_e32 v12, 0x3c00
	s_mov_b64 s[6:7], -1
	s_waitcnt vmcnt(0)
	v_cmp_ne_u16_e32 vcc, 0, v9
	v_cndmask_b32_e32 v12, 0, v12, vcc
.LBB24_1492:
	s_branch .LBB24_1420
.LBB24_1493:
	v_mov_b32_e32 v9, 5
	v_cmp_lt_i16_sdwa s[0:1], s20, v9 src0_sel:BYTE_0 src1_sel:DWORD
	s_and_b64 vcc, exec, s[0:1]
	s_cbranch_vccnz .LBB24_1498
; %bb.1494:
	v_mov_b32_e32 v9, 8
	v_cmp_lt_i16_sdwa s[0:1], s20, v9 src0_sel:BYTE_0 src1_sel:DWORD
	s_and_b64 vcc, exec, s[0:1]
	s_cbranch_vccnz .LBB24_1499
; %bb.1495:
	;; [unrolled: 5-line block ×3, first 2 shown]
	v_cmp_gt_i16_sdwa s[0:1], s20, v9 src0_sel:BYTE_0 src1_sel:DWORD
	s_and_b64 vcc, exec, s[0:1]
	s_cbranch_vccz .LBB24_1501
; %bb.1497:
	global_load_dwordx2 v[16:17], v[10:11], off
	s_mov_b64 s[0:1], 0
	s_waitcnt vmcnt(0)
	v_cvt_f32_f64_e32 v9, v[16:17]
	v_cvt_f16_f32_e32 v12, v9
	s_branch .LBB24_1502
.LBB24_1498:
	s_mov_b64 s[0:1], -1
                                        ; implicit-def: $vgpr12
	s_branch .LBB24_1520
.LBB24_1499:
	s_mov_b64 s[0:1], -1
                                        ; implicit-def: $vgpr12
	s_branch .LBB24_1508
.LBB24_1500:
	s_mov_b64 s[0:1], -1
                                        ; implicit-def: $vgpr12
	s_branch .LBB24_1505
.LBB24_1501:
	s_mov_b64 s[0:1], -1
                                        ; implicit-def: $vgpr12
.LBB24_1502:
	s_andn2_b64 vcc, exec, s[0:1]
	s_cbranch_vccnz .LBB24_1504
; %bb.1503:
	global_load_dword v9, v[10:11], off
	s_waitcnt vmcnt(0)
	v_cvt_f16_f32_e32 v12, v9
.LBB24_1504:
	s_mov_b64 s[0:1], 0
.LBB24_1505:
	s_andn2_b64 vcc, exec, s[0:1]
	s_cbranch_vccnz .LBB24_1507
; %bb.1506:
	global_load_dword v12, v[10:11], off
.LBB24_1507:
	s_mov_b64 s[0:1], 0
.LBB24_1508:
	s_andn2_b64 vcc, exec, s[0:1]
	s_cbranch_vccnz .LBB24_1519
; %bb.1509:
	v_mov_b32_e32 v9, 6
	v_cmp_lt_i16_sdwa s[0:1], s20, v9 src0_sel:BYTE_0 src1_sel:DWORD
	s_and_b64 vcc, exec, s[0:1]
	s_cbranch_vccnz .LBB24_1512
; %bb.1510:
	v_cmp_gt_i16_sdwa s[0:1], s20, v9 src0_sel:BYTE_0 src1_sel:DWORD
	s_and_b64 vcc, exec, s[0:1]
	s_cbranch_vccz .LBB24_1513
; %bb.1511:
	global_load_dwordx2 v[16:17], v[10:11], off
	s_mov_b64 s[0:1], 0
	s_waitcnt vmcnt(0)
	v_cvt_f32_f64_e32 v9, v[16:17]
	v_cvt_f16_f32_e32 v12, v9
	s_branch .LBB24_1514
.LBB24_1512:
	s_mov_b64 s[0:1], -1
                                        ; implicit-def: $vgpr12
	s_branch .LBB24_1517
.LBB24_1513:
	s_mov_b64 s[0:1], -1
                                        ; implicit-def: $vgpr12
.LBB24_1514:
	s_andn2_b64 vcc, exec, s[0:1]
	s_cbranch_vccnz .LBB24_1516
; %bb.1515:
	global_load_dword v9, v[10:11], off
	s_waitcnt vmcnt(0)
	v_cvt_f16_f32_e32 v12, v9
.LBB24_1516:
	s_mov_b64 s[0:1], 0
.LBB24_1517:
	s_andn2_b64 vcc, exec, s[0:1]
	s_cbranch_vccnz .LBB24_1519
; %bb.1518:
	global_load_ushort v12, v[10:11], off
.LBB24_1519:
	s_mov_b64 s[0:1], 0
.LBB24_1520:
	s_andn2_b64 vcc, exec, s[0:1]
	s_cbranch_vccnz .LBB24_1540
; %bb.1521:
	v_mov_b32_e32 v9, 2
	v_cmp_lt_i16_sdwa s[0:1], s20, v9 src0_sel:BYTE_0 src1_sel:DWORD
	s_and_b64 vcc, exec, s[0:1]
	s_cbranch_vccnz .LBB24_1525
; %bb.1522:
	v_mov_b32_e32 v9, 3
	v_cmp_lt_i16_sdwa s[0:1], s20, v9 src0_sel:BYTE_0 src1_sel:DWORD
	s_and_b64 vcc, exec, s[0:1]
	s_cbranch_vccnz .LBB24_1526
; %bb.1523:
	v_cmp_gt_i16_sdwa s[0:1], s20, v9 src0_sel:BYTE_0 src1_sel:DWORD
	s_and_b64 vcc, exec, s[0:1]
	s_cbranch_vccz .LBB24_1527
; %bb.1524:
	global_load_dwordx2 v[16:17], v[10:11], off
	s_mov_b64 s[0:1], 0
	s_waitcnt vmcnt(0)
	v_xor_b32_e32 v12, v16, v17
	v_ffbh_i32_e32 v9, v17
	v_ashrrev_i32_e32 v12, 31, v12
	v_add_u32_e32 v9, -1, v9
	v_add_u32_e32 v12, 32, v12
	v_min_u32_e32 v9, v9, v12
	v_lshlrev_b64 v[16:17], v9, v[16:17]
	v_min_u32_e32 v12, 1, v16
	v_or_b32_e32 v12, v17, v12
	v_cvt_f32_i32_e32 v12, v12
	v_sub_u32_e32 v9, 32, v9
	v_ldexp_f32 v9, v12, v9
	v_cvt_f16_f32_e32 v12, v9
	s_branch .LBB24_1528
.LBB24_1525:
	s_mov_b64 s[0:1], -1
                                        ; implicit-def: $vgpr12
	s_branch .LBB24_1534
.LBB24_1526:
	s_mov_b64 s[0:1], -1
                                        ; implicit-def: $vgpr12
	s_branch .LBB24_1531
.LBB24_1527:
	s_mov_b64 s[0:1], -1
                                        ; implicit-def: $vgpr12
.LBB24_1528:
	s_andn2_b64 vcc, exec, s[0:1]
	s_cbranch_vccnz .LBB24_1530
; %bb.1529:
	global_load_dword v9, v[10:11], off
	s_waitcnt vmcnt(0)
	v_cvt_f32_i32_e32 v9, v9
	v_cvt_f16_f32_e32 v12, v9
.LBB24_1530:
	s_mov_b64 s[0:1], 0
.LBB24_1531:
	s_andn2_b64 vcc, exec, s[0:1]
	s_cbranch_vccnz .LBB24_1533
; %bb.1532:
	global_load_ushort v9, v[10:11], off
	s_waitcnt vmcnt(0)
	v_cvt_f16_i16_e32 v12, v9
.LBB24_1533:
	s_mov_b64 s[0:1], 0
.LBB24_1534:
	s_andn2_b64 vcc, exec, s[0:1]
	s_cbranch_vccnz .LBB24_1540
; %bb.1535:
	v_mov_b32_e32 v9, 0
	v_cmp_gt_i16_sdwa s[0:1], s20, v9 src0_sel:BYTE_0 src1_sel:DWORD
	s_and_b64 vcc, exec, s[0:1]
	s_cbranch_vccz .LBB24_1537
; %bb.1536:
	global_load_sbyte v9, v[10:11], off
	s_mov_b64 s[0:1], 0
	s_waitcnt vmcnt(0)
	v_cvt_f16_i16_e32 v12, v9
	s_branch .LBB24_1538
.LBB24_1537:
	s_mov_b64 s[0:1], -1
                                        ; implicit-def: $vgpr12
.LBB24_1538:
	s_andn2_b64 vcc, exec, s[0:1]
	s_cbranch_vccnz .LBB24_1540
; %bb.1539:
	global_load_ubyte v9, v[10:11], off
	s_waitcnt vmcnt(0)
	v_cvt_f16_u16_e32 v12, v9
.LBB24_1540:
.LBB24_1541:
	s_waitcnt vmcnt(0)
	v_cvt_f32_f16_e32 v11, v12
	s_mov_b32 s0, 0x7f800000
	v_mov_b32_e32 v15, v14
	v_cmp_nlg_f32_e64 s[4:5], |v11|, s0
	s_and_saveexec_b64 s[0:1], s[4:5]
	s_cbranch_execz .LBB24_1543
; %bb.1542:
	v_mov_b32_e32 v9, 0
	v_mov_b32_e32 v10, 1.0
	global_store_dword v9, v10, s[12:13]
	global_load_dword v15, v9, s[14:15]
.LBB24_1543:
	s_or_b64 exec, exec, s[0:1]
	v_mov_b32_e32 v9, s11
	v_add_co_u32_e32 v8, vcc, s10, v8
	v_mov_b32_e32 v10, 11
	v_addc_co_u32_e32 v9, vcc, 0, v9, vcc
	v_cmp_lt_i16_sdwa s[0:1], s20, v10 src0_sel:BYTE_0 src1_sel:DWORD
	s_and_b64 vcc, exec, s[0:1]
	s_cbranch_vccnz .LBB24_1550
; %bb.1544:
	v_mov_b32_e32 v10, 25
	v_cmp_gt_i16_sdwa s[0:1], s20, v10 src0_sel:BYTE_0 src1_sel:DWORD
	s_mov_b64 s[4:5], 0
	s_and_b64 vcc, exec, s[0:1]
	s_cbranch_vccz .LBB24_1551
; %bb.1545:
	v_mov_b32_e32 v10, 28
	v_cmp_gt_i16_sdwa s[0:1], s20, v10 src0_sel:BYTE_0 src1_sel:DWORD
	s_and_b64 vcc, exec, s[0:1]
	s_cbranch_vccz .LBB24_1552
; %bb.1546:
	v_mov_b32_e32 v10, 43
	v_cmp_gt_i16_sdwa s[0:1], s20, v10 src0_sel:BYTE_0 src1_sel:DWORD
	;; [unrolled: 5-line block ×3, first 2 shown]
	s_and_b64 vcc, exec, s[0:1]
	s_cbranch_vccz .LBB24_1555
; %bb.1548:
	v_mov_b32_e32 v10, 46
	v_cmp_eq_u16_sdwa s[0:1], s20, v10 src0_sel:BYTE_0 src1_sel:DWORD
	s_mov_b64 s[10:11], 0
	s_and_b64 vcc, exec, s[0:1]
	s_cbranch_vccz .LBB24_1556
; %bb.1549:
	global_load_dword v10, v[8:9], off
	s_mov_b64 s[0:1], 0
	s_mov_b64 s[6:7], -1
	s_waitcnt vmcnt(0)
	v_lshlrev_b32_e32 v10, 16, v10
	v_cvt_f16_f32_e32 v10, v10
	s_branch .LBB24_1557
.LBB24_1550:
	s_mov_b64 s[0:1], -1
	s_mov_b64 s[6:7], 0
                                        ; implicit-def: $vgpr10
	s_branch .LBB24_1623
.LBB24_1551:
	s_mov_b64 s[10:11], -1
	s_mov_b64 s[6:7], 0
	s_mov_b64 s[0:1], 0
                                        ; implicit-def: $vgpr10
	s_branch .LBB24_1586
.LBB24_1552:
	s_mov_b64 s[10:11], -1
	s_mov_b64 s[6:7], 0
	s_mov_b64 s[0:1], 0
                                        ; implicit-def: $vgpr10
	s_branch .LBB24_1567
.LBB24_1553:
	s_mov_b64 s[10:11], -1
	s_mov_b64 s[6:7], 0
	s_mov_b64 s[0:1], 0
                                        ; implicit-def: $vgpr10
	s_branch .LBB24_1562
.LBB24_1554:
	s_trap 2
	s_or_b64 s[2:3], s[2:3], exec
                                        ; implicit-def: $vgpr12
	s_cbranch_execz .LBB24_1491
	s_branch .LBB24_1492
.LBB24_1555:
	s_mov_b64 s[10:11], -1
	s_mov_b64 s[6:7], 0
	s_mov_b64 s[0:1], 0
                                        ; implicit-def: $vgpr10
	s_branch .LBB24_1557
.LBB24_1556:
	s_mov_b64 s[0:1], -1
                                        ; implicit-def: $vgpr10
	s_mov_b64 s[6:7], 0
.LBB24_1557:
	s_and_b64 vcc, exec, s[10:11]
	s_cbranch_vccz .LBB24_1561
; %bb.1558:
	v_mov_b32_e32 v10, 44
	v_cmp_eq_u16_sdwa s[0:1], s20, v10 src0_sel:BYTE_0 src1_sel:DWORD
	s_and_b64 vcc, exec, s[0:1]
	s_cbranch_vccz .LBB24_1560
; %bb.1559:
	global_load_ubyte v10, v[8:9], off
	s_movk_i32 s6, 0xff
	v_mov_b32_e32 v17, 0x7e00
	s_mov_b64 s[0:1], 0
	s_waitcnt vmcnt(0)
	v_lshlrev_b32_e32 v16, 23, v10
	v_cvt_f16_f32_e32 v16, v16
	v_cmp_ne_u32_e32 vcc, s6, v10
	s_mov_b64 s[6:7], -1
	v_cndmask_b32_e32 v16, v17, v16, vcc
	v_cmp_ne_u32_e32 vcc, 0, v10
	v_cndmask_b32_e32 v10, 0, v16, vcc
	s_branch .LBB24_1561
.LBB24_1560:
	s_mov_b64 s[0:1], -1
                                        ; implicit-def: $vgpr10
.LBB24_1561:
	s_mov_b64 s[10:11], 0
.LBB24_1562:
	s_and_b64 vcc, exec, s[10:11]
	s_cbranch_vccz .LBB24_1566
; %bb.1563:
	v_mov_b32_e32 v10, 29
	v_cmp_eq_u16_sdwa s[0:1], s20, v10 src0_sel:BYTE_0 src1_sel:DWORD
	s_and_b64 vcc, exec, s[0:1]
	s_cbranch_vccz .LBB24_1565
; %bb.1564:
	global_load_dwordx2 v[16:17], v[8:9], off
	s_mov_b64 s[0:1], 0
	s_mov_b64 s[6:7], -1
	s_mov_b64 s[10:11], 0
	s_waitcnt vmcnt(0)
	v_ffbh_u32_e32 v10, v17
	v_min_u32_e32 v10, 32, v10
	v_lshlrev_b64 v[16:17], v10, v[16:17]
	v_min_u32_e32 v16, 1, v16
	v_or_b32_e32 v16, v17, v16
	v_cvt_f32_u32_e32 v16, v16
	v_sub_u32_e32 v10, 32, v10
	v_ldexp_f32 v10, v16, v10
	v_cvt_f16_f32_e32 v10, v10
	s_branch .LBB24_1567
.LBB24_1565:
	s_mov_b64 s[0:1], -1
                                        ; implicit-def: $vgpr10
.LBB24_1566:
	s_mov_b64 s[10:11], 0
.LBB24_1567:
	s_and_b64 vcc, exec, s[10:11]
	s_cbranch_vccz .LBB24_1585
; %bb.1568:
	v_mov_b32_e32 v10, 27
	v_cmp_lt_i16_sdwa s[6:7], s20, v10 src0_sel:BYTE_0 src1_sel:DWORD
	s_and_b64 vcc, exec, s[6:7]
	s_cbranch_vccnz .LBB24_1571
; %bb.1569:
	v_cmp_gt_i16_sdwa s[6:7], s20, v10 src0_sel:BYTE_0 src1_sel:DWORD
	s_and_b64 vcc, exec, s[6:7]
	s_cbranch_vccz .LBB24_1572
; %bb.1570:
	global_load_dword v10, v[8:9], off
	s_mov_b64 s[6:7], 0
	s_waitcnt vmcnt(0)
	v_cvt_f32_u32_e32 v10, v10
	v_cvt_f16_f32_e32 v10, v10
	s_branch .LBB24_1573
.LBB24_1571:
	s_mov_b64 s[6:7], -1
                                        ; implicit-def: $vgpr10
	s_branch .LBB24_1576
.LBB24_1572:
	s_mov_b64 s[6:7], -1
                                        ; implicit-def: $vgpr10
.LBB24_1573:
	s_andn2_b64 vcc, exec, s[6:7]
	s_cbranch_vccnz .LBB24_1575
; %bb.1574:
	global_load_ushort v10, v[8:9], off
	s_waitcnt vmcnt(0)
	v_cvt_f16_u16_e32 v10, v10
.LBB24_1575:
	s_mov_b64 s[6:7], 0
.LBB24_1576:
	s_andn2_b64 vcc, exec, s[6:7]
	s_cbranch_vccnz .LBB24_1584
; %bb.1577:
	global_load_ubyte v16, v[8:9], off
	s_movk_i32 s6, 0x7f
                                        ; implicit-def: $sgpr18
	s_waitcnt vmcnt(0)
	v_cmp_lt_i16_e32 vcc, s6, v16
	s_mov_b64 s[6:7], 0
	s_and_saveexec_b64 s[10:11], vcc
	s_xor_b64 s[10:11], exec, s[10:11]
	s_cbranch_execz .LBB24_1598
; %bb.1578:
	s_movk_i32 s6, 0x80
	v_cmp_eq_u16_e32 vcc, s6, v16
	s_mov_b64 s[6:7], -1
                                        ; implicit-def: $sgpr18
	s_and_saveexec_b64 s[16:17], vcc
; %bb.1579:
	s_movk_i32 s18, 0x7e00
	s_xor_b64 s[6:7], exec, -1
; %bb.1580:
	s_or_b64 exec, exec, s[16:17]
	s_and_b64 s[6:7], s[6:7], exec
	s_or_saveexec_b64 s[10:11], s[10:11]
	v_mov_b32_e32 v10, s18
	s_xor_b64 exec, exec, s[10:11]
	s_cbranch_execnz .LBB24_1599
.LBB24_1581:
	s_or_b64 exec, exec, s[10:11]
	s_and_saveexec_b64 s[10:11], s[6:7]
	s_cbranch_execz .LBB24_1583
.LBB24_1582:
	v_lshlrev_b32_e32 v10, 24, v16
	v_and_b32_e32 v16, 0xffff, v16
	v_and_b32_e32 v17, 7, v16
	v_ffbh_u32_e32 v19, v17
	v_min_u32_e32 v19, 32, v19
	v_subrev_u32_e32 v20, 28, v19
	v_bfe_u32 v18, v16, 3, 4
	v_lshlrev_b32_e32 v16, v20, v16
	v_sub_u32_e32 v19, 29, v19
	v_and_b32_e32 v16, 7, v16
	v_cmp_eq_u32_e32 vcc, 0, v18
	v_cndmask_b32_e32 v18, v18, v19, vcc
	v_cndmask_b32_e32 v16, v17, v16, vcc
	v_mov_b32_e32 v17, 0x3b800000
	v_lshlrev_b32_e32 v16, 20, v16
	v_and_b32_e32 v10, 0x80000000, v10
	v_lshl_add_u32 v17, v18, 23, v17
	v_or3_b32 v10, v10, v17, v16
	v_cvt_f16_f32_e32 v10, v10
.LBB24_1583:
	s_or_b64 exec, exec, s[10:11]
.LBB24_1584:
	s_mov_b64 s[6:7], -1
.LBB24_1585:
	s_mov_b64 s[10:11], 0
.LBB24_1586:
	s_and_b64 vcc, exec, s[10:11]
	s_cbranch_vccz .LBB24_1619
; %bb.1587:
	v_mov_b32_e32 v10, 22
	v_cmp_gt_i16_sdwa s[4:5], s20, v10 src0_sel:BYTE_0 src1_sel:DWORD
	s_and_b64 vcc, exec, s[4:5]
	s_cbranch_vccz .LBB24_1597
; %bb.1588:
	v_mov_b32_e32 v10, 24
	v_cmp_lt_i16_sdwa s[4:5], s20, v10 src0_sel:BYTE_0 src1_sel:DWORD
	s_and_b64 vcc, exec, s[4:5]
	s_cbranch_vccnz .LBB24_1600
; %bb.1589:
	v_cmp_gt_i16_sdwa s[4:5], s20, v10 src0_sel:BYTE_0 src1_sel:DWORD
	s_and_b64 vcc, exec, s[4:5]
	s_cbranch_vccz .LBB24_1601
; %bb.1590:
	global_load_ubyte v16, v[8:9], off
	s_movk_i32 s4, 0x7f
                                        ; implicit-def: $sgpr16
	s_waitcnt vmcnt(0)
	v_cmp_lt_i16_e32 vcc, s4, v16
	s_mov_b64 s[4:5], 0
	s_and_saveexec_b64 s[6:7], vcc
	s_xor_b64 s[6:7], exec, s[6:7]
	s_cbranch_execz .LBB24_1613
; %bb.1591:
	s_movk_i32 s4, 0x80
	v_cmp_eq_u16_e32 vcc, s4, v16
	s_mov_b64 s[4:5], -1
                                        ; implicit-def: $sgpr16
	s_and_saveexec_b64 s[10:11], vcc
; %bb.1592:
	s_movk_i32 s16, 0x7e00
	s_xor_b64 s[4:5], exec, -1
; %bb.1593:
	s_or_b64 exec, exec, s[10:11]
	s_and_b64 s[4:5], s[4:5], exec
	s_or_saveexec_b64 s[6:7], s[6:7]
	v_mov_b32_e32 v10, s16
	s_xor_b64 exec, exec, s[6:7]
	s_cbranch_execnz .LBB24_1614
.LBB24_1594:
	s_or_b64 exec, exec, s[6:7]
	s_and_saveexec_b64 s[6:7], s[4:5]
	s_cbranch_execz .LBB24_1596
.LBB24_1595:
	v_lshlrev_b32_e32 v10, 24, v16
	v_and_b32_e32 v16, 0xffff, v16
	v_and_b32_e32 v17, 3, v16
	v_ffbh_u32_e32 v19, v17
	v_min_u32_e32 v19, 32, v19
	v_subrev_u32_e32 v20, 29, v19
	v_bfe_u32 v18, v16, 2, 5
	v_lshlrev_b32_e32 v16, v20, v16
	v_sub_u32_e32 v19, 30, v19
	v_and_b32_e32 v16, 3, v16
	v_cmp_eq_u32_e32 vcc, 0, v18
	v_cndmask_b32_e32 v18, v18, v19, vcc
	v_cndmask_b32_e32 v16, v17, v16, vcc
	v_mov_b32_e32 v17, 0x37800000
	v_lshlrev_b32_e32 v16, 21, v16
	v_and_b32_e32 v10, 0x80000000, v10
	v_lshl_add_u32 v17, v18, 23, v17
	v_or3_b32 v10, v10, v17, v16
	v_cvt_f16_f32_e32 v10, v10
.LBB24_1596:
	s_or_b64 exec, exec, s[6:7]
	s_mov_b64 s[4:5], 0
	s_branch .LBB24_1602
.LBB24_1597:
	s_mov_b64 s[4:5], -1
                                        ; implicit-def: $vgpr10
	s_branch .LBB24_1608
.LBB24_1598:
	s_or_saveexec_b64 s[10:11], s[10:11]
	v_mov_b32_e32 v10, s18
	s_xor_b64 exec, exec, s[10:11]
	s_cbranch_execz .LBB24_1581
.LBB24_1599:
	v_cmp_ne_u16_e32 vcc, 0, v16
	s_andn2_b64 s[6:7], s[6:7], exec
	s_and_b64 s[16:17], vcc, exec
	s_or_b64 s[6:7], s[6:7], s[16:17]
	v_mov_b32_e32 v10, v16
	s_or_b64 exec, exec, s[10:11]
	s_and_saveexec_b64 s[10:11], s[6:7]
	s_cbranch_execnz .LBB24_1582
	s_branch .LBB24_1583
.LBB24_1600:
	s_mov_b64 s[4:5], -1
                                        ; implicit-def: $vgpr10
	s_branch .LBB24_1605
.LBB24_1601:
	s_mov_b64 s[4:5], -1
                                        ; implicit-def: $vgpr10
.LBB24_1602:
	s_and_b64 vcc, exec, s[4:5]
	s_cbranch_vccz .LBB24_1604
; %bb.1603:
	global_load_ubyte v10, v[8:9], off
	s_mov_b32 s4, 0x7f800000
	s_waitcnt vmcnt(0)
	v_lshlrev_b32_e32 v10, 24, v10
	v_and_b32_e32 v16, 0x7f000000, v10
	v_ffbh_u32_e32 v17, v16
	v_min_u32_e32 v17, 32, v17
	v_sub_u32_e64 v17, v17, 4 clamp
	v_lshlrev_b32_e32 v19, v17, v16
	v_lshlrev_b32_e32 v17, 23, v17
	v_lshrrev_b32_e32 v19, 4, v19
	v_add_u32_e32 v18, 0x1000000, v16
	v_sub_u32_e32 v17, v19, v17
	v_ashrrev_i32_e32 v18, 8, v18
	v_add_u32_e32 v17, 0x3c000000, v17
	v_and_or_b32 v17, v18, s4, v17
	v_cmp_ne_u32_e32 vcc, 0, v16
	v_cndmask_b32_e32 v16, 0, v17, vcc
	s_brev_b32 s4, 1
	v_and_or_b32 v10, v10, s4, v16
	v_cvt_f16_f32_e32 v10, v10
.LBB24_1604:
	s_mov_b64 s[4:5], 0
.LBB24_1605:
	s_andn2_b64 vcc, exec, s[4:5]
	s_cbranch_vccnz .LBB24_1607
; %bb.1606:
	global_load_ubyte v10, v[8:9], off
	s_movk_i32 s4, 0x7f00
	s_brev_b32 s5, 16
	s_waitcnt vmcnt(0)
	v_lshlrev_b16_e32 v16, 8, v10
	v_lshlrev_b32_e32 v10, 25, v10
	v_lshrrev_b32_e32 v17, 4, v10
	v_and_or_b32 v18, v16, s4, 0.5
	v_or_b32_e32 v17, 0x70000000, v17
	v_add_f32_e32 v18, -0.5, v18
	v_mul_f32_e32 v17, 0x7800000, v17
	v_cmp_gt_u32_e32 vcc, s5, v10
	v_bfe_i32 v16, v16, 0, 16
	v_cndmask_b32_e32 v10, v17, v18, vcc
	s_brev_b32 s4, 1
	v_and_or_b32 v10, v16, s4, v10
	v_cvt_f16_f32_e32 v10, v10
.LBB24_1607:
	s_mov_b64 s[4:5], 0
	s_mov_b64 s[6:7], -1
.LBB24_1608:
	s_andn2_b64 vcc, exec, s[4:5]
	s_mov_b64 s[4:5], 0
	s_cbranch_vccnz .LBB24_1619
; %bb.1609:
	v_mov_b32_e32 v10, 14
	v_cmp_gt_i16_sdwa s[4:5], s20, v10 src0_sel:BYTE_0 src1_sel:DWORD
	s_and_b64 vcc, exec, s[4:5]
	s_cbranch_vccz .LBB24_1612
; %bb.1610:
	v_mov_b32_e32 v10, 15
	v_cmp_eq_u16_sdwa s[0:1], s20, v10 src0_sel:BYTE_0 src1_sel:DWORD
	s_and_b64 vcc, exec, s[0:1]
	s_cbranch_vccz .LBB24_1615
; %bb.1611:
	global_load_ushort v10, v[8:9], off
	s_mov_b64 s[0:1], 0
	s_mov_b64 s[6:7], -1
	s_waitcnt vmcnt(0)
	v_lshlrev_b32_e32 v10, 16, v10
	v_cvt_f16_f32_e32 v10, v10
	s_branch .LBB24_1616
.LBB24_1612:
	s_mov_b64 s[10:11], -1
                                        ; implicit-def: $vgpr10
	s_branch .LBB24_1617
.LBB24_1613:
	s_or_saveexec_b64 s[6:7], s[6:7]
	v_mov_b32_e32 v10, s16
	s_xor_b64 exec, exec, s[6:7]
	s_cbranch_execz .LBB24_1594
.LBB24_1614:
	v_cmp_ne_u16_e32 vcc, 0, v16
	s_andn2_b64 s[4:5], s[4:5], exec
	s_and_b64 s[10:11], vcc, exec
	s_or_b64 s[4:5], s[4:5], s[10:11]
	v_mov_b32_e32 v10, v16
	s_or_b64 exec, exec, s[6:7]
	s_and_saveexec_b64 s[6:7], s[4:5]
	s_cbranch_execnz .LBB24_1595
	s_branch .LBB24_1596
.LBB24_1615:
	s_mov_b64 s[0:1], -1
                                        ; implicit-def: $vgpr10
.LBB24_1616:
	s_mov_b64 s[10:11], 0
.LBB24_1617:
	s_mov_b64 s[4:5], 0
	s_and_b64 vcc, exec, s[10:11]
	s_cbranch_vccz .LBB24_1619
; %bb.1618:
	v_mov_b32_e32 v10, 11
	v_cmp_ne_u16_sdwa s[0:1], s20, v10 src0_sel:BYTE_0 src1_sel:DWORD
	s_mov_b64 s[4:5], -1
                                        ; implicit-def: $vgpr10
.LBB24_1619:
	s_and_b64 vcc, exec, s[0:1]
	s_cbranch_vccnz .LBB24_1685
; %bb.1620:
	s_andn2_b64 vcc, exec, s[4:5]
	s_cbranch_vccnz .LBB24_1622
.LBB24_1621:
	global_load_ubyte v10, v[8:9], off
	v_mov_b32_e32 v16, 0x3c00
	s_mov_b64 s[6:7], -1
	s_waitcnt vmcnt(0)
	v_cmp_ne_u16_e32 vcc, 0, v10
	v_cndmask_b32_e32 v10, 0, v16, vcc
.LBB24_1622:
	s_mov_b64 s[0:1], 0
.LBB24_1623:
	s_and_b64 vcc, exec, s[0:1]
	s_cbranch_vccz .LBB24_1672
; %bb.1624:
	v_mov_b32_e32 v10, 5
	v_cmp_lt_i16_sdwa s[0:1], s20, v10 src0_sel:BYTE_0 src1_sel:DWORD
	s_and_b64 vcc, exec, s[0:1]
	s_cbranch_vccnz .LBB24_1629
; %bb.1625:
	v_mov_b32_e32 v10, 8
	v_cmp_lt_i16_sdwa s[0:1], s20, v10 src0_sel:BYTE_0 src1_sel:DWORD
	s_and_b64 vcc, exec, s[0:1]
	s_cbranch_vccnz .LBB24_1630
	;; [unrolled: 5-line block ×3, first 2 shown]
; %bb.1627:
	v_cmp_gt_i16_sdwa s[0:1], s20, v10 src0_sel:BYTE_0 src1_sel:DWORD
	s_and_b64 vcc, exec, s[0:1]
	s_cbranch_vccz .LBB24_1632
; %bb.1628:
	global_load_dwordx2 v[16:17], v[8:9], off
	s_mov_b64 s[0:1], 0
	s_waitcnt vmcnt(0)
	v_cvt_f32_f64_e32 v10, v[16:17]
	v_cvt_f16_f32_e32 v10, v10
	s_branch .LBB24_1633
.LBB24_1629:
	s_mov_b64 s[0:1], -1
                                        ; implicit-def: $vgpr10
	s_branch .LBB24_1651
.LBB24_1630:
	s_mov_b64 s[0:1], -1
                                        ; implicit-def: $vgpr10
	s_branch .LBB24_1639
.LBB24_1631:
	s_mov_b64 s[0:1], -1
                                        ; implicit-def: $vgpr10
	s_branch .LBB24_1636
.LBB24_1632:
	s_mov_b64 s[0:1], -1
                                        ; implicit-def: $vgpr10
.LBB24_1633:
	s_andn2_b64 vcc, exec, s[0:1]
	s_cbranch_vccnz .LBB24_1635
; %bb.1634:
	global_load_dword v10, v[8:9], off
	s_waitcnt vmcnt(0)
	v_cvt_f16_f32_e32 v10, v10
.LBB24_1635:
	s_mov_b64 s[0:1], 0
.LBB24_1636:
	s_andn2_b64 vcc, exec, s[0:1]
	s_cbranch_vccnz .LBB24_1638
; %bb.1637:
	global_load_dword v10, v[8:9], off
.LBB24_1638:
	s_mov_b64 s[0:1], 0
.LBB24_1639:
	s_andn2_b64 vcc, exec, s[0:1]
	s_cbranch_vccnz .LBB24_1650
; %bb.1640:
	s_waitcnt vmcnt(0)
	v_mov_b32_e32 v10, 6
	v_cmp_lt_i16_sdwa s[0:1], s20, v10 src0_sel:BYTE_0 src1_sel:DWORD
	s_and_b64 vcc, exec, s[0:1]
	s_cbranch_vccnz .LBB24_1643
; %bb.1641:
	v_cmp_gt_i16_sdwa s[0:1], s20, v10 src0_sel:BYTE_0 src1_sel:DWORD
	s_and_b64 vcc, exec, s[0:1]
	s_cbranch_vccz .LBB24_1644
; %bb.1642:
	global_load_dwordx2 v[16:17], v[8:9], off
	s_mov_b64 s[0:1], 0
	s_waitcnt vmcnt(0)
	v_cvt_f32_f64_e32 v10, v[16:17]
	v_cvt_f16_f32_e32 v10, v10
	s_branch .LBB24_1645
.LBB24_1643:
	s_mov_b64 s[0:1], -1
                                        ; implicit-def: $vgpr10
	s_branch .LBB24_1648
.LBB24_1644:
	s_mov_b64 s[0:1], -1
                                        ; implicit-def: $vgpr10
.LBB24_1645:
	s_andn2_b64 vcc, exec, s[0:1]
	s_cbranch_vccnz .LBB24_1647
; %bb.1646:
	global_load_dword v10, v[8:9], off
	s_waitcnt vmcnt(0)
	v_cvt_f16_f32_e32 v10, v10
.LBB24_1647:
	s_mov_b64 s[0:1], 0
.LBB24_1648:
	s_andn2_b64 vcc, exec, s[0:1]
	s_cbranch_vccnz .LBB24_1650
; %bb.1649:
	global_load_ushort v10, v[8:9], off
.LBB24_1650:
	s_mov_b64 s[0:1], 0
.LBB24_1651:
	s_andn2_b64 vcc, exec, s[0:1]
	s_cbranch_vccnz .LBB24_1671
; %bb.1652:
	s_waitcnt vmcnt(0)
	v_mov_b32_e32 v10, 2
	v_cmp_lt_i16_sdwa s[0:1], s20, v10 src0_sel:BYTE_0 src1_sel:DWORD
	s_and_b64 vcc, exec, s[0:1]
	s_cbranch_vccnz .LBB24_1656
; %bb.1653:
	v_mov_b32_e32 v10, 3
	v_cmp_lt_i16_sdwa s[0:1], s20, v10 src0_sel:BYTE_0 src1_sel:DWORD
	s_and_b64 vcc, exec, s[0:1]
	s_cbranch_vccnz .LBB24_1657
; %bb.1654:
	v_cmp_gt_i16_sdwa s[0:1], s20, v10 src0_sel:BYTE_0 src1_sel:DWORD
	s_and_b64 vcc, exec, s[0:1]
	s_cbranch_vccz .LBB24_1658
; %bb.1655:
	global_load_dwordx2 v[16:17], v[8:9], off
	s_mov_b64 s[0:1], 0
	s_waitcnt vmcnt(0)
	v_xor_b32_e32 v18, v16, v17
	v_ffbh_i32_e32 v10, v17
	v_ashrrev_i32_e32 v18, 31, v18
	v_add_u32_e32 v10, -1, v10
	v_add_u32_e32 v18, 32, v18
	v_min_u32_e32 v10, v10, v18
	v_lshlrev_b64 v[16:17], v10, v[16:17]
	v_min_u32_e32 v16, 1, v16
	v_or_b32_e32 v16, v17, v16
	v_cvt_f32_i32_e32 v16, v16
	v_sub_u32_e32 v10, 32, v10
	v_ldexp_f32 v10, v16, v10
	v_cvt_f16_f32_e32 v10, v10
	s_branch .LBB24_1659
.LBB24_1656:
	s_mov_b64 s[0:1], -1
                                        ; implicit-def: $vgpr10
	s_branch .LBB24_1665
.LBB24_1657:
	s_mov_b64 s[0:1], -1
                                        ; implicit-def: $vgpr10
	s_branch .LBB24_1662
.LBB24_1658:
	s_mov_b64 s[0:1], -1
                                        ; implicit-def: $vgpr10
.LBB24_1659:
	s_andn2_b64 vcc, exec, s[0:1]
	s_cbranch_vccnz .LBB24_1661
; %bb.1660:
	global_load_dword v10, v[8:9], off
	s_waitcnt vmcnt(0)
	v_cvt_f32_i32_e32 v10, v10
	v_cvt_f16_f32_e32 v10, v10
.LBB24_1661:
	s_mov_b64 s[0:1], 0
.LBB24_1662:
	s_andn2_b64 vcc, exec, s[0:1]
	s_cbranch_vccnz .LBB24_1664
; %bb.1663:
	global_load_ushort v10, v[8:9], off
	s_waitcnt vmcnt(0)
	v_cvt_f16_i16_e32 v10, v10
.LBB24_1664:
	s_mov_b64 s[0:1], 0
.LBB24_1665:
	s_andn2_b64 vcc, exec, s[0:1]
	s_cbranch_vccnz .LBB24_1671
; %bb.1666:
	v_mov_b32_e32 v10, 0
	v_cmp_gt_i16_sdwa s[0:1], s20, v10 src0_sel:BYTE_0 src1_sel:DWORD
	s_and_b64 vcc, exec, s[0:1]
	s_cbranch_vccz .LBB24_1668
; %bb.1667:
	global_load_sbyte v10, v[8:9], off
	s_mov_b64 s[0:1], 0
	s_waitcnt vmcnt(0)
	v_cvt_f16_i16_e32 v10, v10
	s_branch .LBB24_1669
.LBB24_1668:
	s_mov_b64 s[0:1], -1
                                        ; implicit-def: $vgpr10
.LBB24_1669:
	s_andn2_b64 vcc, exec, s[0:1]
	s_cbranch_vccnz .LBB24_1671
; %bb.1670:
	global_load_ubyte v8, v[8:9], off
	s_waitcnt vmcnt(0)
	v_cvt_f16_u16_e32 v10, v8
.LBB24_1671:
	s_mov_b64 s[6:7], -1
.LBB24_1672:
	s_andn2_b64 vcc, exec, s[6:7]
	s_cbranch_vccnz .LBB24_2060
; %bb.1673:
	s_waitcnt vmcnt(0)
	v_cvt_f32_f16_e32 v8, v10
	s_mov_b32 s0, 0x7f800000
	v_mov_b32_e32 v9, v15
	v_cmp_nlg_f32_e64 s[4:5], |v8|, s0
	s_and_saveexec_b64 s[0:1], s[4:5]
	s_cbranch_execz .LBB24_1675
; %bb.1674:
	v_mov_b32_e32 v9, 0
	v_mov_b32_e32 v16, 1.0
	global_store_dword v9, v16, s[12:13]
	global_load_dword v9, v9, s[14:15]
.LBB24_1675:
	s_or_b64 exec, exec, s[0:1]
	s_load_dword s0, s[34:35], 0x168
	v_fma_mixlo_f16 v5, v7, v5, 0
	v_cmp_eq_f32_e32 vcc, 1.0, v7
	v_mov_b32_e32 v16, s9
	v_cndmask_b32_e32 v1, v5, v1, vcc
	s_waitcnt lgkmcnt(0)
	s_and_b32 s16, s0, 0xff
	v_add_co_u32_e32 v6, vcc, s8, v6
	v_addc_co_u32_e32 v7, vcc, 0, v16, vcc
	v_cmp_lt_i16_e64 s[4:5], s16, 11
	s_and_b64 vcc, exec, s[4:5]
	s_cbranch_vccnz .LBB24_1682
; %bb.1676:
	v_cmp_gt_i16_e64 s[0:1], s16, 25
	s_mov_b64 s[12:13], -1
	s_mov_b64 s[6:7], 0
	s_and_b64 vcc, exec, s[0:1]
	s_mov_b64 s[10:11], 0
	s_mov_b64 s[0:1], 0
	s_cbranch_vccz .LBB24_1714
; %bb.1677:
	v_cmp_gt_i16_e64 s[0:1], s16, 28
	s_and_b64 vcc, exec, s[0:1]
	s_cbranch_vccz .LBB24_1683
; %bb.1678:
	v_cmp_gt_i16_e64 s[0:1], s16, 43
	s_and_b64 vcc, exec, s[0:1]
	;; [unrolled: 4-line block ×3, first 2 shown]
	s_cbranch_vccz .LBB24_1686
; %bb.1680:
	v_cmp_eq_u16_e64 s[10:11], s16, 46
	s_mov_b64 s[0:1], -1
	s_mov_b64 s[12:13], 0
	s_and_b64 vcc, exec, s[10:11]
	s_mov_b64 s[10:11], 0
	s_cbranch_vccz .LBB24_1687
; %bb.1681:
	v_cvt_f32_f16_e32 v5, v1
	s_movk_i32 s0, 0x7fff
	v_mov_b32_e32 v16, 0x7fc0
	v_cmp_o_f16_e32 vcc, v1, v1
	v_bfe_u32 v17, v5, 16, 1
	v_add3_u32 v5, v5, v17, s0
	v_lshrrev_b32_e32 v5, 16, v5
	v_cndmask_b32_e32 v5, v16, v5, vcc
	global_store_dword v[6:7], v5, off
	s_mov_b64 s[0:1], 0
	s_mov_b64 s[10:11], -1
	s_branch .LBB24_1687
.LBB24_1682:
	s_mov_b64 s[0:1], -1
	s_mov_b64 s[10:11], 0
	s_branch .LBB24_1758
.LBB24_1683:
	s_mov_b64 s[0:1], 0
	s_branch .LBB24_1697
.LBB24_1684:
	s_mov_b64 s[0:1], 0
	s_branch .LBB24_1693
.LBB24_1685:
	s_trap 2
	s_or_b64 s[2:3], s[2:3], exec
                                        ; implicit-def: $vgpr10
	s_cbranch_execz .LBB24_1621
	s_branch .LBB24_1622
.LBB24_1686:
	s_mov_b64 s[0:1], 0
.LBB24_1687:
	s_and_b64 vcc, exec, s[12:13]
	s_cbranch_vccz .LBB24_1692
; %bb.1688:
	v_cmp_eq_u16_e64 s[12:13], s16, 44
	s_mov_b64 s[0:1], -1
	s_and_b64 vcc, exec, s[12:13]
	s_cbranch_vccz .LBB24_1692
; %bb.1689:
	v_cvt_f32_f16_e32 v5, v1
	s_movk_i32 s0, 0xff
	v_mov_b32_e32 v17, 0xff
	v_bfe_u32 v16, v5, 23, 8
	v_cmp_ne_u32_e32 vcc, s0, v16
	s_and_saveexec_b64 s[10:11], vcc
; %bb.1690:
	s_mov_b32 s0, 0x3fffff
	v_lshrrev_b32_e32 v17, 23, v5
	v_and_b32_e32 v18, 0x400000, v5
	v_and_or_b32 v5, v5, s0, v16
	v_cmp_ne_u32_e32 vcc, 0, v18
	v_cmp_ne_u32_e64 s[0:1], 0, v5
	s_and_b64 s[0:1], vcc, s[0:1]
	v_cndmask_b32_e64 v5, 0, 1, s[0:1]
	v_add_u32_e32 v17, v17, v5
; %bb.1691:
	s_or_b64 exec, exec, s[10:11]
	s_mov_b64 s[0:1], 0
	s_mov_b64 s[10:11], -1
	global_store_byte v[6:7], v17, off
.LBB24_1692:
	s_mov_b64 s[12:13], 0
.LBB24_1693:
	s_and_b64 vcc, exec, s[12:13]
	s_cbranch_vccz .LBB24_1696
; %bb.1694:
	v_cmp_eq_u16_e64 s[12:13], s16, 29
	s_mov_b64 s[0:1], -1
	s_and_b64 vcc, exec, s[12:13]
	s_cbranch_vccz .LBB24_1696
; %bb.1695:
	v_cvt_f32_f16_e32 v5, v1
	v_mov_b32_e32 v17, 0
	s_mov_b64 s[0:1], 0
	s_mov_b64 s[10:11], -1
	v_cvt_u32_f32_e32 v16, v5
	s_mov_b64 s[12:13], 0
	global_store_dwordx2 v[6:7], v[16:17], off
	s_branch .LBB24_1697
.LBB24_1696:
	s_mov_b64 s[12:13], 0
.LBB24_1697:
	s_and_b64 vcc, exec, s[12:13]
	s_cbranch_vccz .LBB24_1713
; %bb.1698:
	v_cmp_lt_i16_e64 s[12:13], s16, 27
	s_mov_b64 s[10:11], -1
	s_and_b64 vcc, exec, s[12:13]
	s_cbranch_vccnz .LBB24_1704
; %bb.1699:
	v_cmp_gt_i16_e64 s[12:13], s16, 27
	s_and_b64 vcc, exec, s[12:13]
	s_cbranch_vccz .LBB24_1701
; %bb.1700:
	v_cvt_f32_f16_e32 v5, v1
	s_mov_b64 s[10:11], 0
	v_cvt_u32_f32_e32 v5, v5
	global_store_dword v[6:7], v5, off
.LBB24_1701:
	s_andn2_b64 vcc, exec, s[10:11]
	s_cbranch_vccnz .LBB24_1703
; %bb.1702:
	v_cvt_u16_f16_e32 v5, v1
	global_store_short v[6:7], v5, off
.LBB24_1703:
	s_mov_b64 s[10:11], 0
.LBB24_1704:
	s_andn2_b64 vcc, exec, s[10:11]
	s_cbranch_vccnz .LBB24_1712
; %bb.1705:
	v_cvt_f32_f16_e32 v5, v1
	s_mov_b32 s10, 0x43800000
	v_mov_b32_e32 v17, 0x80
	v_and_b32_e32 v16, 0x7fffffff, v5
	v_cmp_gt_u32_e32 vcc, s10, v16
	s_and_saveexec_b64 s[10:11], vcc
	s_cbranch_execz .LBB24_1711
; %bb.1706:
	s_mov_b32 s12, 0x3bffffff
	v_cmp_lt_u32_e32 vcc, s12, v16
	s_mov_b64 s[12:13], 0
                                        ; implicit-def: $vgpr16
	s_and_saveexec_b64 s[14:15], vcc
	s_xor_b64 s[14:15], exec, s[14:15]
	s_cbranch_execz .LBB24_1807
; %bb.1707:
	v_bfe_u32 v16, v5, 20, 1
	s_mov_b32 s17, 0x487ffff
	v_add3_u32 v16, v5, v16, s17
	s_mov_b64 s[12:13], exec
	v_lshrrev_b32_e32 v16, 20, v16
	s_or_saveexec_b64 s[14:15], s[14:15]
                                        ; implicit-def: $sgpr17
	s_xor_b64 exec, exec, s[14:15]
	s_cbranch_execnz .LBB24_1808
.LBB24_1708:
	s_or_b64 exec, exec, s[14:15]
	v_mov_b32_e32 v17, s17
	s_and_saveexec_b64 s[14:15], s[12:13]
.LBB24_1709:
	v_lshrrev_b32_e32 v5, 24, v5
	s_movk_i32 s12, 0x80
	v_and_or_b32 v17, v5, s12, v16
.LBB24_1710:
	s_or_b64 exec, exec, s[14:15]
.LBB24_1711:
	s_or_b64 exec, exec, s[10:11]
	global_store_byte v[6:7], v17, off
.LBB24_1712:
	s_mov_b64 s[10:11], -1
.LBB24_1713:
	s_mov_b64 s[12:13], 0
.LBB24_1714:
	s_and_b64 vcc, exec, s[12:13]
	s_cbranch_vccz .LBB24_1754
; %bb.1715:
	v_cmp_gt_i16_e64 s[12:13], s16, 22
	s_mov_b64 s[6:7], -1
	s_and_b64 vcc, exec, s[12:13]
	s_cbranch_vccz .LBB24_1747
; %bb.1716:
	v_cmp_lt_i16_e64 s[10:11], s16, 24
	s_and_b64 vcc, exec, s[10:11]
	s_cbranch_vccnz .LBB24_1736
; %bb.1717:
	v_cmp_gt_i16_e64 s[10:11], s16, 24
	s_and_b64 vcc, exec, s[10:11]
	s_cbranch_vccz .LBB24_1725
; %bb.1718:
	v_cvt_f32_f16_e32 v5, v1
	s_mov_b32 s6, 0x47800000
	v_mov_b32_e32 v17, 0x80
	v_and_b32_e32 v16, 0x7fffffff, v5
	v_cmp_gt_u32_e32 vcc, s6, v16
	s_and_saveexec_b64 s[6:7], vcc
	s_cbranch_execz .LBB24_1724
; %bb.1719:
	s_mov_b32 s10, 0x37ffffff
	v_cmp_lt_u32_e32 vcc, s10, v16
	s_mov_b64 s[10:11], 0
                                        ; implicit-def: $vgpr16
	s_and_saveexec_b64 s[12:13], vcc
	s_xor_b64 s[12:13], exec, s[12:13]
	s_cbranch_execz .LBB24_1811
; %bb.1720:
	v_bfe_u32 v16, v5, 21, 1
	s_mov_b32 s14, 0x88fffff
	v_add3_u32 v16, v5, v16, s14
	s_mov_b64 s[10:11], exec
	v_lshrrev_b32_e32 v16, 21, v16
	s_or_saveexec_b64 s[12:13], s[12:13]
                                        ; implicit-def: $sgpr14
	s_xor_b64 exec, exec, s[12:13]
	s_cbranch_execnz .LBB24_1812
.LBB24_1721:
	s_or_b64 exec, exec, s[12:13]
	v_mov_b32_e32 v17, s14
	s_and_saveexec_b64 s[12:13], s[10:11]
.LBB24_1722:
	v_lshrrev_b32_e32 v5, 24, v5
	s_movk_i32 s10, 0x80
	v_and_or_b32 v17, v5, s10, v16
.LBB24_1723:
	s_or_b64 exec, exec, s[12:13]
.LBB24_1724:
	s_or_b64 exec, exec, s[6:7]
	s_mov_b64 s[6:7], 0
	global_store_byte v[6:7], v17, off
.LBB24_1725:
	s_and_b64 vcc, exec, s[6:7]
	s_cbranch_vccz .LBB24_1735
; %bb.1726:
	v_cvt_f32_f16_e32 v5, v1
	s_mov_b32 s6, 0x43f00000
                                        ; implicit-def: $vgpr16
	v_and_b32_e32 v17, 0x7fffffff, v5
	v_cmp_gt_u32_e32 vcc, s6, v17
	s_and_saveexec_b64 s[6:7], vcc
	s_xor_b64 s[6:7], exec, s[6:7]
	s_cbranch_execz .LBB24_1732
; %bb.1727:
	s_mov_b32 s10, 0x3c7fffff
	v_cmp_lt_u32_e32 vcc, s10, v17
                                        ; implicit-def: $vgpr16
	s_and_saveexec_b64 s[10:11], vcc
	s_xor_b64 s[10:11], exec, s[10:11]
; %bb.1728:
	v_bfe_u32 v16, v5, 20, 1
	s_mov_b32 s12, 0x407ffff
	v_add3_u32 v16, v5, v16, s12
	v_lshrrev_b32_e32 v17, 20, v16
	v_and_b32_e32 v16, 0xff00000, v16
	s_mov_b32 s12, 0x7f00000
	v_mov_b32_e32 v18, 0x7e
	v_cmp_ne_u32_e32 vcc, s12, v16
	v_cndmask_b32_e32 v16, v18, v17, vcc
; %bb.1729:
	s_andn2_saveexec_b64 s[10:11], s[10:11]
; %bb.1730:
	s_mov_b32 s12, 0x46800000
	v_add_f32_e64 v16, |v5|, s12
; %bb.1731:
	s_or_b64 exec, exec, s[10:11]
                                        ; implicit-def: $vgpr17
.LBB24_1732:
	s_andn2_saveexec_b64 s[6:7], s[6:7]
; %bb.1733:
	s_mov_b32 s10, 0x7f800000
	v_mov_b32_e32 v16, 0x7e
	v_mov_b32_e32 v18, 0x7f
	v_cmp_lt_u32_e32 vcc, s10, v17
	v_cndmask_b32_e32 v16, v16, v18, vcc
; %bb.1734:
	s_or_b64 exec, exec, s[6:7]
	v_lshrrev_b32_e32 v5, 24, v5
	s_movk_i32 s6, 0x80
	v_and_or_b32 v5, v5, s6, v16
	global_store_byte v[6:7], v5, off
.LBB24_1735:
	s_mov_b64 s[6:7], 0
.LBB24_1736:
	s_andn2_b64 vcc, exec, s[6:7]
	s_cbranch_vccnz .LBB24_1746
; %bb.1737:
	v_cvt_f32_f16_e32 v5, v1
	s_mov_b32 s6, 0x47800000
                                        ; implicit-def: $vgpr16
	v_and_b32_e32 v17, 0x7fffffff, v5
	v_cmp_gt_u32_e32 vcc, s6, v17
	s_and_saveexec_b64 s[6:7], vcc
	s_xor_b64 s[6:7], exec, s[6:7]
	s_cbranch_execz .LBB24_1743
; %bb.1738:
	s_mov_b32 s10, 0x387fffff
	v_cmp_lt_u32_e32 vcc, s10, v17
                                        ; implicit-def: $vgpr16
	s_and_saveexec_b64 s[10:11], vcc
	s_xor_b64 s[10:11], exec, s[10:11]
; %bb.1739:
	v_bfe_u32 v16, v5, 21, 1
	s_mov_b32 s12, 0x80fffff
	v_add3_u32 v16, v5, v16, s12
	v_lshrrev_b32_e32 v16, 21, v16
; %bb.1740:
	s_andn2_saveexec_b64 s[10:11], s[10:11]
; %bb.1741:
	s_mov_b32 s12, 0x43000000
	v_add_f32_e64 v16, |v5|, s12
; %bb.1742:
	s_or_b64 exec, exec, s[10:11]
                                        ; implicit-def: $vgpr17
.LBB24_1743:
	s_andn2_saveexec_b64 s[6:7], s[6:7]
; %bb.1744:
	s_mov_b32 s10, 0x7f800000
	v_mov_b32_e32 v16, 0x7c
	v_mov_b32_e32 v18, 0x7f
	v_cmp_lt_u32_e32 vcc, s10, v17
	v_cndmask_b32_e32 v16, v16, v18, vcc
; %bb.1745:
	s_or_b64 exec, exec, s[6:7]
	v_lshrrev_b32_e32 v5, 24, v5
	s_movk_i32 s6, 0x80
	v_and_or_b32 v5, v5, s6, v16
	global_store_byte v[6:7], v5, off
.LBB24_1746:
	s_mov_b64 s[6:7], 0
	s_mov_b64 s[10:11], -1
.LBB24_1747:
	s_andn2_b64 vcc, exec, s[6:7]
	s_mov_b64 s[6:7], 0
	s_cbranch_vccnz .LBB24_1754
; %bb.1748:
	v_cmp_gt_i16_e64 s[6:7], s16, 14
	s_mov_b64 s[12:13], -1
	s_and_b64 vcc, exec, s[6:7]
	s_cbranch_vccz .LBB24_1752
; %bb.1749:
	v_cmp_eq_u16_e64 s[6:7], s16, 15
	s_mov_b64 s[0:1], -1
	s_and_b64 vcc, exec, s[6:7]
	s_cbranch_vccz .LBB24_1751
; %bb.1750:
	v_cvt_f32_f16_e32 v5, v1
	s_movk_i32 s0, 0x7fff
	v_mov_b32_e32 v16, 0x7fc0
	v_cmp_o_f16_e32 vcc, v1, v1
	v_bfe_u32 v17, v5, 16, 1
	v_add3_u32 v5, v5, v17, s0
	v_lshrrev_b32_e32 v5, 16, v5
	v_cndmask_b32_e32 v5, v16, v5, vcc
	global_store_short v[6:7], v5, off
	s_mov_b64 s[0:1], 0
	s_mov_b64 s[10:11], -1
.LBB24_1751:
	s_mov_b64 s[12:13], 0
.LBB24_1752:
	s_mov_b64 s[6:7], 0
	s_and_b64 vcc, exec, s[12:13]
	s_cbranch_vccz .LBB24_1754
; %bb.1753:
	v_cmp_ne_u16_e64 s[0:1], s16, 11
	s_mov_b64 s[6:7], -1
.LBB24_1754:
	s_and_b64 vcc, exec, s[0:1]
	s_cbranch_vccnz .LBB24_1810
; %bb.1755:
	s_andn2_b64 vcc, exec, s[6:7]
	s_cbranch_vccnz .LBB24_1757
.LBB24_1756:
	v_cmp_neq_f16_e32 vcc, 0, v1
	v_cndmask_b32_e64 v5, 0, 1, vcc
	s_mov_b64 s[10:11], -1
	global_store_byte v[6:7], v5, off
.LBB24_1757:
	s_mov_b64 s[0:1], 0
.LBB24_1758:
	s_and_b64 vcc, exec, s[0:1]
	s_cbranch_vccz .LBB24_1797
; %bb.1759:
	v_cmp_lt_i16_e64 s[6:7], s16, 5
	s_mov_b64 s[0:1], -1
	s_and_b64 vcc, exec, s[6:7]
	s_cbranch_vccnz .LBB24_1780
; %bb.1760:
	v_cmp_lt_i16_e64 s[6:7], s16, 8
	s_and_b64 vcc, exec, s[6:7]
	s_cbranch_vccnz .LBB24_1770
; %bb.1761:
	v_cmp_lt_i16_e64 s[6:7], s16, 9
	s_and_b64 vcc, exec, s[6:7]
	s_cbranch_vccnz .LBB24_1767
; %bb.1762:
	v_cmp_gt_i16_e64 s[6:7], s16, 9
	s_and_b64 vcc, exec, s[6:7]
	s_cbranch_vccz .LBB24_1764
; %bb.1763:
	v_cvt_f32_f16_e32 v5, v1
	v_mov_b32_e32 v18, 0
	v_mov_b32_e32 v19, v18
	s_mov_b64 s[0:1], 0
	v_cvt_f64_f32_e32 v[16:17], v5
	global_store_dwordx4 v[6:7], v[16:19], off
.LBB24_1764:
	s_andn2_b64 vcc, exec, s[0:1]
	s_cbranch_vccnz .LBB24_1766
; %bb.1765:
	v_cvt_f32_f16_e32 v16, v1
	v_mov_b32_e32 v17, 0
	global_store_dwordx2 v[6:7], v[16:17], off
.LBB24_1766:
	s_mov_b64 s[0:1], 0
.LBB24_1767:
	s_andn2_b64 vcc, exec, s[0:1]
	s_cbranch_vccnz .LBB24_1769
; %bb.1768:
	v_and_b32_e32 v5, 0xffff, v1
	global_store_dword v[6:7], v5, off
.LBB24_1769:
	s_mov_b64 s[0:1], 0
.LBB24_1770:
	s_andn2_b64 vcc, exec, s[0:1]
	s_cbranch_vccnz .LBB24_1779
; %bb.1771:
	v_cmp_lt_i16_e64 s[6:7], s16, 6
	s_mov_b64 s[0:1], -1
	s_and_b64 vcc, exec, s[6:7]
	s_cbranch_vccnz .LBB24_1777
; %bb.1772:
	v_cmp_gt_i16_e64 s[6:7], s16, 6
	s_and_b64 vcc, exec, s[6:7]
	s_cbranch_vccz .LBB24_1774
; %bb.1773:
	v_cvt_f32_f16_e32 v5, v1
	s_mov_b64 s[0:1], 0
	v_cvt_f64_f32_e32 v[16:17], v5
	global_store_dwordx2 v[6:7], v[16:17], off
.LBB24_1774:
	s_andn2_b64 vcc, exec, s[0:1]
	s_cbranch_vccnz .LBB24_1776
; %bb.1775:
	v_cvt_f32_f16_e32 v5, v1
	global_store_dword v[6:7], v5, off
.LBB24_1776:
	s_mov_b64 s[0:1], 0
.LBB24_1777:
	s_andn2_b64 vcc, exec, s[0:1]
	s_cbranch_vccnz .LBB24_1779
; %bb.1778:
	global_store_short v[6:7], v1, off
.LBB24_1779:
	s_mov_b64 s[0:1], 0
.LBB24_1780:
	s_andn2_b64 vcc, exec, s[0:1]
	s_cbranch_vccnz .LBB24_1796
; %bb.1781:
	v_cmp_lt_i16_e64 s[6:7], s16, 2
	s_mov_b64 s[0:1], -1
	s_and_b64 vcc, exec, s[6:7]
	s_cbranch_vccnz .LBB24_1791
; %bb.1782:
	v_cmp_lt_i16_e64 s[6:7], s16, 3
	s_and_b64 vcc, exec, s[6:7]
	s_cbranch_vccnz .LBB24_1788
; %bb.1783:
	v_cmp_gt_i16_e64 s[6:7], s16, 3
	s_and_b64 vcc, exec, s[6:7]
	s_cbranch_vccz .LBB24_1785
; %bb.1784:
	v_cvt_f32_f16_e32 v5, v1
	s_mov_b64 s[0:1], 0
	v_cvt_i32_f32_e32 v16, v5
	v_ashrrev_i32_e32 v17, 31, v16
	global_store_dwordx2 v[6:7], v[16:17], off
.LBB24_1785:
	s_andn2_b64 vcc, exec, s[0:1]
	s_cbranch_vccnz .LBB24_1787
; %bb.1786:
	v_cvt_f32_f16_e32 v5, v1
	v_cvt_i32_f32_e32 v5, v5
	global_store_dword v[6:7], v5, off
.LBB24_1787:
	s_mov_b64 s[0:1], 0
.LBB24_1788:
	s_andn2_b64 vcc, exec, s[0:1]
	s_cbranch_vccnz .LBB24_1790
; %bb.1789:
	v_cvt_i16_f16_e32 v5, v1
	global_store_short v[6:7], v5, off
.LBB24_1790:
	s_mov_b64 s[0:1], 0
.LBB24_1791:
	s_andn2_b64 vcc, exec, s[0:1]
	s_cbranch_vccnz .LBB24_1796
; %bb.1792:
	v_cmp_gt_i16_e64 s[6:7], s16, 0
	s_mov_b64 s[0:1], -1
	s_and_b64 vcc, exec, s[6:7]
	s_cbranch_vccz .LBB24_1794
; %bb.1793:
	v_cvt_i16_f16_e32 v5, v1
	global_store_byte v[6:7], v5, off
	s_mov_b64 s[0:1], 0
.LBB24_1794:
	s_andn2_b64 vcc, exec, s[0:1]
	s_cbranch_vccnz .LBB24_1796
; %bb.1795:
	v_cvt_f32_f16_e32 v1, v1
	v_cvt_i32_f32_e32 v1, v1
	global_store_byte v[6:7], v1, off
.LBB24_1796:
	s_mov_b64 s[10:11], -1
.LBB24_1797:
	s_andn2_b64 vcc, exec, s[10:11]
	s_cbranch_vccnz .LBB24_2060
; %bb.1798:
	v_fma_mixlo_f16 v1, v14, v13, 0
	v_cmp_eq_f32_e32 vcc, 1.0, v14
	v_cndmask_b32_e32 v1, v1, v3, vcc
	v_mov_b32_e32 v3, s9
	v_add_co_u32_e32 v4, vcc, s8, v4
	v_addc_co_u32_e32 v5, vcc, 0, v3, vcc
	s_and_b64 vcc, exec, s[4:5]
	s_cbranch_vccnz .LBB24_1805
; %bb.1799:
	v_cmp_gt_i16_e64 s[0:1], s16, 25
	s_mov_b64 s[12:13], -1
	s_mov_b64 s[6:7], 0
	s_and_b64 vcc, exec, s[0:1]
	s_mov_b64 s[10:11], 0
	s_mov_b64 s[0:1], 0
	s_cbranch_vccz .LBB24_1841
; %bb.1800:
	v_cmp_gt_i16_e64 s[0:1], s16, 28
	s_and_b64 vcc, exec, s[0:1]
	s_cbranch_vccz .LBB24_1806
; %bb.1801:
	v_cmp_gt_i16_e64 s[0:1], s16, 43
	s_and_b64 vcc, exec, s[0:1]
	;; [unrolled: 4-line block ×3, first 2 shown]
	s_cbranch_vccz .LBB24_1813
; %bb.1803:
	v_cmp_eq_u16_e64 s[10:11], s16, 46
	s_mov_b64 s[0:1], -1
	s_mov_b64 s[12:13], 0
	s_and_b64 vcc, exec, s[10:11]
	s_mov_b64 s[10:11], 0
	s_cbranch_vccz .LBB24_1814
; %bb.1804:
	v_cvt_f32_f16_e32 v3, v1
	s_movk_i32 s0, 0x7fff
	v_mov_b32_e32 v6, 0x7fc0
	v_cmp_o_f16_e32 vcc, v1, v1
	v_bfe_u32 v7, v3, 16, 1
	v_add3_u32 v3, v3, v7, s0
	v_lshrrev_b32_e32 v3, 16, v3
	v_cndmask_b32_e32 v3, v6, v3, vcc
	global_store_dword v[4:5], v3, off
	s_mov_b64 s[0:1], 0
	s_mov_b64 s[10:11], -1
	s_branch .LBB24_1814
.LBB24_1805:
	s_mov_b64 s[0:1], -1
	s_mov_b64 s[10:11], 0
	s_branch .LBB24_1885
.LBB24_1806:
	s_mov_b64 s[0:1], 0
	s_branch .LBB24_1824
.LBB24_1807:
	s_or_saveexec_b64 s[14:15], s[14:15]
                                        ; implicit-def: $sgpr17
	s_xor_b64 exec, exec, s[14:15]
	s_cbranch_execz .LBB24_1708
.LBB24_1808:
	s_mov_b32 s17, 0x46000000
	v_add_f32_e64 v16, |v5|, s17
	v_and_b32_e32 v16, 0xff, v16
	v_cmp_ne_u32_e32 vcc, 0, v16
	s_andn2_b64 s[12:13], s[12:13], exec
	s_and_b64 s[18:19], vcc, exec
	s_mov_b32 s17, 0
	s_or_b64 s[12:13], s[12:13], s[18:19]
	s_or_b64 exec, exec, s[14:15]
	v_mov_b32_e32 v17, s17
	s_and_saveexec_b64 s[14:15], s[12:13]
	s_cbranch_execnz .LBB24_1709
	s_branch .LBB24_1710
.LBB24_1809:
	s_mov_b64 s[0:1], 0
	s_branch .LBB24_1820
.LBB24_1810:
	s_trap 2
	s_or_b64 s[2:3], s[2:3], exec
	s_cbranch_execz .LBB24_1756
	s_branch .LBB24_1757
.LBB24_1811:
	s_or_saveexec_b64 s[12:13], s[12:13]
                                        ; implicit-def: $sgpr14
	s_xor_b64 exec, exec, s[12:13]
	s_cbranch_execz .LBB24_1721
.LBB24_1812:
	s_mov_b32 s14, 0x42800000
	v_add_f32_e64 v16, |v5|, s14
	v_and_b32_e32 v16, 0xff, v16
	v_cmp_ne_u32_e32 vcc, 0, v16
	s_andn2_b64 s[10:11], s[10:11], exec
	s_and_b64 s[18:19], vcc, exec
	s_mov_b32 s14, 0
	s_or_b64 s[10:11], s[10:11], s[18:19]
	s_or_b64 exec, exec, s[12:13]
	v_mov_b32_e32 v17, s14
	s_and_saveexec_b64 s[12:13], s[10:11]
	s_cbranch_execnz .LBB24_1722
	s_branch .LBB24_1723
.LBB24_1813:
	s_mov_b64 s[0:1], 0
.LBB24_1814:
	s_and_b64 vcc, exec, s[12:13]
	s_cbranch_vccz .LBB24_1819
; %bb.1815:
	v_cmp_eq_u16_e64 s[12:13], s16, 44
	s_mov_b64 s[0:1], -1
	s_and_b64 vcc, exec, s[12:13]
	s_cbranch_vccz .LBB24_1819
; %bb.1816:
	v_cvt_f32_f16_e32 v3, v1
	s_movk_i32 s0, 0xff
	v_mov_b32_e32 v7, 0xff
	v_bfe_u32 v6, v3, 23, 8
	v_cmp_ne_u32_e32 vcc, s0, v6
	s_and_saveexec_b64 s[10:11], vcc
; %bb.1817:
	s_mov_b32 s0, 0x3fffff
	v_lshrrev_b32_e32 v7, 23, v3
	v_and_b32_e32 v13, 0x400000, v3
	v_and_or_b32 v3, v3, s0, v6
	v_cmp_ne_u32_e32 vcc, 0, v13
	v_cmp_ne_u32_e64 s[0:1], 0, v3
	s_and_b64 s[0:1], vcc, s[0:1]
	v_cndmask_b32_e64 v3, 0, 1, s[0:1]
	v_add_u32_e32 v7, v7, v3
; %bb.1818:
	s_or_b64 exec, exec, s[10:11]
	s_mov_b64 s[0:1], 0
	s_mov_b64 s[10:11], -1
	global_store_byte v[4:5], v7, off
.LBB24_1819:
	s_mov_b64 s[12:13], 0
.LBB24_1820:
	s_and_b64 vcc, exec, s[12:13]
	s_cbranch_vccz .LBB24_1823
; %bb.1821:
	v_cmp_eq_u16_e64 s[12:13], s16, 29
	s_mov_b64 s[0:1], -1
	s_and_b64 vcc, exec, s[12:13]
	s_cbranch_vccz .LBB24_1823
; %bb.1822:
	v_cvt_f32_f16_e32 v3, v1
	v_mov_b32_e32 v7, 0
	s_mov_b64 s[0:1], 0
	s_mov_b64 s[10:11], -1
	v_cvt_u32_f32_e32 v6, v3
	s_mov_b64 s[12:13], 0
	global_store_dwordx2 v[4:5], v[6:7], off
	s_branch .LBB24_1824
.LBB24_1823:
	s_mov_b64 s[12:13], 0
.LBB24_1824:
	s_and_b64 vcc, exec, s[12:13]
	s_cbranch_vccz .LBB24_1840
; %bb.1825:
	v_cmp_lt_i16_e64 s[12:13], s16, 27
	s_mov_b64 s[10:11], -1
	s_and_b64 vcc, exec, s[12:13]
	s_cbranch_vccnz .LBB24_1831
; %bb.1826:
	v_cmp_gt_i16_e64 s[12:13], s16, 27
	s_and_b64 vcc, exec, s[12:13]
	s_cbranch_vccz .LBB24_1828
; %bb.1827:
	v_cvt_f32_f16_e32 v3, v1
	s_mov_b64 s[10:11], 0
	v_cvt_u32_f32_e32 v3, v3
	global_store_dword v[4:5], v3, off
.LBB24_1828:
	s_andn2_b64 vcc, exec, s[10:11]
	s_cbranch_vccnz .LBB24_1830
; %bb.1829:
	v_cvt_u16_f16_e32 v3, v1
	global_store_short v[4:5], v3, off
.LBB24_1830:
	s_mov_b64 s[10:11], 0
.LBB24_1831:
	s_andn2_b64 vcc, exec, s[10:11]
	s_cbranch_vccnz .LBB24_1839
; %bb.1832:
	v_cvt_f32_f16_e32 v3, v1
	s_mov_b32 s10, 0x43800000
	v_mov_b32_e32 v7, 0x80
	v_and_b32_e32 v6, 0x7fffffff, v3
	v_cmp_gt_u32_e32 vcc, s10, v6
	s_and_saveexec_b64 s[10:11], vcc
	s_cbranch_execz .LBB24_1838
; %bb.1833:
	s_mov_b32 s12, 0x3bffffff
	v_cmp_lt_u32_e32 vcc, s12, v6
	s_mov_b64 s[12:13], 0
                                        ; implicit-def: $vgpr6
	s_and_saveexec_b64 s[14:15], vcc
	s_xor_b64 s[14:15], exec, s[14:15]
	s_cbranch_execz .LBB24_1934
; %bb.1834:
	v_bfe_u32 v6, v3, 20, 1
	s_mov_b32 s17, 0x487ffff
	v_add3_u32 v6, v3, v6, s17
	s_mov_b64 s[12:13], exec
	v_lshrrev_b32_e32 v6, 20, v6
	s_or_saveexec_b64 s[14:15], s[14:15]
                                        ; implicit-def: $sgpr17
	s_xor_b64 exec, exec, s[14:15]
	s_cbranch_execnz .LBB24_1935
.LBB24_1835:
	s_or_b64 exec, exec, s[14:15]
	v_mov_b32_e32 v7, s17
	s_and_saveexec_b64 s[14:15], s[12:13]
.LBB24_1836:
	v_lshrrev_b32_e32 v3, 24, v3
	s_movk_i32 s12, 0x80
	v_and_or_b32 v7, v3, s12, v6
.LBB24_1837:
	s_or_b64 exec, exec, s[14:15]
.LBB24_1838:
	s_or_b64 exec, exec, s[10:11]
	global_store_byte v[4:5], v7, off
.LBB24_1839:
	s_mov_b64 s[10:11], -1
.LBB24_1840:
	s_mov_b64 s[12:13], 0
.LBB24_1841:
	s_and_b64 vcc, exec, s[12:13]
	s_cbranch_vccz .LBB24_1881
; %bb.1842:
	v_cmp_gt_i16_e64 s[12:13], s16, 22
	s_mov_b64 s[6:7], -1
	s_and_b64 vcc, exec, s[12:13]
	s_cbranch_vccz .LBB24_1874
; %bb.1843:
	v_cmp_lt_i16_e64 s[10:11], s16, 24
	s_and_b64 vcc, exec, s[10:11]
	s_cbranch_vccnz .LBB24_1863
; %bb.1844:
	v_cmp_gt_i16_e64 s[10:11], s16, 24
	s_and_b64 vcc, exec, s[10:11]
	s_cbranch_vccz .LBB24_1852
; %bb.1845:
	v_cvt_f32_f16_e32 v3, v1
	s_mov_b32 s6, 0x47800000
	v_mov_b32_e32 v7, 0x80
	v_and_b32_e32 v6, 0x7fffffff, v3
	v_cmp_gt_u32_e32 vcc, s6, v6
	s_and_saveexec_b64 s[6:7], vcc
	s_cbranch_execz .LBB24_1851
; %bb.1846:
	s_mov_b32 s10, 0x37ffffff
	v_cmp_lt_u32_e32 vcc, s10, v6
	s_mov_b64 s[10:11], 0
                                        ; implicit-def: $vgpr6
	s_and_saveexec_b64 s[12:13], vcc
	s_xor_b64 s[12:13], exec, s[12:13]
	s_cbranch_execz .LBB24_1938
; %bb.1847:
	v_bfe_u32 v6, v3, 21, 1
	s_mov_b32 s14, 0x88fffff
	v_add3_u32 v6, v3, v6, s14
	s_mov_b64 s[10:11], exec
	v_lshrrev_b32_e32 v6, 21, v6
	s_or_saveexec_b64 s[12:13], s[12:13]
                                        ; implicit-def: $sgpr14
	s_xor_b64 exec, exec, s[12:13]
	s_cbranch_execnz .LBB24_1939
.LBB24_1848:
	s_or_b64 exec, exec, s[12:13]
	v_mov_b32_e32 v7, s14
	s_and_saveexec_b64 s[12:13], s[10:11]
.LBB24_1849:
	v_lshrrev_b32_e32 v3, 24, v3
	s_movk_i32 s10, 0x80
	v_and_or_b32 v7, v3, s10, v6
.LBB24_1850:
	s_or_b64 exec, exec, s[12:13]
.LBB24_1851:
	s_or_b64 exec, exec, s[6:7]
	s_mov_b64 s[6:7], 0
	global_store_byte v[4:5], v7, off
.LBB24_1852:
	s_and_b64 vcc, exec, s[6:7]
	s_cbranch_vccz .LBB24_1862
; %bb.1853:
	v_cvt_f32_f16_e32 v3, v1
	s_mov_b32 s6, 0x43f00000
                                        ; implicit-def: $vgpr6
	v_and_b32_e32 v7, 0x7fffffff, v3
	v_cmp_gt_u32_e32 vcc, s6, v7
	s_and_saveexec_b64 s[6:7], vcc
	s_xor_b64 s[6:7], exec, s[6:7]
	s_cbranch_execz .LBB24_1859
; %bb.1854:
	s_mov_b32 s10, 0x3c7fffff
	v_cmp_lt_u32_e32 vcc, s10, v7
                                        ; implicit-def: $vgpr6
	s_and_saveexec_b64 s[10:11], vcc
	s_xor_b64 s[10:11], exec, s[10:11]
; %bb.1855:
	v_bfe_u32 v6, v3, 20, 1
	s_mov_b32 s12, 0x407ffff
	v_add3_u32 v6, v3, v6, s12
	v_lshrrev_b32_e32 v7, 20, v6
	v_and_b32_e32 v6, 0xff00000, v6
	s_mov_b32 s12, 0x7f00000
	v_mov_b32_e32 v13, 0x7e
	v_cmp_ne_u32_e32 vcc, s12, v6
	v_cndmask_b32_e32 v6, v13, v7, vcc
; %bb.1856:
	s_andn2_saveexec_b64 s[10:11], s[10:11]
; %bb.1857:
	s_mov_b32 s12, 0x46800000
	v_add_f32_e64 v6, |v3|, s12
; %bb.1858:
	s_or_b64 exec, exec, s[10:11]
                                        ; implicit-def: $vgpr7
.LBB24_1859:
	s_andn2_saveexec_b64 s[6:7], s[6:7]
; %bb.1860:
	s_mov_b32 s10, 0x7f800000
	v_mov_b32_e32 v6, 0x7e
	v_mov_b32_e32 v13, 0x7f
	v_cmp_lt_u32_e32 vcc, s10, v7
	v_cndmask_b32_e32 v6, v6, v13, vcc
; %bb.1861:
	s_or_b64 exec, exec, s[6:7]
	v_lshrrev_b32_e32 v3, 24, v3
	s_movk_i32 s6, 0x80
	v_and_or_b32 v3, v3, s6, v6
	global_store_byte v[4:5], v3, off
.LBB24_1862:
	s_mov_b64 s[6:7], 0
.LBB24_1863:
	s_andn2_b64 vcc, exec, s[6:7]
	s_cbranch_vccnz .LBB24_1873
; %bb.1864:
	v_cvt_f32_f16_e32 v3, v1
	s_mov_b32 s6, 0x47800000
                                        ; implicit-def: $vgpr6
	v_and_b32_e32 v7, 0x7fffffff, v3
	v_cmp_gt_u32_e32 vcc, s6, v7
	s_and_saveexec_b64 s[6:7], vcc
	s_xor_b64 s[6:7], exec, s[6:7]
	s_cbranch_execz .LBB24_1870
; %bb.1865:
	s_mov_b32 s10, 0x387fffff
	v_cmp_lt_u32_e32 vcc, s10, v7
                                        ; implicit-def: $vgpr6
	s_and_saveexec_b64 s[10:11], vcc
	s_xor_b64 s[10:11], exec, s[10:11]
; %bb.1866:
	v_bfe_u32 v6, v3, 21, 1
	s_mov_b32 s12, 0x80fffff
	v_add3_u32 v6, v3, v6, s12
	v_lshrrev_b32_e32 v6, 21, v6
; %bb.1867:
	s_andn2_saveexec_b64 s[10:11], s[10:11]
; %bb.1868:
	s_mov_b32 s12, 0x43000000
	v_add_f32_e64 v6, |v3|, s12
; %bb.1869:
	s_or_b64 exec, exec, s[10:11]
                                        ; implicit-def: $vgpr7
.LBB24_1870:
	s_andn2_saveexec_b64 s[6:7], s[6:7]
; %bb.1871:
	s_mov_b32 s10, 0x7f800000
	v_mov_b32_e32 v6, 0x7c
	v_mov_b32_e32 v13, 0x7f
	v_cmp_lt_u32_e32 vcc, s10, v7
	v_cndmask_b32_e32 v6, v6, v13, vcc
; %bb.1872:
	s_or_b64 exec, exec, s[6:7]
	v_lshrrev_b32_e32 v3, 24, v3
	s_movk_i32 s6, 0x80
	v_and_or_b32 v3, v3, s6, v6
	global_store_byte v[4:5], v3, off
.LBB24_1873:
	s_mov_b64 s[6:7], 0
	s_mov_b64 s[10:11], -1
.LBB24_1874:
	s_andn2_b64 vcc, exec, s[6:7]
	s_mov_b64 s[6:7], 0
	s_cbranch_vccnz .LBB24_1881
; %bb.1875:
	v_cmp_gt_i16_e64 s[6:7], s16, 14
	s_mov_b64 s[12:13], -1
	s_and_b64 vcc, exec, s[6:7]
	s_cbranch_vccz .LBB24_1879
; %bb.1876:
	v_cmp_eq_u16_e64 s[6:7], s16, 15
	s_mov_b64 s[0:1], -1
	s_and_b64 vcc, exec, s[6:7]
	s_cbranch_vccz .LBB24_1878
; %bb.1877:
	v_cvt_f32_f16_e32 v3, v1
	s_movk_i32 s0, 0x7fff
	v_mov_b32_e32 v6, 0x7fc0
	v_cmp_o_f16_e32 vcc, v1, v1
	v_bfe_u32 v7, v3, 16, 1
	v_add3_u32 v3, v3, v7, s0
	v_lshrrev_b32_e32 v3, 16, v3
	v_cndmask_b32_e32 v3, v6, v3, vcc
	global_store_short v[4:5], v3, off
	s_mov_b64 s[0:1], 0
	s_mov_b64 s[10:11], -1
.LBB24_1878:
	s_mov_b64 s[12:13], 0
.LBB24_1879:
	s_mov_b64 s[6:7], 0
	s_and_b64 vcc, exec, s[12:13]
	s_cbranch_vccz .LBB24_1881
; %bb.1880:
	v_cmp_ne_u16_e64 s[0:1], s16, 11
	s_mov_b64 s[6:7], -1
.LBB24_1881:
	s_and_b64 vcc, exec, s[0:1]
	s_cbranch_vccnz .LBB24_1937
; %bb.1882:
	s_andn2_b64 vcc, exec, s[6:7]
	s_cbranch_vccnz .LBB24_1884
.LBB24_1883:
	v_cmp_neq_f16_e32 vcc, 0, v1
	v_cndmask_b32_e64 v3, 0, 1, vcc
	s_mov_b64 s[10:11], -1
	global_store_byte v[4:5], v3, off
.LBB24_1884:
	s_mov_b64 s[0:1], 0
.LBB24_1885:
	s_and_b64 vcc, exec, s[0:1]
	s_cbranch_vccz .LBB24_1924
; %bb.1886:
	v_cmp_lt_i16_e64 s[6:7], s16, 5
	s_mov_b64 s[0:1], -1
	s_and_b64 vcc, exec, s[6:7]
	s_cbranch_vccnz .LBB24_1907
; %bb.1887:
	v_cmp_lt_i16_e64 s[6:7], s16, 8
	s_and_b64 vcc, exec, s[6:7]
	s_cbranch_vccnz .LBB24_1897
; %bb.1888:
	v_cmp_lt_i16_e64 s[6:7], s16, 9
	s_and_b64 vcc, exec, s[6:7]
	s_cbranch_vccnz .LBB24_1894
; %bb.1889:
	v_cmp_gt_i16_e64 s[6:7], s16, 9
	s_and_b64 vcc, exec, s[6:7]
	s_cbranch_vccz .LBB24_1891
; %bb.1890:
	v_cvt_f32_f16_e32 v3, v1
	v_mov_b32_e32 v18, 0
	v_mov_b32_e32 v19, v18
	s_mov_b64 s[0:1], 0
	v_cvt_f64_f32_e32 v[16:17], v3
	global_store_dwordx4 v[4:5], v[16:19], off
.LBB24_1891:
	s_andn2_b64 vcc, exec, s[0:1]
	s_cbranch_vccnz .LBB24_1893
; %bb.1892:
	v_cvt_f32_f16_e32 v6, v1
	v_mov_b32_e32 v7, 0
	global_store_dwordx2 v[4:5], v[6:7], off
.LBB24_1893:
	s_mov_b64 s[0:1], 0
.LBB24_1894:
	s_andn2_b64 vcc, exec, s[0:1]
	s_cbranch_vccnz .LBB24_1896
; %bb.1895:
	v_and_b32_e32 v3, 0xffff, v1
	global_store_dword v[4:5], v3, off
.LBB24_1896:
	s_mov_b64 s[0:1], 0
.LBB24_1897:
	s_andn2_b64 vcc, exec, s[0:1]
	s_cbranch_vccnz .LBB24_1906
; %bb.1898:
	v_cmp_lt_i16_e64 s[6:7], s16, 6
	s_mov_b64 s[0:1], -1
	s_and_b64 vcc, exec, s[6:7]
	s_cbranch_vccnz .LBB24_1904
; %bb.1899:
	v_cmp_gt_i16_e64 s[6:7], s16, 6
	s_and_b64 vcc, exec, s[6:7]
	s_cbranch_vccz .LBB24_1901
; %bb.1900:
	v_cvt_f32_f16_e32 v3, v1
	s_mov_b64 s[0:1], 0
	v_cvt_f64_f32_e32 v[6:7], v3
	global_store_dwordx2 v[4:5], v[6:7], off
.LBB24_1901:
	s_andn2_b64 vcc, exec, s[0:1]
	s_cbranch_vccnz .LBB24_1903
; %bb.1902:
	v_cvt_f32_f16_e32 v3, v1
	global_store_dword v[4:5], v3, off
.LBB24_1903:
	s_mov_b64 s[0:1], 0
.LBB24_1904:
	s_andn2_b64 vcc, exec, s[0:1]
	s_cbranch_vccnz .LBB24_1906
; %bb.1905:
	global_store_short v[4:5], v1, off
.LBB24_1906:
	s_mov_b64 s[0:1], 0
.LBB24_1907:
	s_andn2_b64 vcc, exec, s[0:1]
	s_cbranch_vccnz .LBB24_1923
; %bb.1908:
	v_cmp_lt_i16_e64 s[6:7], s16, 2
	s_mov_b64 s[0:1], -1
	s_and_b64 vcc, exec, s[6:7]
	s_cbranch_vccnz .LBB24_1918
; %bb.1909:
	v_cmp_lt_i16_e64 s[6:7], s16, 3
	s_and_b64 vcc, exec, s[6:7]
	s_cbranch_vccnz .LBB24_1915
; %bb.1910:
	v_cmp_gt_i16_e64 s[6:7], s16, 3
	s_and_b64 vcc, exec, s[6:7]
	s_cbranch_vccz .LBB24_1912
; %bb.1911:
	v_cvt_f32_f16_e32 v3, v1
	s_mov_b64 s[0:1], 0
	v_cvt_i32_f32_e32 v6, v3
	v_ashrrev_i32_e32 v7, 31, v6
	global_store_dwordx2 v[4:5], v[6:7], off
.LBB24_1912:
	s_andn2_b64 vcc, exec, s[0:1]
	s_cbranch_vccnz .LBB24_1914
; %bb.1913:
	v_cvt_f32_f16_e32 v3, v1
	v_cvt_i32_f32_e32 v3, v3
	global_store_dword v[4:5], v3, off
.LBB24_1914:
	s_mov_b64 s[0:1], 0
.LBB24_1915:
	s_andn2_b64 vcc, exec, s[0:1]
	s_cbranch_vccnz .LBB24_1917
; %bb.1916:
	v_cvt_i16_f16_e32 v3, v1
	global_store_short v[4:5], v3, off
.LBB24_1917:
	s_mov_b64 s[0:1], 0
.LBB24_1918:
	s_andn2_b64 vcc, exec, s[0:1]
	s_cbranch_vccnz .LBB24_1923
; %bb.1919:
	v_cmp_gt_i16_e64 s[6:7], s16, 0
	s_mov_b64 s[0:1], -1
	s_and_b64 vcc, exec, s[6:7]
	s_cbranch_vccz .LBB24_1921
; %bb.1920:
	v_cvt_i16_f16_e32 v3, v1
	global_store_byte v[4:5], v3, off
	s_mov_b64 s[0:1], 0
.LBB24_1921:
	s_andn2_b64 vcc, exec, s[0:1]
	s_cbranch_vccnz .LBB24_1923
; %bb.1922:
	v_cvt_f32_f16_e32 v1, v1
	v_cvt_i32_f32_e32 v1, v1
	global_store_byte v[4:5], v1, off
.LBB24_1923:
	s_mov_b64 s[10:11], -1
.LBB24_1924:
	s_andn2_b64 vcc, exec, s[10:11]
	s_cbranch_vccnz .LBB24_2060
; %bb.1925:
	v_fma_mixlo_f16 v1, v15, v11, 0
	v_cmp_eq_f32_e32 vcc, 1.0, v15
	v_cndmask_b32_e32 v1, v1, v12, vcc
	v_mov_b32_e32 v3, s9
	v_add_co_u32_e32 v2, vcc, s8, v2
	v_addc_co_u32_e32 v3, vcc, 0, v3, vcc
	s_and_b64 vcc, exec, s[4:5]
	s_cbranch_vccnz .LBB24_1932
; %bb.1926:
	v_cmp_gt_i16_e64 s[0:1], s16, 25
	s_mov_b64 s[12:13], -1
	s_mov_b64 s[6:7], 0
	s_and_b64 vcc, exec, s[0:1]
	s_mov_b64 s[10:11], 0
	s_mov_b64 s[0:1], 0
	s_cbranch_vccz .LBB24_1968
; %bb.1927:
	v_cmp_gt_i16_e64 s[0:1], s16, 28
	s_and_b64 vcc, exec, s[0:1]
	s_cbranch_vccz .LBB24_1933
; %bb.1928:
	v_cmp_gt_i16_e64 s[0:1], s16, 43
	s_and_b64 vcc, exec, s[0:1]
	;; [unrolled: 4-line block ×3, first 2 shown]
	s_cbranch_vccz .LBB24_1940
; %bb.1930:
	v_cmp_eq_u16_e64 s[10:11], s16, 46
	s_mov_b64 s[0:1], -1
	s_mov_b64 s[12:13], 0
	s_and_b64 vcc, exec, s[10:11]
	s_mov_b64 s[10:11], 0
	s_cbranch_vccz .LBB24_1941
; %bb.1931:
	v_cvt_f32_f16_e32 v4, v1
	s_movk_i32 s0, 0x7fff
	v_mov_b32_e32 v5, 0x7fc0
	v_cmp_o_f16_e32 vcc, v1, v1
	v_bfe_u32 v6, v4, 16, 1
	v_add3_u32 v4, v4, v6, s0
	v_lshrrev_b32_e32 v4, 16, v4
	v_cndmask_b32_e32 v4, v5, v4, vcc
	global_store_dword v[2:3], v4, off
	s_mov_b64 s[0:1], 0
	s_mov_b64 s[10:11], -1
	s_branch .LBB24_1941
.LBB24_1932:
	s_mov_b64 s[0:1], -1
	s_mov_b64 s[10:11], 0
	s_branch .LBB24_2012
.LBB24_1933:
	s_mov_b64 s[0:1], 0
	s_branch .LBB24_1951
.LBB24_1934:
	s_or_saveexec_b64 s[14:15], s[14:15]
                                        ; implicit-def: $sgpr17
	s_xor_b64 exec, exec, s[14:15]
	s_cbranch_execz .LBB24_1835
.LBB24_1935:
	s_mov_b32 s17, 0x46000000
	v_add_f32_e64 v6, |v3|, s17
	v_and_b32_e32 v6, 0xff, v6
	v_cmp_ne_u32_e32 vcc, 0, v6
	s_andn2_b64 s[12:13], s[12:13], exec
	s_and_b64 s[18:19], vcc, exec
	s_mov_b32 s17, 0
	s_or_b64 s[12:13], s[12:13], s[18:19]
	s_or_b64 exec, exec, s[14:15]
	v_mov_b32_e32 v7, s17
	s_and_saveexec_b64 s[14:15], s[12:13]
	s_cbranch_execnz .LBB24_1836
	s_branch .LBB24_1837
.LBB24_1936:
	s_mov_b64 s[0:1], 0
	s_branch .LBB24_1947
.LBB24_1937:
	s_trap 2
	s_or_b64 s[2:3], s[2:3], exec
	s_cbranch_execz .LBB24_1883
	s_branch .LBB24_1884
.LBB24_1938:
	s_or_saveexec_b64 s[12:13], s[12:13]
                                        ; implicit-def: $sgpr14
	s_xor_b64 exec, exec, s[12:13]
	s_cbranch_execz .LBB24_1848
.LBB24_1939:
	s_mov_b32 s14, 0x42800000
	v_add_f32_e64 v6, |v3|, s14
	v_and_b32_e32 v6, 0xff, v6
	v_cmp_ne_u32_e32 vcc, 0, v6
	s_andn2_b64 s[10:11], s[10:11], exec
	s_and_b64 s[18:19], vcc, exec
	s_mov_b32 s14, 0
	s_or_b64 s[10:11], s[10:11], s[18:19]
	s_or_b64 exec, exec, s[12:13]
	v_mov_b32_e32 v7, s14
	s_and_saveexec_b64 s[12:13], s[10:11]
	s_cbranch_execnz .LBB24_1849
	s_branch .LBB24_1850
.LBB24_1940:
	s_mov_b64 s[0:1], 0
.LBB24_1941:
	s_and_b64 vcc, exec, s[12:13]
	s_cbranch_vccz .LBB24_1946
; %bb.1942:
	v_cmp_eq_u16_e64 s[12:13], s16, 44
	s_mov_b64 s[0:1], -1
	s_and_b64 vcc, exec, s[12:13]
	s_cbranch_vccz .LBB24_1946
; %bb.1943:
	v_cvt_f32_f16_e32 v4, v1
	s_movk_i32 s0, 0xff
	v_mov_b32_e32 v6, 0xff
	v_bfe_u32 v5, v4, 23, 8
	v_cmp_ne_u32_e32 vcc, s0, v5
	s_and_saveexec_b64 s[10:11], vcc
; %bb.1944:
	s_mov_b32 s0, 0x3fffff
	v_lshrrev_b32_e32 v6, 23, v4
	v_and_b32_e32 v7, 0x400000, v4
	v_and_or_b32 v4, v4, s0, v5
	v_cmp_ne_u32_e32 vcc, 0, v7
	v_cmp_ne_u32_e64 s[0:1], 0, v4
	s_and_b64 s[0:1], vcc, s[0:1]
	v_cndmask_b32_e64 v4, 0, 1, s[0:1]
	v_add_u32_e32 v6, v6, v4
; %bb.1945:
	s_or_b64 exec, exec, s[10:11]
	s_mov_b64 s[0:1], 0
	s_mov_b64 s[10:11], -1
	global_store_byte v[2:3], v6, off
.LBB24_1946:
	s_mov_b64 s[12:13], 0
.LBB24_1947:
	s_and_b64 vcc, exec, s[12:13]
	s_cbranch_vccz .LBB24_1950
; %bb.1948:
	v_cmp_eq_u16_e64 s[12:13], s16, 29
	s_mov_b64 s[0:1], -1
	s_and_b64 vcc, exec, s[12:13]
	s_cbranch_vccz .LBB24_1950
; %bb.1949:
	v_cvt_f32_f16_e32 v4, v1
	v_mov_b32_e32 v5, 0
	s_mov_b64 s[0:1], 0
	s_mov_b64 s[10:11], -1
	v_cvt_u32_f32_e32 v4, v4
	s_mov_b64 s[12:13], 0
	global_store_dwordx2 v[2:3], v[4:5], off
	s_branch .LBB24_1951
.LBB24_1950:
	s_mov_b64 s[12:13], 0
.LBB24_1951:
	s_and_b64 vcc, exec, s[12:13]
	s_cbranch_vccz .LBB24_1967
; %bb.1952:
	v_cmp_lt_i16_e64 s[12:13], s16, 27
	s_mov_b64 s[10:11], -1
	s_and_b64 vcc, exec, s[12:13]
	s_cbranch_vccnz .LBB24_1958
; %bb.1953:
	v_cmp_gt_i16_e64 s[12:13], s16, 27
	s_and_b64 vcc, exec, s[12:13]
	s_cbranch_vccz .LBB24_1955
; %bb.1954:
	v_cvt_f32_f16_e32 v4, v1
	s_mov_b64 s[10:11], 0
	v_cvt_u32_f32_e32 v4, v4
	global_store_dword v[2:3], v4, off
.LBB24_1955:
	s_andn2_b64 vcc, exec, s[10:11]
	s_cbranch_vccnz .LBB24_1957
; %bb.1956:
	v_cvt_u16_f16_e32 v4, v1
	global_store_short v[2:3], v4, off
.LBB24_1957:
	s_mov_b64 s[10:11], 0
.LBB24_1958:
	s_andn2_b64 vcc, exec, s[10:11]
	s_cbranch_vccnz .LBB24_1966
; %bb.1959:
	v_cvt_f32_f16_e32 v4, v1
	s_mov_b32 s10, 0x43800000
	v_mov_b32_e32 v6, 0x80
	v_and_b32_e32 v5, 0x7fffffff, v4
	v_cmp_gt_u32_e32 vcc, s10, v5
	s_and_saveexec_b64 s[10:11], vcc
	s_cbranch_execz .LBB24_1965
; %bb.1960:
	s_mov_b32 s12, 0x3bffffff
	v_cmp_lt_u32_e32 vcc, s12, v5
	s_mov_b64 s[12:13], 0
                                        ; implicit-def: $vgpr5
	s_and_saveexec_b64 s[14:15], vcc
	s_xor_b64 s[14:15], exec, s[14:15]
	s_cbranch_execz .LBB24_2107
; %bb.1961:
	v_bfe_u32 v5, v4, 20, 1
	s_mov_b32 s17, 0x487ffff
	v_add3_u32 v5, v4, v5, s17
	s_mov_b64 s[12:13], exec
	v_lshrrev_b32_e32 v5, 20, v5
	s_or_saveexec_b64 s[14:15], s[14:15]
                                        ; implicit-def: $sgpr17
	s_xor_b64 exec, exec, s[14:15]
	s_cbranch_execnz .LBB24_2108
.LBB24_1962:
	s_or_b64 exec, exec, s[14:15]
	v_mov_b32_e32 v6, s17
	s_and_saveexec_b64 s[14:15], s[12:13]
.LBB24_1963:
	v_lshrrev_b32_e32 v4, 24, v4
	s_movk_i32 s12, 0x80
	v_and_or_b32 v6, v4, s12, v5
.LBB24_1964:
	s_or_b64 exec, exec, s[14:15]
.LBB24_1965:
	s_or_b64 exec, exec, s[10:11]
	global_store_byte v[2:3], v6, off
.LBB24_1966:
	s_mov_b64 s[10:11], -1
.LBB24_1967:
	s_mov_b64 s[12:13], 0
.LBB24_1968:
	s_and_b64 vcc, exec, s[12:13]
	s_cbranch_vccz .LBB24_2008
; %bb.1969:
	v_cmp_gt_i16_e64 s[12:13], s16, 22
	s_mov_b64 s[6:7], -1
	s_and_b64 vcc, exec, s[12:13]
	s_cbranch_vccz .LBB24_2001
; %bb.1970:
	v_cmp_lt_i16_e64 s[10:11], s16, 24
	s_and_b64 vcc, exec, s[10:11]
	s_cbranch_vccnz .LBB24_1990
; %bb.1971:
	v_cmp_gt_i16_e64 s[10:11], s16, 24
	s_and_b64 vcc, exec, s[10:11]
	s_cbranch_vccz .LBB24_1979
; %bb.1972:
	v_cvt_f32_f16_e32 v4, v1
	s_mov_b32 s6, 0x47800000
	v_mov_b32_e32 v6, 0x80
	v_and_b32_e32 v5, 0x7fffffff, v4
	v_cmp_gt_u32_e32 vcc, s6, v5
	s_and_saveexec_b64 s[6:7], vcc
	s_cbranch_execz .LBB24_1978
; %bb.1973:
	s_mov_b32 s10, 0x37ffffff
	v_cmp_lt_u32_e32 vcc, s10, v5
	s_mov_b64 s[10:11], 0
                                        ; implicit-def: $vgpr5
	s_and_saveexec_b64 s[12:13], vcc
	s_xor_b64 s[12:13], exec, s[12:13]
	s_cbranch_execz .LBB24_2111
; %bb.1974:
	v_bfe_u32 v5, v4, 21, 1
	s_mov_b32 s14, 0x88fffff
	v_add3_u32 v5, v4, v5, s14
	s_mov_b64 s[10:11], exec
	v_lshrrev_b32_e32 v5, 21, v5
	s_or_saveexec_b64 s[12:13], s[12:13]
                                        ; implicit-def: $sgpr14
	s_xor_b64 exec, exec, s[12:13]
	s_cbranch_execnz .LBB24_2112
.LBB24_1975:
	s_or_b64 exec, exec, s[12:13]
	v_mov_b32_e32 v6, s14
	s_and_saveexec_b64 s[12:13], s[10:11]
.LBB24_1976:
	v_lshrrev_b32_e32 v4, 24, v4
	s_movk_i32 s10, 0x80
	v_and_or_b32 v6, v4, s10, v5
.LBB24_1977:
	s_or_b64 exec, exec, s[12:13]
.LBB24_1978:
	s_or_b64 exec, exec, s[6:7]
	s_mov_b64 s[6:7], 0
	global_store_byte v[2:3], v6, off
.LBB24_1979:
	s_and_b64 vcc, exec, s[6:7]
	s_cbranch_vccz .LBB24_1989
; %bb.1980:
	v_cvt_f32_f16_e32 v4, v1
	s_mov_b32 s6, 0x43f00000
                                        ; implicit-def: $vgpr5
	v_and_b32_e32 v6, 0x7fffffff, v4
	v_cmp_gt_u32_e32 vcc, s6, v6
	s_and_saveexec_b64 s[6:7], vcc
	s_xor_b64 s[6:7], exec, s[6:7]
	s_cbranch_execz .LBB24_1986
; %bb.1981:
	s_mov_b32 s10, 0x3c7fffff
	v_cmp_lt_u32_e32 vcc, s10, v6
                                        ; implicit-def: $vgpr5
	s_and_saveexec_b64 s[10:11], vcc
	s_xor_b64 s[10:11], exec, s[10:11]
; %bb.1982:
	v_bfe_u32 v5, v4, 20, 1
	s_mov_b32 s12, 0x407ffff
	v_add3_u32 v5, v4, v5, s12
	v_lshrrev_b32_e32 v6, 20, v5
	v_and_b32_e32 v5, 0xff00000, v5
	s_mov_b32 s12, 0x7f00000
	v_mov_b32_e32 v7, 0x7e
	v_cmp_ne_u32_e32 vcc, s12, v5
	v_cndmask_b32_e32 v5, v7, v6, vcc
; %bb.1983:
	s_andn2_saveexec_b64 s[10:11], s[10:11]
; %bb.1984:
	s_mov_b32 s12, 0x46800000
	v_add_f32_e64 v5, |v4|, s12
; %bb.1985:
	s_or_b64 exec, exec, s[10:11]
                                        ; implicit-def: $vgpr6
.LBB24_1986:
	s_andn2_saveexec_b64 s[6:7], s[6:7]
; %bb.1987:
	s_mov_b32 s10, 0x7f800000
	v_mov_b32_e32 v5, 0x7e
	v_mov_b32_e32 v7, 0x7f
	v_cmp_lt_u32_e32 vcc, s10, v6
	v_cndmask_b32_e32 v5, v5, v7, vcc
; %bb.1988:
	s_or_b64 exec, exec, s[6:7]
	v_lshrrev_b32_e32 v4, 24, v4
	s_movk_i32 s6, 0x80
	v_and_or_b32 v4, v4, s6, v5
	global_store_byte v[2:3], v4, off
.LBB24_1989:
	s_mov_b64 s[6:7], 0
.LBB24_1990:
	s_andn2_b64 vcc, exec, s[6:7]
	s_cbranch_vccnz .LBB24_2000
; %bb.1991:
	v_cvt_f32_f16_e32 v4, v1
	s_mov_b32 s6, 0x47800000
                                        ; implicit-def: $vgpr5
	v_and_b32_e32 v6, 0x7fffffff, v4
	v_cmp_gt_u32_e32 vcc, s6, v6
	s_and_saveexec_b64 s[6:7], vcc
	s_xor_b64 s[6:7], exec, s[6:7]
	s_cbranch_execz .LBB24_1997
; %bb.1992:
	s_mov_b32 s10, 0x387fffff
	v_cmp_lt_u32_e32 vcc, s10, v6
                                        ; implicit-def: $vgpr5
	s_and_saveexec_b64 s[10:11], vcc
	s_xor_b64 s[10:11], exec, s[10:11]
; %bb.1993:
	v_bfe_u32 v5, v4, 21, 1
	s_mov_b32 s12, 0x80fffff
	v_add3_u32 v5, v4, v5, s12
	v_lshrrev_b32_e32 v5, 21, v5
; %bb.1994:
	s_andn2_saveexec_b64 s[10:11], s[10:11]
; %bb.1995:
	s_mov_b32 s12, 0x43000000
	v_add_f32_e64 v5, |v4|, s12
; %bb.1996:
	s_or_b64 exec, exec, s[10:11]
                                        ; implicit-def: $vgpr6
.LBB24_1997:
	s_andn2_saveexec_b64 s[6:7], s[6:7]
; %bb.1998:
	s_mov_b32 s10, 0x7f800000
	v_mov_b32_e32 v5, 0x7c
	v_mov_b32_e32 v7, 0x7f
	v_cmp_lt_u32_e32 vcc, s10, v6
	v_cndmask_b32_e32 v5, v5, v7, vcc
; %bb.1999:
	s_or_b64 exec, exec, s[6:7]
	v_lshrrev_b32_e32 v4, 24, v4
	s_movk_i32 s6, 0x80
	v_and_or_b32 v4, v4, s6, v5
	global_store_byte v[2:3], v4, off
.LBB24_2000:
	s_mov_b64 s[6:7], 0
	s_mov_b64 s[10:11], -1
.LBB24_2001:
	s_andn2_b64 vcc, exec, s[6:7]
	s_mov_b64 s[6:7], 0
	s_cbranch_vccnz .LBB24_2008
; %bb.2002:
	v_cmp_gt_i16_e64 s[6:7], s16, 14
	s_mov_b64 s[12:13], -1
	s_and_b64 vcc, exec, s[6:7]
	s_cbranch_vccz .LBB24_2006
; %bb.2003:
	v_cmp_eq_u16_e64 s[6:7], s16, 15
	s_mov_b64 s[0:1], -1
	s_and_b64 vcc, exec, s[6:7]
	s_cbranch_vccz .LBB24_2005
; %bb.2004:
	v_cvt_f32_f16_e32 v4, v1
	s_movk_i32 s0, 0x7fff
	v_mov_b32_e32 v5, 0x7fc0
	v_cmp_o_f16_e32 vcc, v1, v1
	v_bfe_u32 v6, v4, 16, 1
	v_add3_u32 v4, v4, v6, s0
	v_lshrrev_b32_e32 v4, 16, v4
	v_cndmask_b32_e32 v4, v5, v4, vcc
	global_store_short v[2:3], v4, off
	s_mov_b64 s[0:1], 0
	s_mov_b64 s[10:11], -1
.LBB24_2005:
	s_mov_b64 s[12:13], 0
.LBB24_2006:
	s_mov_b64 s[6:7], 0
	s_and_b64 vcc, exec, s[12:13]
	s_cbranch_vccz .LBB24_2008
; %bb.2007:
	v_cmp_ne_u16_e64 s[0:1], s16, 11
	s_mov_b64 s[6:7], -1
.LBB24_2008:
	s_and_b64 vcc, exec, s[0:1]
	s_cbranch_vccnz .LBB24_2110
; %bb.2009:
	s_andn2_b64 vcc, exec, s[6:7]
	s_cbranch_vccnz .LBB24_2011
.LBB24_2010:
	v_cmp_neq_f16_e32 vcc, 0, v1
	v_cndmask_b32_e64 v4, 0, 1, vcc
	s_mov_b64 s[10:11], -1
	global_store_byte v[2:3], v4, off
.LBB24_2011:
	s_mov_b64 s[0:1], 0
.LBB24_2012:
	s_and_b64 vcc, exec, s[0:1]
	s_cbranch_vccz .LBB24_2051
; %bb.2013:
	v_cmp_lt_i16_e64 s[6:7], s16, 5
	s_mov_b64 s[0:1], -1
	s_and_b64 vcc, exec, s[6:7]
	s_cbranch_vccnz .LBB24_2034
; %bb.2014:
	v_cmp_lt_i16_e64 s[6:7], s16, 8
	s_and_b64 vcc, exec, s[6:7]
	s_cbranch_vccnz .LBB24_2024
; %bb.2015:
	v_cmp_lt_i16_e64 s[6:7], s16, 9
	s_and_b64 vcc, exec, s[6:7]
	s_cbranch_vccnz .LBB24_2021
; %bb.2016:
	v_cmp_gt_i16_e64 s[6:7], s16, 9
	s_and_b64 vcc, exec, s[6:7]
	s_cbranch_vccz .LBB24_2018
; %bb.2017:
	v_cvt_f32_f16_e32 v4, v1
	v_mov_b32_e32 v6, 0
	v_mov_b32_e32 v7, v6
	s_mov_b64 s[0:1], 0
	v_cvt_f64_f32_e32 v[4:5], v4
	global_store_dwordx4 v[2:3], v[4:7], off
.LBB24_2018:
	s_andn2_b64 vcc, exec, s[0:1]
	s_cbranch_vccnz .LBB24_2020
; %bb.2019:
	v_cvt_f32_f16_e32 v4, v1
	v_mov_b32_e32 v5, 0
	global_store_dwordx2 v[2:3], v[4:5], off
.LBB24_2020:
	s_mov_b64 s[0:1], 0
.LBB24_2021:
	s_andn2_b64 vcc, exec, s[0:1]
	s_cbranch_vccnz .LBB24_2023
; %bb.2022:
	v_and_b32_e32 v4, 0xffff, v1
	global_store_dword v[2:3], v4, off
.LBB24_2023:
	s_mov_b64 s[0:1], 0
.LBB24_2024:
	s_andn2_b64 vcc, exec, s[0:1]
	s_cbranch_vccnz .LBB24_2033
; %bb.2025:
	v_cmp_lt_i16_e64 s[6:7], s16, 6
	s_mov_b64 s[0:1], -1
	s_and_b64 vcc, exec, s[6:7]
	s_cbranch_vccnz .LBB24_2031
; %bb.2026:
	v_cmp_gt_i16_e64 s[6:7], s16, 6
	s_and_b64 vcc, exec, s[6:7]
	s_cbranch_vccz .LBB24_2028
; %bb.2027:
	v_cvt_f32_f16_e32 v4, v1
	s_mov_b64 s[0:1], 0
	v_cvt_f64_f32_e32 v[4:5], v4
	global_store_dwordx2 v[2:3], v[4:5], off
.LBB24_2028:
	s_andn2_b64 vcc, exec, s[0:1]
	s_cbranch_vccnz .LBB24_2030
; %bb.2029:
	v_cvt_f32_f16_e32 v4, v1
	global_store_dword v[2:3], v4, off
.LBB24_2030:
	s_mov_b64 s[0:1], 0
.LBB24_2031:
	s_andn2_b64 vcc, exec, s[0:1]
	s_cbranch_vccnz .LBB24_2033
; %bb.2032:
	global_store_short v[2:3], v1, off
.LBB24_2033:
	s_mov_b64 s[0:1], 0
.LBB24_2034:
	s_andn2_b64 vcc, exec, s[0:1]
	s_cbranch_vccnz .LBB24_2050
; %bb.2035:
	v_cmp_lt_i16_e64 s[6:7], s16, 2
	s_mov_b64 s[0:1], -1
	s_and_b64 vcc, exec, s[6:7]
	s_cbranch_vccnz .LBB24_2045
; %bb.2036:
	v_cmp_lt_i16_e64 s[6:7], s16, 3
	s_and_b64 vcc, exec, s[6:7]
	s_cbranch_vccnz .LBB24_2042
; %bb.2037:
	v_cmp_gt_i16_e64 s[6:7], s16, 3
	s_and_b64 vcc, exec, s[6:7]
	s_cbranch_vccz .LBB24_2039
; %bb.2038:
	v_cvt_f32_f16_e32 v4, v1
	s_mov_b64 s[0:1], 0
	v_cvt_i32_f32_e32 v4, v4
	v_ashrrev_i32_e32 v5, 31, v4
	global_store_dwordx2 v[2:3], v[4:5], off
.LBB24_2039:
	s_andn2_b64 vcc, exec, s[0:1]
	s_cbranch_vccnz .LBB24_2041
; %bb.2040:
	v_cvt_f32_f16_e32 v4, v1
	v_cvt_i32_f32_e32 v4, v4
	global_store_dword v[2:3], v4, off
.LBB24_2041:
	s_mov_b64 s[0:1], 0
.LBB24_2042:
	s_andn2_b64 vcc, exec, s[0:1]
	s_cbranch_vccnz .LBB24_2044
; %bb.2043:
	v_cvt_i16_f16_e32 v4, v1
	global_store_short v[2:3], v4, off
.LBB24_2044:
	s_mov_b64 s[0:1], 0
.LBB24_2045:
	s_andn2_b64 vcc, exec, s[0:1]
	s_cbranch_vccnz .LBB24_2050
; %bb.2046:
	v_cmp_gt_i16_e64 s[6:7], s16, 0
	s_mov_b64 s[0:1], -1
	s_and_b64 vcc, exec, s[6:7]
	s_cbranch_vccz .LBB24_2048
; %bb.2047:
	v_cvt_i16_f16_e32 v4, v1
	global_store_byte v[2:3], v4, off
	s_mov_b64 s[0:1], 0
.LBB24_2048:
	s_andn2_b64 vcc, exec, s[0:1]
	s_cbranch_vccnz .LBB24_2050
; %bb.2049:
	v_cvt_f32_f16_e32 v1, v1
	v_cvt_i32_f32_e32 v1, v1
	global_store_byte v[2:3], v1, off
.LBB24_2050:
	s_mov_b64 s[10:11], -1
.LBB24_2051:
	s_andn2_b64 vcc, exec, s[10:11]
	s_cbranch_vccnz .LBB24_2060
; %bb.2052:
	s_waitcnt vmcnt(0)
	v_fma_mixlo_f16 v1, v9, v8, 0
	v_cmp_eq_f32_e32 vcc, 1.0, v9
	v_cndmask_b32_e32 v2, v1, v10, vcc
	v_mov_b32_e32 v1, s9
	v_add_co_u32_e32 v0, vcc, s8, v0
	v_addc_co_u32_e32 v1, vcc, 0, v1, vcc
	s_and_b64 vcc, exec, s[4:5]
	s_cbranch_vccnz .LBB24_2105
; %bb.2053:
	v_cmp_gt_i16_e64 s[0:1], s16, 25
	s_mov_b64 s[6:7], -1
	s_mov_b64 s[4:5], 0
	s_and_b64 vcc, exec, s[0:1]
	s_mov_b64 s[0:1], 0
	s_cbranch_vccz .LBB24_2140
; %bb.2054:
	v_cmp_gt_i16_e64 s[0:1], s16, 28
	s_and_b64 vcc, exec, s[0:1]
	s_cbranch_vccz .LBB24_2106
; %bb.2055:
	v_cmp_gt_i16_e64 s[0:1], s16, 43
	s_and_b64 vcc, exec, s[0:1]
	;; [unrolled: 4-line block ×3, first 2 shown]
	s_cbranch_vccz .LBB24_2113
; %bb.2057:
	v_cmp_eq_u16_e64 s[6:7], s16, 46
	s_mov_b64 s[0:1], -1
	s_and_b64 vcc, exec, s[6:7]
	s_cbranch_vccz .LBB24_2059
; %bb.2058:
	v_cvt_f32_f16_e32 v3, v2
	s_movk_i32 s0, 0x7fff
	v_mov_b32_e32 v4, 0x7fc0
	v_cmp_o_f16_e32 vcc, v2, v2
	v_bfe_u32 v5, v3, 16, 1
	v_add3_u32 v3, v3, v5, s0
	v_lshrrev_b32_e32 v3, 16, v3
	v_cndmask_b32_e32 v3, v4, v3, vcc
	global_store_dword v[0:1], v3, off
	s_mov_b64 s[0:1], 0
.LBB24_2059:
	s_mov_b64 s[6:7], 0
	s_branch .LBB24_2114
.LBB24_2060:
	s_mov_b64 s[0:1], 0
	s_mov_b64 s[4:5], 0
                                        ; implicit-def: $vgpr0_vgpr1
                                        ; implicit-def: $sgpr16
                                        ; implicit-def: $vgpr2
.LBB24_2061:
	s_and_b64 s[6:7], s[4:5], exec
	s_andn2_b64 s[4:5], s[28:29], exec
	s_and_b64 s[2:3], s[2:3], exec
	s_and_b64 s[0:1], s[0:1], exec
	s_or_b64 s[28:29], s[4:5], s[2:3]
.LBB24_2062:
	s_or_b64 exec, exec, s[30:31]
	s_and_saveexec_b64 s[2:3], s[28:29]
	s_cbranch_execz .LBB24_2065
; %bb.2063:
	; divergent unreachable
	s_or_b64 exec, exec, s[2:3]
	s_and_saveexec_b64 s[2:3], s[6:7]
	s_xor_b64 s[2:3], exec, s[2:3]
	s_cbranch_execnz .LBB24_2066
.LBB24_2064:
	s_or_b64 exec, exec, s[2:3]
	s_and_saveexec_b64 s[2:3], s[0:1]
	s_cbranch_execnz .LBB24_2067
	s_branch .LBB24_2104
.LBB24_2065:
	s_or_b64 exec, exec, s[2:3]
	s_and_saveexec_b64 s[2:3], s[6:7]
	s_xor_b64 s[2:3], exec, s[2:3]
	s_cbranch_execz .LBB24_2064
.LBB24_2066:
	v_cmp_neq_f16_e32 vcc, 0, v2
	s_waitcnt vmcnt(0)
	v_cndmask_b32_e64 v3, 0, 1, vcc
	global_store_byte v[0:1], v3, off
	s_or_b64 exec, exec, s[2:3]
	s_and_saveexec_b64 s[2:3], s[0:1]
	s_cbranch_execz .LBB24_2104
.LBB24_2067:
	v_cmp_lt_i16_e64 s[2:3], s16, 5
	s_mov_b64 s[0:1], -1
	s_and_b64 vcc, exec, s[2:3]
	s_cbranch_vccnz .LBB24_2088
; %bb.2068:
	v_cmp_lt_i16_e64 s[2:3], s16, 8
	s_and_b64 vcc, exec, s[2:3]
	s_cbranch_vccnz .LBB24_2078
; %bb.2069:
	v_cmp_lt_i16_e64 s[2:3], s16, 9
	s_and_b64 vcc, exec, s[2:3]
	s_cbranch_vccnz .LBB24_2075
; %bb.2070:
	v_cmp_gt_i16_e64 s[2:3], s16, 9
	s_and_b64 vcc, exec, s[2:3]
	s_cbranch_vccz .LBB24_2072
; %bb.2071:
	s_waitcnt vmcnt(0)
	v_cvt_f32_f16_e32 v3, v2
	v_mov_b32_e32 v6, 0
	v_mov_b32_e32 v7, v6
	s_mov_b64 s[0:1], 0
	v_cvt_f64_f32_e32 v[4:5], v3
	global_store_dwordx4 v[0:1], v[4:7], off
.LBB24_2072:
	s_andn2_b64 vcc, exec, s[0:1]
	s_cbranch_vccnz .LBB24_2074
; %bb.2073:
	v_cvt_f32_f16_e32 v4, v2
	s_waitcnt vmcnt(0)
	v_mov_b32_e32 v5, 0
	global_store_dwordx2 v[0:1], v[4:5], off
.LBB24_2074:
	s_mov_b64 s[0:1], 0
.LBB24_2075:
	s_andn2_b64 vcc, exec, s[0:1]
	s_cbranch_vccnz .LBB24_2077
; %bb.2076:
	s_waitcnt vmcnt(0)
	v_and_b32_e32 v3, 0xffff, v2
	global_store_dword v[0:1], v3, off
.LBB24_2077:
	s_mov_b64 s[0:1], 0
.LBB24_2078:
	s_andn2_b64 vcc, exec, s[0:1]
	s_cbranch_vccnz .LBB24_2087
; %bb.2079:
	v_cmp_lt_i16_e64 s[2:3], s16, 6
	s_mov_b64 s[0:1], -1
	s_and_b64 vcc, exec, s[2:3]
	s_cbranch_vccnz .LBB24_2085
; %bb.2080:
	v_cmp_gt_i16_e64 s[2:3], s16, 6
	s_and_b64 vcc, exec, s[2:3]
	s_cbranch_vccz .LBB24_2082
; %bb.2081:
	s_waitcnt vmcnt(0)
	v_cvt_f32_f16_e32 v3, v2
	s_mov_b64 s[0:1], 0
	v_cvt_f64_f32_e32 v[4:5], v3
	global_store_dwordx2 v[0:1], v[4:5], off
.LBB24_2082:
	s_andn2_b64 vcc, exec, s[0:1]
	s_cbranch_vccnz .LBB24_2084
; %bb.2083:
	s_waitcnt vmcnt(0)
	v_cvt_f32_f16_e32 v3, v2
	global_store_dword v[0:1], v3, off
.LBB24_2084:
	s_mov_b64 s[0:1], 0
.LBB24_2085:
	s_andn2_b64 vcc, exec, s[0:1]
	s_cbranch_vccnz .LBB24_2087
; %bb.2086:
	s_waitcnt vmcnt(0)
	global_store_short v[0:1], v2, off
.LBB24_2087:
	s_mov_b64 s[0:1], 0
.LBB24_2088:
	s_andn2_b64 vcc, exec, s[0:1]
	s_cbranch_vccnz .LBB24_2104
; %bb.2089:
	v_cmp_lt_i16_e64 s[2:3], s16, 2
	s_mov_b64 s[0:1], -1
	s_and_b64 vcc, exec, s[2:3]
	s_cbranch_vccnz .LBB24_2099
; %bb.2090:
	v_cmp_lt_i16_e64 s[2:3], s16, 3
	s_and_b64 vcc, exec, s[2:3]
	s_cbranch_vccnz .LBB24_2096
; %bb.2091:
	v_cmp_gt_i16_e64 s[2:3], s16, 3
	s_and_b64 vcc, exec, s[2:3]
	s_cbranch_vccz .LBB24_2093
; %bb.2092:
	s_waitcnt vmcnt(0)
	v_cvt_f32_f16_e32 v3, v2
	s_mov_b64 s[0:1], 0
	v_cvt_i32_f32_e32 v4, v3
	v_ashrrev_i32_e32 v5, 31, v4
	global_store_dwordx2 v[0:1], v[4:5], off
.LBB24_2093:
	s_andn2_b64 vcc, exec, s[0:1]
	s_cbranch_vccnz .LBB24_2095
; %bb.2094:
	s_waitcnt vmcnt(0)
	v_cvt_f32_f16_e32 v3, v2
	v_cvt_i32_f32_e32 v3, v3
	global_store_dword v[0:1], v3, off
.LBB24_2095:
	s_mov_b64 s[0:1], 0
.LBB24_2096:
	s_andn2_b64 vcc, exec, s[0:1]
	s_cbranch_vccnz .LBB24_2098
; %bb.2097:
	s_waitcnt vmcnt(0)
	v_cvt_i16_f16_e32 v3, v2
	global_store_short v[0:1], v3, off
.LBB24_2098:
	s_mov_b64 s[0:1], 0
.LBB24_2099:
	s_andn2_b64 vcc, exec, s[0:1]
	s_cbranch_vccnz .LBB24_2104
; %bb.2100:
	v_cmp_gt_i16_e64 s[2:3], s16, 0
	s_mov_b64 s[0:1], -1
	s_and_b64 vcc, exec, s[2:3]
	s_cbranch_vccz .LBB24_2102
; %bb.2101:
	s_waitcnt vmcnt(0)
	v_cvt_i16_f16_e32 v3, v2
	global_store_byte v[0:1], v3, off
	s_mov_b64 s[0:1], 0
.LBB24_2102:
	s_andn2_b64 vcc, exec, s[0:1]
	s_cbranch_vccnz .LBB24_2104
; %bb.2103:
	v_cvt_f32_f16_e32 v2, v2
	v_cvt_i32_f32_e32 v2, v2
	s_waitcnt vmcnt(0)
	global_store_byte v[0:1], v2, off
	s_endpgm
.LBB24_2104:
	s_endpgm
.LBB24_2105:
	s_mov_b64 s[4:5], 0
	s_mov_b64 s[0:1], -1
	s_branch .LBB24_2061
.LBB24_2106:
	s_mov_b64 s[0:1], 0
	s_branch .LBB24_2124
.LBB24_2107:
	s_or_saveexec_b64 s[14:15], s[14:15]
                                        ; implicit-def: $sgpr17
	s_xor_b64 exec, exec, s[14:15]
	s_cbranch_execz .LBB24_1962
.LBB24_2108:
	s_mov_b32 s17, 0x46000000
	v_add_f32_e64 v5, |v4|, s17
	v_and_b32_e32 v5, 0xff, v5
	v_cmp_ne_u32_e32 vcc, 0, v5
	s_andn2_b64 s[12:13], s[12:13], exec
	s_and_b64 s[18:19], vcc, exec
	s_mov_b32 s17, 0
	s_or_b64 s[12:13], s[12:13], s[18:19]
	s_or_b64 exec, exec, s[14:15]
	v_mov_b32_e32 v6, s17
	s_and_saveexec_b64 s[14:15], s[12:13]
	s_cbranch_execnz .LBB24_1963
	s_branch .LBB24_1964
.LBB24_2109:
	s_mov_b64 s[0:1], 0
	s_branch .LBB24_2120
.LBB24_2110:
	s_trap 2
	s_or_b64 s[2:3], s[2:3], exec
	s_cbranch_execz .LBB24_2010
	s_branch .LBB24_2011
.LBB24_2111:
	s_or_saveexec_b64 s[12:13], s[12:13]
                                        ; implicit-def: $sgpr14
	s_xor_b64 exec, exec, s[12:13]
	s_cbranch_execz .LBB24_1975
.LBB24_2112:
	s_mov_b32 s14, 0x42800000
	v_add_f32_e64 v5, |v4|, s14
	v_and_b32_e32 v5, 0xff, v5
	v_cmp_ne_u32_e32 vcc, 0, v5
	s_andn2_b64 s[10:11], s[10:11], exec
	s_and_b64 s[18:19], vcc, exec
	s_mov_b32 s14, 0
	s_or_b64 s[10:11], s[10:11], s[18:19]
	s_or_b64 exec, exec, s[12:13]
	v_mov_b32_e32 v6, s14
	s_and_saveexec_b64 s[12:13], s[10:11]
	s_cbranch_execnz .LBB24_1976
	s_branch .LBB24_1977
.LBB24_2113:
	s_mov_b64 s[0:1], 0
.LBB24_2114:
	s_and_b64 vcc, exec, s[6:7]
	s_cbranch_vccz .LBB24_2119
; %bb.2115:
	v_cmp_eq_u16_e64 s[6:7], s16, 44
	s_mov_b64 s[0:1], -1
	s_and_b64 vcc, exec, s[6:7]
	s_cbranch_vccz .LBB24_2119
; %bb.2116:
	v_cvt_f32_f16_e32 v3, v2
	s_movk_i32 s0, 0xff
	v_mov_b32_e32 v5, 0xff
	v_bfe_u32 v4, v3, 23, 8
	v_cmp_ne_u32_e32 vcc, s0, v4
	s_and_saveexec_b64 s[6:7], vcc
; %bb.2117:
	s_mov_b32 s0, 0x3fffff
	v_lshrrev_b32_e32 v5, 23, v3
	v_and_b32_e32 v6, 0x400000, v3
	v_and_or_b32 v3, v3, s0, v4
	v_cmp_ne_u32_e32 vcc, 0, v6
	v_cmp_ne_u32_e64 s[0:1], 0, v3
	s_and_b64 s[0:1], vcc, s[0:1]
	v_cndmask_b32_e64 v3, 0, 1, s[0:1]
	v_add_u32_e32 v5, v5, v3
; %bb.2118:
	s_or_b64 exec, exec, s[6:7]
	s_mov_b64 s[0:1], 0
	global_store_byte v[0:1], v5, off
.LBB24_2119:
	s_mov_b64 s[6:7], 0
.LBB24_2120:
	s_and_b64 vcc, exec, s[6:7]
	s_cbranch_vccz .LBB24_2123
; %bb.2121:
	v_cmp_eq_u16_e64 s[6:7], s16, 29
	s_mov_b64 s[0:1], -1
	s_and_b64 vcc, exec, s[6:7]
	s_cbranch_vccz .LBB24_2123
; %bb.2122:
	v_cvt_f32_f16_e32 v3, v2
	v_mov_b32_e32 v5, 0
	s_mov_b64 s[0:1], 0
	v_cvt_u32_f32_e32 v4, v3
	global_store_dwordx2 v[0:1], v[4:5], off
.LBB24_2123:
	s_mov_b64 s[6:7], 0
.LBB24_2124:
	s_and_b64 vcc, exec, s[6:7]
	s_cbranch_vccz .LBB24_2139
; %bb.2125:
	v_cmp_lt_i16_e64 s[8:9], s16, 27
	s_mov_b64 s[6:7], -1
	s_and_b64 vcc, exec, s[8:9]
	s_cbranch_vccnz .LBB24_2131
; %bb.2126:
	v_cmp_gt_i16_e64 s[8:9], s16, 27
	s_and_b64 vcc, exec, s[8:9]
	s_cbranch_vccz .LBB24_2128
; %bb.2127:
	v_cvt_f32_f16_e32 v3, v2
	s_mov_b64 s[6:7], 0
	v_cvt_u32_f32_e32 v3, v3
	global_store_dword v[0:1], v3, off
.LBB24_2128:
	s_andn2_b64 vcc, exec, s[6:7]
	s_cbranch_vccnz .LBB24_2130
; %bb.2129:
	v_cvt_u16_f16_e32 v3, v2
	global_store_short v[0:1], v3, off
.LBB24_2130:
	s_mov_b64 s[6:7], 0
.LBB24_2131:
	s_andn2_b64 vcc, exec, s[6:7]
	s_cbranch_vccnz .LBB24_2139
; %bb.2132:
	v_cvt_f32_f16_e32 v3, v2
	s_mov_b32 s6, 0x43800000
	v_mov_b32_e32 v5, 0x80
	v_and_b32_e32 v4, 0x7fffffff, v3
	v_cmp_gt_u32_e32 vcc, s6, v4
	s_and_saveexec_b64 s[6:7], vcc
	s_cbranch_execz .LBB24_2138
; %bb.2133:
	s_mov_b32 s8, 0x3bffffff
	v_cmp_lt_u32_e32 vcc, s8, v4
	s_mov_b64 s[8:9], 0
                                        ; implicit-def: $vgpr4
	s_and_saveexec_b64 s[10:11], vcc
	s_xor_b64 s[10:11], exec, s[10:11]
	s_cbranch_execz .LBB24_2182
; %bb.2134:
	v_bfe_u32 v4, v3, 20, 1
	s_mov_b32 s12, 0x487ffff
	v_add3_u32 v4, v3, v4, s12
	s_mov_b64 s[8:9], exec
	v_lshrrev_b32_e32 v4, 20, v4
	s_or_saveexec_b64 s[10:11], s[10:11]
                                        ; implicit-def: $sgpr12
	s_xor_b64 exec, exec, s[10:11]
	s_cbranch_execnz .LBB24_2183
.LBB24_2135:
	s_or_b64 exec, exec, s[10:11]
	v_mov_b32_e32 v5, s12
	s_and_saveexec_b64 s[10:11], s[8:9]
.LBB24_2136:
	v_lshrrev_b32_e32 v3, 24, v3
	s_movk_i32 s8, 0x80
	v_and_or_b32 v5, v3, s8, v4
.LBB24_2137:
	s_or_b64 exec, exec, s[10:11]
.LBB24_2138:
	s_or_b64 exec, exec, s[6:7]
	global_store_byte v[0:1], v5, off
.LBB24_2139:
	s_mov_b64 s[6:7], 0
.LBB24_2140:
	s_and_b64 vcc, exec, s[6:7]
	s_cbranch_vccz .LBB24_2180
; %bb.2141:
	v_cmp_gt_i16_e64 s[6:7], s16, 22
	s_mov_b64 s[4:5], -1
	s_and_b64 vcc, exec, s[6:7]
	s_cbranch_vccz .LBB24_2173
; %bb.2142:
	v_cmp_lt_i16_e64 s[6:7], s16, 24
	s_and_b64 vcc, exec, s[6:7]
	s_cbranch_vccnz .LBB24_2162
; %bb.2143:
	v_cmp_gt_i16_e64 s[6:7], s16, 24
	s_and_b64 vcc, exec, s[6:7]
	s_cbranch_vccz .LBB24_2151
; %bb.2144:
	v_cvt_f32_f16_e32 v3, v2
	s_mov_b32 s4, 0x47800000
	v_mov_b32_e32 v5, 0x80
	v_and_b32_e32 v4, 0x7fffffff, v3
	v_cmp_gt_u32_e32 vcc, s4, v4
	s_and_saveexec_b64 s[4:5], vcc
	s_cbranch_execz .LBB24_2150
; %bb.2145:
	s_mov_b32 s6, 0x37ffffff
	v_cmp_lt_u32_e32 vcc, s6, v4
	s_mov_b64 s[6:7], 0
                                        ; implicit-def: $vgpr4
	s_and_saveexec_b64 s[8:9], vcc
	s_xor_b64 s[8:9], exec, s[8:9]
	s_cbranch_execz .LBB24_2185
; %bb.2146:
	v_bfe_u32 v4, v3, 21, 1
	s_mov_b32 s10, 0x88fffff
	v_add3_u32 v4, v3, v4, s10
	s_mov_b64 s[6:7], exec
	v_lshrrev_b32_e32 v4, 21, v4
	s_or_saveexec_b64 s[8:9], s[8:9]
                                        ; implicit-def: $sgpr10
	s_xor_b64 exec, exec, s[8:9]
	s_cbranch_execnz .LBB24_2186
.LBB24_2147:
	s_or_b64 exec, exec, s[8:9]
	v_mov_b32_e32 v5, s10
	s_and_saveexec_b64 s[8:9], s[6:7]
.LBB24_2148:
	v_lshrrev_b32_e32 v3, 24, v3
	s_movk_i32 s6, 0x80
	v_and_or_b32 v5, v3, s6, v4
.LBB24_2149:
	s_or_b64 exec, exec, s[8:9]
.LBB24_2150:
	s_or_b64 exec, exec, s[4:5]
	s_mov_b64 s[4:5], 0
	global_store_byte v[0:1], v5, off
.LBB24_2151:
	s_and_b64 vcc, exec, s[4:5]
	s_cbranch_vccz .LBB24_2161
; %bb.2152:
	v_cvt_f32_f16_e32 v3, v2
	s_mov_b32 s4, 0x43f00000
                                        ; implicit-def: $vgpr4
	v_and_b32_e32 v5, 0x7fffffff, v3
	v_cmp_gt_u32_e32 vcc, s4, v5
	s_and_saveexec_b64 s[4:5], vcc
	s_xor_b64 s[4:5], exec, s[4:5]
	s_cbranch_execz .LBB24_2158
; %bb.2153:
	s_mov_b32 s6, 0x3c7fffff
	v_cmp_lt_u32_e32 vcc, s6, v5
                                        ; implicit-def: $vgpr4
	s_and_saveexec_b64 s[6:7], vcc
	s_xor_b64 s[6:7], exec, s[6:7]
; %bb.2154:
	v_bfe_u32 v4, v3, 20, 1
	s_mov_b32 s8, 0x407ffff
	v_add3_u32 v4, v3, v4, s8
	v_lshrrev_b32_e32 v5, 20, v4
	v_and_b32_e32 v4, 0xff00000, v4
	s_mov_b32 s8, 0x7f00000
	v_mov_b32_e32 v6, 0x7e
	v_cmp_ne_u32_e32 vcc, s8, v4
	v_cndmask_b32_e32 v4, v6, v5, vcc
; %bb.2155:
	s_andn2_saveexec_b64 s[6:7], s[6:7]
; %bb.2156:
	s_mov_b32 s8, 0x46800000
	v_add_f32_e64 v4, |v3|, s8
; %bb.2157:
	s_or_b64 exec, exec, s[6:7]
                                        ; implicit-def: $vgpr5
.LBB24_2158:
	s_andn2_saveexec_b64 s[4:5], s[4:5]
; %bb.2159:
	s_mov_b32 s6, 0x7f800000
	v_mov_b32_e32 v4, 0x7e
	v_mov_b32_e32 v6, 0x7f
	v_cmp_lt_u32_e32 vcc, s6, v5
	v_cndmask_b32_e32 v4, v4, v6, vcc
; %bb.2160:
	s_or_b64 exec, exec, s[4:5]
	v_lshrrev_b32_e32 v3, 24, v3
	s_movk_i32 s4, 0x80
	v_and_or_b32 v3, v3, s4, v4
	global_store_byte v[0:1], v3, off
.LBB24_2161:
	s_mov_b64 s[4:5], 0
.LBB24_2162:
	s_andn2_b64 vcc, exec, s[4:5]
	s_cbranch_vccnz .LBB24_2172
; %bb.2163:
	v_cvt_f32_f16_e32 v3, v2
	s_mov_b32 s4, 0x47800000
                                        ; implicit-def: $vgpr4
	v_and_b32_e32 v5, 0x7fffffff, v3
	v_cmp_gt_u32_e32 vcc, s4, v5
	s_and_saveexec_b64 s[4:5], vcc
	s_xor_b64 s[4:5], exec, s[4:5]
	s_cbranch_execz .LBB24_2169
; %bb.2164:
	s_mov_b32 s6, 0x387fffff
	v_cmp_lt_u32_e32 vcc, s6, v5
                                        ; implicit-def: $vgpr4
	s_and_saveexec_b64 s[6:7], vcc
	s_xor_b64 s[6:7], exec, s[6:7]
; %bb.2165:
	v_bfe_u32 v4, v3, 21, 1
	s_mov_b32 s8, 0x80fffff
	v_add3_u32 v4, v3, v4, s8
	v_lshrrev_b32_e32 v4, 21, v4
; %bb.2166:
	s_andn2_saveexec_b64 s[6:7], s[6:7]
; %bb.2167:
	s_mov_b32 s8, 0x43000000
	v_add_f32_e64 v4, |v3|, s8
; %bb.2168:
	s_or_b64 exec, exec, s[6:7]
                                        ; implicit-def: $vgpr5
.LBB24_2169:
	s_andn2_saveexec_b64 s[4:5], s[4:5]
; %bb.2170:
	s_mov_b32 s6, 0x7f800000
	v_mov_b32_e32 v4, 0x7c
	v_mov_b32_e32 v6, 0x7f
	v_cmp_lt_u32_e32 vcc, s6, v5
	v_cndmask_b32_e32 v4, v4, v6, vcc
; %bb.2171:
	s_or_b64 exec, exec, s[4:5]
	v_lshrrev_b32_e32 v3, 24, v3
	s_movk_i32 s4, 0x80
	v_and_or_b32 v3, v3, s4, v4
	global_store_byte v[0:1], v3, off
.LBB24_2172:
	s_mov_b64 s[4:5], 0
.LBB24_2173:
	s_andn2_b64 vcc, exec, s[4:5]
	s_mov_b64 s[4:5], 0
	s_cbranch_vccnz .LBB24_2180
; %bb.2174:
	v_cmp_gt_i16_e64 s[4:5], s16, 14
	s_mov_b64 s[6:7], -1
	s_and_b64 vcc, exec, s[4:5]
	s_cbranch_vccz .LBB24_2178
; %bb.2175:
	v_cmp_eq_u16_e64 s[4:5], s16, 15
	s_mov_b64 s[0:1], -1
	s_and_b64 vcc, exec, s[4:5]
	s_cbranch_vccz .LBB24_2177
; %bb.2176:
	v_cvt_f32_f16_e32 v3, v2
	s_movk_i32 s0, 0x7fff
	v_mov_b32_e32 v4, 0x7fc0
	v_cmp_o_f16_e32 vcc, v2, v2
	v_bfe_u32 v5, v3, 16, 1
	v_add3_u32 v3, v3, v5, s0
	v_lshrrev_b32_e32 v3, 16, v3
	v_cndmask_b32_e32 v3, v4, v3, vcc
	global_store_short v[0:1], v3, off
	s_mov_b64 s[0:1], 0
.LBB24_2177:
	s_mov_b64 s[6:7], 0
.LBB24_2178:
	s_mov_b64 s[4:5], 0
	s_and_b64 vcc, exec, s[6:7]
	s_cbranch_vccz .LBB24_2180
; %bb.2179:
	v_cmp_ne_u16_e64 s[0:1], s16, 11
	s_mov_b64 s[4:5], -1
.LBB24_2180:
	s_and_b64 vcc, exec, s[0:1]
	s_cbranch_vccnz .LBB24_2184
.LBB24_2181:
	s_mov_b64 s[0:1], 0
	s_branch .LBB24_2061
.LBB24_2182:
	s_or_saveexec_b64 s[10:11], s[10:11]
                                        ; implicit-def: $sgpr12
	s_xor_b64 exec, exec, s[10:11]
	s_cbranch_execz .LBB24_2135
.LBB24_2183:
	s_mov_b32 s12, 0x46000000
	v_add_f32_e64 v4, |v3|, s12
	v_and_b32_e32 v4, 0xff, v4
	v_cmp_ne_u32_e32 vcc, 0, v4
	s_andn2_b64 s[8:9], s[8:9], exec
	s_and_b64 s[14:15], vcc, exec
	s_mov_b32 s12, 0
	s_or_b64 s[8:9], s[8:9], s[14:15]
	s_or_b64 exec, exec, s[10:11]
	v_mov_b32_e32 v5, s12
	s_and_saveexec_b64 s[10:11], s[8:9]
	s_cbranch_execnz .LBB24_2136
	s_branch .LBB24_2137
.LBB24_2184:
	s_mov_b64 s[4:5], 0
	s_or_b64 s[2:3], s[2:3], exec
	s_trap 2
	s_branch .LBB24_2181
.LBB24_2185:
	s_or_saveexec_b64 s[8:9], s[8:9]
                                        ; implicit-def: $sgpr10
	s_xor_b64 exec, exec, s[8:9]
	s_cbranch_execz .LBB24_2147
.LBB24_2186:
	s_mov_b32 s10, 0x42800000
	v_add_f32_e64 v4, |v3|, s10
	v_and_b32_e32 v4, 0xff, v4
	v_cmp_ne_u32_e32 vcc, 0, v4
	s_andn2_b64 s[6:7], s[6:7], exec
	s_and_b64 s[12:13], vcc, exec
	s_mov_b32 s10, 0
	s_or_b64 s[6:7], s[6:7], s[12:13]
	s_or_b64 exec, exec, s[8:9]
	v_mov_b32_e32 v5, s10
	s_and_saveexec_b64 s[8:9], s[6:7]
	s_cbranch_execnz .LBB24_2148
	s_branch .LBB24_2149
	.section	.rodata,"a",@progbits
	.p2align	6, 0x0
	.amdhsa_kernel _ZN2at6native32elementwise_kernel_manual_unrollILi128ELi4EZNS0_15gpu_kernel_implIZZZNS0_12_GLOBAL__N_139_amp_non_finite_check_and_unscale_cuda_ERNS_6TensorES5_RKS4_ENKUlvE_clEvENKUlvE1_clEvEUlN3c104HalfEE_EEvRNS_18TensorIteratorBaseERKT_EUlibE0_EEviT1_
		.amdhsa_group_segment_fixed_size 0
		.amdhsa_private_segment_fixed_size 0
		.amdhsa_kernarg_size 376
		.amdhsa_user_sgpr_count 6
		.amdhsa_user_sgpr_private_segment_buffer 1
		.amdhsa_user_sgpr_dispatch_ptr 0
		.amdhsa_user_sgpr_queue_ptr 0
		.amdhsa_user_sgpr_kernarg_segment_ptr 1
		.amdhsa_user_sgpr_dispatch_id 0
		.amdhsa_user_sgpr_flat_scratch_init 0
		.amdhsa_user_sgpr_kernarg_preload_length 0
		.amdhsa_user_sgpr_kernarg_preload_offset 0
		.amdhsa_user_sgpr_private_segment_size 0
		.amdhsa_uses_dynamic_stack 0
		.amdhsa_system_sgpr_private_segment_wavefront_offset 0
		.amdhsa_system_sgpr_workgroup_id_x 1
		.amdhsa_system_sgpr_workgroup_id_y 0
		.amdhsa_system_sgpr_workgroup_id_z 0
		.amdhsa_system_sgpr_workgroup_info 0
		.amdhsa_system_vgpr_workitem_id 0
		.amdhsa_next_free_vgpr 21
		.amdhsa_next_free_sgpr 81
		.amdhsa_accum_offset 24
		.amdhsa_reserve_vcc 1
		.amdhsa_reserve_flat_scratch 0
		.amdhsa_float_round_mode_32 0
		.amdhsa_float_round_mode_16_64 0
		.amdhsa_float_denorm_mode_32 3
		.amdhsa_float_denorm_mode_16_64 3
		.amdhsa_dx10_clamp 1
		.amdhsa_ieee_mode 1
		.amdhsa_fp16_overflow 0
		.amdhsa_tg_split 0
		.amdhsa_exception_fp_ieee_invalid_op 0
		.amdhsa_exception_fp_denorm_src 0
		.amdhsa_exception_fp_ieee_div_zero 0
		.amdhsa_exception_fp_ieee_overflow 0
		.amdhsa_exception_fp_ieee_underflow 0
		.amdhsa_exception_fp_ieee_inexact 0
		.amdhsa_exception_int_div_zero 0
	.end_amdhsa_kernel
	.section	.text._ZN2at6native32elementwise_kernel_manual_unrollILi128ELi4EZNS0_15gpu_kernel_implIZZZNS0_12_GLOBAL__N_139_amp_non_finite_check_and_unscale_cuda_ERNS_6TensorES5_RKS4_ENKUlvE_clEvENKUlvE1_clEvEUlN3c104HalfEE_EEvRNS_18TensorIteratorBaseERKT_EUlibE0_EEviT1_,"axG",@progbits,_ZN2at6native32elementwise_kernel_manual_unrollILi128ELi4EZNS0_15gpu_kernel_implIZZZNS0_12_GLOBAL__N_139_amp_non_finite_check_and_unscale_cuda_ERNS_6TensorES5_RKS4_ENKUlvE_clEvENKUlvE1_clEvEUlN3c104HalfEE_EEvRNS_18TensorIteratorBaseERKT_EUlibE0_EEviT1_,comdat
.Lfunc_end24:
	.size	_ZN2at6native32elementwise_kernel_manual_unrollILi128ELi4EZNS0_15gpu_kernel_implIZZZNS0_12_GLOBAL__N_139_amp_non_finite_check_and_unscale_cuda_ERNS_6TensorES5_RKS4_ENKUlvE_clEvENKUlvE1_clEvEUlN3c104HalfEE_EEvRNS_18TensorIteratorBaseERKT_EUlibE0_EEviT1_, .Lfunc_end24-_ZN2at6native32elementwise_kernel_manual_unrollILi128ELi4EZNS0_15gpu_kernel_implIZZZNS0_12_GLOBAL__N_139_amp_non_finite_check_and_unscale_cuda_ERNS_6TensorES5_RKS4_ENKUlvE_clEvENKUlvE1_clEvEUlN3c104HalfEE_EEvRNS_18TensorIteratorBaseERKT_EUlibE0_EEviT1_
                                        ; -- End function
	.section	.AMDGPU.csdata,"",@progbits
; Kernel info:
; codeLenInByte = 40924
; NumSgprs: 85
; NumVgprs: 21
; NumAgprs: 0
; TotalNumVgprs: 21
; ScratchSize: 0
; MemoryBound: 0
; FloatMode: 240
; IeeeMode: 1
; LDSByteSize: 0 bytes/workgroup (compile time only)
; SGPRBlocks: 10
; VGPRBlocks: 2
; NumSGPRsForWavesPerEU: 85
; NumVGPRsForWavesPerEU: 21
; AccumOffset: 24
; Occupancy: 8
; WaveLimiterHint : 1
; COMPUTE_PGM_RSRC2:SCRATCH_EN: 0
; COMPUTE_PGM_RSRC2:USER_SGPR: 6
; COMPUTE_PGM_RSRC2:TRAP_HANDLER: 0
; COMPUTE_PGM_RSRC2:TGID_X_EN: 1
; COMPUTE_PGM_RSRC2:TGID_Y_EN: 0
; COMPUTE_PGM_RSRC2:TGID_Z_EN: 0
; COMPUTE_PGM_RSRC2:TIDIG_COMP_CNT: 0
; COMPUTE_PGM_RSRC3_GFX90A:ACCUM_OFFSET: 5
; COMPUTE_PGM_RSRC3_GFX90A:TG_SPLIT: 0
	.section	.text._ZN2at6native12_GLOBAL__N_125multi_tensor_apply_kernelINS1_18TensorListMetadataILi1EEENS1_14UnaryOpFunctorIdLi1ELi1ELi0EEEJZZZNS0_47_amp_foreach_non_finite_check_and_unscale_cuda_EN3c108ArrayRefINS_6TensorEEERS9_RKS9_ENKUlvE_clEvENKUlvE_clEvEUldE_EEEvT_T0_DpT1_,"axG",@progbits,_ZN2at6native12_GLOBAL__N_125multi_tensor_apply_kernelINS1_18TensorListMetadataILi1EEENS1_14UnaryOpFunctorIdLi1ELi1ELi0EEEJZZZNS0_47_amp_foreach_non_finite_check_and_unscale_cuda_EN3c108ArrayRefINS_6TensorEEERS9_RKS9_ENKUlvE_clEvENKUlvE_clEvEUldE_EEEvT_T0_DpT1_,comdat
	.globl	_ZN2at6native12_GLOBAL__N_125multi_tensor_apply_kernelINS1_18TensorListMetadataILi1EEENS1_14UnaryOpFunctorIdLi1ELi1ELi0EEEJZZZNS0_47_amp_foreach_non_finite_check_and_unscale_cuda_EN3c108ArrayRefINS_6TensorEEERS9_RKS9_ENKUlvE_clEvENKUlvE_clEvEUldE_EEEvT_T0_DpT1_ ; -- Begin function _ZN2at6native12_GLOBAL__N_125multi_tensor_apply_kernelINS1_18TensorListMetadataILi1EEENS1_14UnaryOpFunctorIdLi1ELi1ELi0EEEJZZZNS0_47_amp_foreach_non_finite_check_and_unscale_cuda_EN3c108ArrayRefINS_6TensorEEERS9_RKS9_ENKUlvE_clEvENKUlvE_clEvEUldE_EEEvT_T0_DpT1_
	.p2align	8
	.type	_ZN2at6native12_GLOBAL__N_125multi_tensor_apply_kernelINS1_18TensorListMetadataILi1EEENS1_14UnaryOpFunctorIdLi1ELi1ELi0EEEJZZZNS0_47_amp_foreach_non_finite_check_and_unscale_cuda_EN3c108ArrayRefINS_6TensorEEERS9_RKS9_ENKUlvE_clEvENKUlvE_clEvEUldE_EEEvT_T0_DpT1_,@function
_ZN2at6native12_GLOBAL__N_125multi_tensor_apply_kernelINS1_18TensorListMetadataILi1EEENS1_14UnaryOpFunctorIdLi1ELi1ELi0EEEJZZZNS0_47_amp_foreach_non_finite_check_and_unscale_cuda_EN3c108ArrayRefINS_6TensorEEERS9_RKS9_ENKUlvE_clEvENKUlvE_clEvEUldE_EEEvT_T0_DpT1_: ; @_ZN2at6native12_GLOBAL__N_125multi_tensor_apply_kernelINS1_18TensorListMetadataILi1EEENS1_14UnaryOpFunctorIdLi1ELi1ELi0EEEJZZZNS0_47_amp_foreach_non_finite_check_and_unscale_cuda_EN3c108ArrayRefINS_6TensorEEERS9_RKS9_ENKUlvE_clEvENKUlvE_clEvEUldE_EEEvT_T0_DpT1_
; %bb.0:
	v_mov_b32_e32 v1, s6
	global_load_ubyte v1, v1, s[4:5] offset:1760
	s_add_u32 s0, s4, s6
	s_mul_hi_u32 s1, s6, 3
	s_mul_i32 s6, s6, 3
	s_addc_u32 s2, s5, 0
	s_add_u32 s0, s0, s6
	s_addc_u32 s1, s2, s1
	s_load_dword s0, s[0:1], 0x820
	s_mov_b32 s7, 0
	s_load_dwordx4 s[12:15], s[4:5], 0xd30
	s_waitcnt vmcnt(0)
	v_readfirstlane_b32 s1, v1
	s_lshl_b32 s1, s1, 3
	s_load_dwordx2 s[2:3], s[4:5], s1 offset:0x370
	s_load_dwordx2 s[16:17], s[4:5], s1 offset:0x0
	s_waitcnt lgkmcnt(0)
	s_ashr_i32 s1, s0, 31
	s_lshl_b64 s[18:19], s[0:1], 19
	s_lshl_b64 s[0:1], s[0:1], 16
	s_and_b32 s6, s16, 31
	s_sub_u32 s10, s2, s0
	s_subb_u32 s11, s3, s1
	s_and_b32 s0, s2, 3
	s_mov_b32 s1, s7
	s_or_b64 s[0:1], s[6:7], s[0:1]
	s_cmp_eq_u64 s[0:1], 0
	s_cbranch_scc1 .LBB25_29
; %bb.1:
	v_cmp_lt_i64_e64 s[0:1], s[10:11], 1
	s_and_b64 vcc, exec, s[0:1]
	s_cbranch_vccnz .LBB25_28
; %bb.2:
	s_load_dword s0, s[4:5], 0xd4c
	v_mov_b32_e32 v2, 0x10000
	v_mov_b32_e32 v3, 0
	v_cmp_lt_u64_e32 vcc, s[10:11], v[2:3]
	v_lshlrev_b32_e32 v2, 3, v0
	s_waitcnt lgkmcnt(0)
	s_and_b32 s2, s0, 0xffff
	s_and_b64 s[0:1], vcc, exec
	s_cselect_b32 s21, s11, 0
	s_cselect_b32 s20, s10, 0x10000
	s_lshl_b32 s3, s2, 1
	s_lshl_b32 s27, s2, 2
	s_add_u32 s6, s16, s18
	s_addc_u32 s7, s17, s19
	v_mov_b32_e32 v3, s7
	v_add_co_u32_e32 v2, vcc, s6, v2
	s_mul_i32 s0, s2, 3
	v_addc_co_u32_e32 v3, vcc, 0, v3, vcc
	v_add_co_u32_e32 v22, vcc, s0, v0
	v_addc_co_u32_e64 v23, s[0:1], 0, 0, vcc
	v_add_co_u32_e32 v24, vcc, s3, v0
	v_addc_co_u32_e64 v25, s[0:1], 0, 0, vcc
	v_add_co_u32_e32 v26, vcc, s2, v0
	v_lshlrev_b32_e32 v4, 3, v26
	s_mov_b32 s26, 0
	v_addc_co_u32_e64 v27, s[0:1], 0, 0, vcc
	v_mov_b32_e32 v5, s7
	v_add_co_u32_e32 v4, vcc, s6, v4
	v_mov_b32_e32 v1, 0
	s_lshl_b32 s28, s2, 5
	s_mul_i32 s29, s2, 24
	s_mov_b32 s30, s26
	s_lshl_b32 s31, s2, 4
	s_mov_b32 s33, s26
	v_addc_co_u32_e32 v5, vcc, 0, v5, vcc
	s_mov_b64 s[22:23], 0
	s_mov_b32 s34, 0x7f800000
	v_mov_b32_e32 v28, 1.0
	s_branch .LBB25_4
.LBB25_3:                               ;   in Loop: Header=BB25_4 Depth=1
	s_or_b64 exec, exec, s[0:1]
	s_add_u32 s22, s22, s27
	s_addc_u32 s23, s23, 0
	v_pk_mov_b32 v[6:7], s[10:11], s[10:11] op_sel:[0,1]
	v_cmp_ge_i64_e32 vcc, s[22:23], v[6:7]
	v_mov_b32_e32 v6, 0xffff
	v_mov_b32_e32 v7, 0
	v_cmp_gt_u64_e64 s[0:1], s[22:23], v[6:7]
	s_or_b64 s[0:1], vcc, s[0:1]
	v_mov_b32_e32 v6, s26
	v_add_co_u32_e32 v2, vcc, s28, v2
	v_addc_co_u32_e32 v3, vcc, v3, v6, vcc
	v_add_co_u32_e32 v4, vcc, s28, v4
	v_addc_co_u32_e32 v5, vcc, v5, v6, vcc
	s_and_b64 vcc, exec, s[0:1]
	s_cbranch_vccnz .LBB25_28
.LBB25_4:                               ; =>This Inner Loop Header: Depth=1
	v_mov_b32_e32 v7, s23
	v_add_co_u32_e32 v6, vcc, s22, v0
	v_addc_co_u32_e32 v7, vcc, 0, v7, vcc
	v_cmp_gt_u64_e32 vcc, s[20:21], v[6:7]
	v_pk_mov_b32 v[6:7], 0, 0
	v_pk_mov_b32 v[10:11], v[6:7], v[6:7] op_sel:[0,1]
	s_and_saveexec_b64 s[0:1], vcc
	s_cbranch_execz .LBB25_6
; %bb.5:                                ;   in Loop: Header=BB25_4 Depth=1
	global_load_dwordx2 v[10:11], v[2:3], off
.LBB25_6:                               ;   in Loop: Header=BB25_4 Depth=1
	s_or_b64 exec, exec, s[0:1]
	v_mov_b32_e32 v9, s23
	v_add_co_u32_e64 v8, s[0:1], s22, v26
	v_addc_co_u32_e64 v9, s[0:1], v27, v9, s[0:1]
	v_cmp_gt_u64_e64 s[0:1], s[20:21], v[8:9]
	s_and_saveexec_b64 s[2:3], s[0:1]
	s_cbranch_execz .LBB25_8
; %bb.7:                                ;   in Loop: Header=BB25_4 Depth=1
	global_load_dwordx2 v[6:7], v[4:5], off
.LBB25_8:                               ;   in Loop: Header=BB25_4 Depth=1
	s_or_b64 exec, exec, s[2:3]
	v_mov_b32_e32 v9, s23
	v_add_co_u32_e64 v8, s[2:3], s22, v24
	v_addc_co_u32_e64 v9, s[2:3], v25, v9, s[2:3]
	v_cmp_gt_u64_e64 s[2:3], s[20:21], v[8:9]
	v_pk_mov_b32 v[8:9], 0, 0
	v_pk_mov_b32 v[12:13], v[8:9], v[8:9] op_sel:[0,1]
	s_and_saveexec_b64 s[8:9], s[2:3]
	s_cbranch_execz .LBB25_10
; %bb.9:                                ;   in Loop: Header=BB25_4 Depth=1
	v_mov_b32_e32 v13, s33
	v_add_co_u32_e64 v12, s[6:7], s31, v2
	v_addc_co_u32_e64 v13, s[6:7], v3, v13, s[6:7]
	global_load_dwordx2 v[12:13], v[12:13], off
.LBB25_10:                              ;   in Loop: Header=BB25_4 Depth=1
	s_or_b64 exec, exec, s[8:9]
	v_mov_b32_e32 v15, s23
	v_add_co_u32_e64 v14, s[6:7], s22, v22
	v_addc_co_u32_e64 v15, s[6:7], v23, v15, s[6:7]
	v_cmp_gt_u64_e64 s[6:7], s[20:21], v[14:15]
	s_and_saveexec_b64 s[24:25], s[6:7]
	s_cbranch_execz .LBB25_12
; %bb.11:                               ;   in Loop: Header=BB25_4 Depth=1
	v_mov_b32_e32 v9, s30
	v_add_co_u32_e64 v8, s[8:9], s29, v2
	v_addc_co_u32_e64 v9, s[8:9], v3, v9, s[8:9]
	global_load_dwordx2 v[8:9], v[8:9], off
.LBB25_12:                              ;   in Loop: Header=BB25_4 Depth=1
	s_or_b64 exec, exec, s[24:25]
	s_waitcnt vmcnt(0)
	v_cvt_f32_f64_e32 v14, v[10:11]
	v_cmp_nlg_f32_e64 s[24:25], |v14|, s34
	s_and_saveexec_b64 s[8:9], s[24:25]
	s_cbranch_execz .LBB25_14
; %bb.13:                               ;   in Loop: Header=BB25_4 Depth=1
	global_store_dword v1, v28, s[12:13]
.LBB25_14:                              ;   in Loop: Header=BB25_4 Depth=1
	s_or_b64 exec, exec, s[8:9]
	global_load_dword v32, v1, s[14:15]
	v_cvt_f32_f64_e32 v14, v[6:7]
	v_cmp_nlg_f32_e64 s[24:25], |v14|, s34
	s_waitcnt vmcnt(0)
	v_cvt_f64_f32_e32 v[20:21], v32
	v_pk_mov_b32 v[14:15], v[20:21], v[20:21] op_sel:[0,1]
	v_mov_b32_e32 v29, v32
	s_and_saveexec_b64 s[8:9], s[24:25]
	s_cbranch_execz .LBB25_16
; %bb.15:                               ;   in Loop: Header=BB25_4 Depth=1
	global_store_dword v1, v28, s[12:13]
	global_load_dword v29, v1, s[14:15]
	s_waitcnt vmcnt(0)
	v_cvt_f64_f32_e32 v[14:15], v29
.LBB25_16:                              ;   in Loop: Header=BB25_4 Depth=1
	s_or_b64 exec, exec, s[8:9]
	v_cvt_f32_f64_e32 v16, v[12:13]
	v_cmp_nlg_f32_e64 s[24:25], |v16|, s34
	v_pk_mov_b32 v[18:19], v[14:15], v[14:15] op_sel:[0,1]
	v_mov_b32_e32 v31, v29
	s_and_saveexec_b64 s[8:9], s[24:25]
	s_cbranch_execz .LBB25_18
; %bb.17:                               ;   in Loop: Header=BB25_4 Depth=1
	global_store_dword v1, v28, s[12:13]
	global_load_dword v31, v1, s[14:15]
	s_waitcnt vmcnt(0)
	v_cvt_f64_f32_e32 v[18:19], v31
.LBB25_18:                              ;   in Loop: Header=BB25_4 Depth=1
	s_or_b64 exec, exec, s[8:9]
	v_cvt_f32_f64_e32 v16, v[8:9]
	v_cmp_nlg_f32_e64 s[24:25], |v16|, s34
	v_pk_mov_b32 v[16:17], v[18:19], v[18:19] op_sel:[0,1]
	v_mov_b32_e32 v30, v31
	s_and_saveexec_b64 s[8:9], s[24:25]
	s_cbranch_execnz .LBB25_23
; %bb.19:                               ;   in Loop: Header=BB25_4 Depth=1
	s_or_b64 exec, exec, s[8:9]
	s_and_saveexec_b64 s[8:9], vcc
	s_xor_b64 s[8:9], exec, s[8:9]
	s_cbranch_execnz .LBB25_24
.LBB25_20:                              ;   in Loop: Header=BB25_4 Depth=1
	s_or_b64 exec, exec, s[8:9]
	s_and_saveexec_b64 s[8:9], s[0:1]
	s_cbranch_execnz .LBB25_25
.LBB25_21:                              ;   in Loop: Header=BB25_4 Depth=1
	s_or_b64 exec, exec, s[8:9]
	s_and_saveexec_b64 s[0:1], s[2:3]
	s_cbranch_execnz .LBB25_26
.LBB25_22:                              ;   in Loop: Header=BB25_4 Depth=1
	s_or_b64 exec, exec, s[0:1]
	s_and_saveexec_b64 s[0:1], s[6:7]
	s_cbranch_execz .LBB25_3
	s_branch .LBB25_27
.LBB25_23:                              ;   in Loop: Header=BB25_4 Depth=1
	global_store_dword v1, v28, s[12:13]
	global_load_dword v30, v1, s[14:15]
	s_waitcnt vmcnt(0)
	v_cvt_f64_f32_e32 v[16:17], v30
	s_or_b64 exec, exec, s[8:9]
	s_and_saveexec_b64 s[8:9], vcc
	s_xor_b64 s[8:9], exec, s[8:9]
	s_cbranch_execz .LBB25_20
.LBB25_24:                              ;   in Loop: Header=BB25_4 Depth=1
	v_mul_f64 v[20:21], v[10:11], v[20:21]
	v_cmp_eq_f32_e32 vcc, 1.0, v32
	v_cndmask_b32_e32 v11, v21, v11, vcc
	v_cndmask_b32_e32 v10, v20, v10, vcc
	global_store_dwordx2 v[2:3], v[10:11], off
	s_or_b64 exec, exec, s[8:9]
	s_and_saveexec_b64 s[8:9], s[0:1]
	s_cbranch_execz .LBB25_21
.LBB25_25:                              ;   in Loop: Header=BB25_4 Depth=1
	v_mul_f64 v[10:11], v[6:7], v[14:15]
	v_cmp_eq_f32_e32 vcc, 1.0, v29
	v_cndmask_b32_e32 v7, v11, v7, vcc
	v_cndmask_b32_e32 v6, v10, v6, vcc
	global_store_dwordx2 v[4:5], v[6:7], off
	s_or_b64 exec, exec, s[8:9]
	s_and_saveexec_b64 s[0:1], s[2:3]
	s_cbranch_execz .LBB25_22
.LBB25_26:                              ;   in Loop: Header=BB25_4 Depth=1
	v_mul_f64 v[6:7], v[12:13], v[18:19]
	v_cmp_eq_f32_e32 vcc, 1.0, v31
	v_cndmask_b32_e32 v7, v7, v13, vcc
	v_cndmask_b32_e32 v6, v6, v12, vcc
	v_mov_b32_e32 v11, s33
	v_add_co_u32_e32 v10, vcc, s31, v2
	v_addc_co_u32_e32 v11, vcc, v3, v11, vcc
	global_store_dwordx2 v[10:11], v[6:7], off
	s_or_b64 exec, exec, s[0:1]
	s_and_saveexec_b64 s[0:1], s[6:7]
	s_cbranch_execz .LBB25_3
.LBB25_27:                              ;   in Loop: Header=BB25_4 Depth=1
	v_mul_f64 v[6:7], v[8:9], v[16:17]
	v_cmp_eq_f32_e32 vcc, 1.0, v30
	v_cndmask_b32_e32 v7, v7, v9, vcc
	v_cndmask_b32_e32 v6, v6, v8, vcc
	v_mov_b32_e32 v9, s30
	v_add_co_u32_e32 v8, vcc, s29, v2
	v_addc_co_u32_e32 v9, vcc, v3, v9, vcc
	global_store_dwordx2 v[8:9], v[6:7], off
	s_branch .LBB25_3
.LBB25_28:
	s_cbranch_execz .LBB25_30
	s_branch .LBB25_41
.LBB25_29:
.LBB25_30:
	v_mov_b32_e32 v9, 0
	v_lshlrev_b32_e32 v8, 2, v0
	s_mov_b32 s0, 0
	v_cmp_gt_i64_e32 vcc, s[10:11], v[8:9]
	s_and_saveexec_b64 s[2:3], vcc
	s_cbranch_execz .LBB25_41
; %bb.31:
	s_load_dword s1, s[4:5], 0xd4c
	v_lshlrev_b32_e32 v1, 5, v0
	s_mov_b32 s8, 0x7f800000
	v_mov_b32_e32 v22, 1.0
	s_mov_b64 s[4:5], 0xffff
	s_waitcnt lgkmcnt(0)
	s_and_b32 s1, s1, 0xffff
	s_lshl_b32 s6, s1, 2
	s_add_u32 s2, s16, s18
	s_addc_u32 s3, s17, s19
	v_add_lshl_u32 v8, v0, s1, 2
	v_mov_b32_e32 v0, s3
	v_add_co_u32_e32 v1, vcc, s2, v1
	v_addc_co_u32_e32 v0, vcc, 0, v0, vcc
	v_add_co_u32_e32 v10, vcc, 16, v1
	v_addc_co_u32_e32 v11, vcc, 0, v0, vcc
	s_lshl_b32 s7, s1, 5
	s_mov_b64 s[2:3], 0
	v_mov_b32_e32 v23, s0
	v_mov_b32_e32 v24, s0
	v_pk_mov_b32 v[12:13], v[8:9], v[8:9] op_sel:[0,1]
	s_branch .LBB25_33
.LBB25_32:                              ;   in Loop: Header=BB25_33 Depth=1
	s_or_b64 exec, exec, s[0:1]
	v_mul_f64 v[18:19], v[0:1], v[18:19]
	v_cmp_eq_f32_e32 vcc, 1.0, v26
	v_cndmask_b32_e32 v1, v19, v1, vcc
	v_cndmask_b32_e32 v0, v18, v0, vcc
	v_mul_f64 v[16:17], v[6:7], v[16:17]
	v_cmp_eq_f32_e32 vcc, 1.0, v25
	v_cndmask_b32_e32 v7, v17, v7, vcc
	v_cndmask_b32_e32 v6, v16, v6, vcc
	;; [unrolled: 4-line block ×4, first 2 shown]
	v_cmp_le_i64_e32 vcc, s[10:11], v[12:13]
	v_cmp_lt_u64_e64 s[0:1], s[4:5], v[12:13]
	s_or_b64 s[0:1], vcc, s[0:1]
	v_add_co_u32_e32 v12, vcc, s6, v12
	v_addc_co_u32_e32 v13, vcc, v13, v23, vcc
	global_store_dwordx4 v[10:11], v[4:7], off offset:-16
	global_store_dwordx4 v[10:11], v[0:3], off
	s_and_b64 s[0:1], exec, s[0:1]
	v_add_co_u32_e32 v10, vcc, s7, v10
	s_or_b64 s[2:3], s[0:1], s[2:3]
	v_addc_co_u32_e32 v11, vcc, v11, v24, vcc
	s_andn2_b64 exec, exec, s[2:3]
	s_cbranch_execz .LBB25_41
.LBB25_33:                              ; =>This Inner Loop Header: Depth=1
	global_load_dwordx4 v[4:7], v[10:11], off offset:-16
	global_load_dwordx4 v[0:3], v[10:11], off
	s_waitcnt vmcnt(1)
	v_cvt_f32_f64_e32 v8, v[4:5]
	v_cmp_nlg_f32_e64 s[16:17], |v8|, s8
	s_and_saveexec_b64 s[0:1], s[16:17]
	s_cbranch_execz .LBB25_35
; %bb.34:                               ;   in Loop: Header=BB25_33 Depth=1
	global_store_dword v9, v22, s[12:13]
.LBB25_35:                              ;   in Loop: Header=BB25_33 Depth=1
	s_or_b64 exec, exec, s[0:1]
	global_load_dword v8, v9, s[14:15]
	v_cvt_f32_f64_e32 v14, v[6:7]
	v_cmp_nlg_f32_e64 s[16:17], |v14|, s8
	s_waitcnt vmcnt(0)
	v_cvt_f64_f32_e32 v[14:15], v8
	v_pk_mov_b32 v[16:17], v[14:15], v[14:15] op_sel:[0,1]
	v_mov_b32_e32 v25, v8
	s_and_saveexec_b64 s[0:1], s[16:17]
	s_cbranch_execz .LBB25_37
; %bb.36:                               ;   in Loop: Header=BB25_33 Depth=1
	global_store_dword v9, v22, s[12:13]
	global_load_dword v25, v9, s[14:15]
	s_waitcnt vmcnt(0)
	v_cvt_f64_f32_e32 v[16:17], v25
.LBB25_37:                              ;   in Loop: Header=BB25_33 Depth=1
	s_or_b64 exec, exec, s[0:1]
	v_cvt_f32_f64_e32 v18, v[0:1]
	v_cmp_nlg_f32_e64 s[16:17], |v18|, s8
	v_pk_mov_b32 v[18:19], v[16:17], v[16:17] op_sel:[0,1]
	v_mov_b32_e32 v26, v25
	s_and_saveexec_b64 s[0:1], s[16:17]
	s_cbranch_execz .LBB25_39
; %bb.38:                               ;   in Loop: Header=BB25_33 Depth=1
	global_store_dword v9, v22, s[12:13]
	global_load_dword v26, v9, s[14:15]
	s_waitcnt vmcnt(0)
	v_cvt_f64_f32_e32 v[18:19], v26
.LBB25_39:                              ;   in Loop: Header=BB25_33 Depth=1
	s_or_b64 exec, exec, s[0:1]
	v_cvt_f32_f64_e32 v20, v[2:3]
	v_cmp_nlg_f32_e64 s[16:17], |v20|, s8
	v_pk_mov_b32 v[20:21], v[18:19], v[18:19] op_sel:[0,1]
	v_mov_b32_e32 v27, v26
	s_and_saveexec_b64 s[0:1], s[16:17]
	s_cbranch_execz .LBB25_32
; %bb.40:                               ;   in Loop: Header=BB25_33 Depth=1
	global_store_dword v9, v22, s[12:13]
	global_load_dword v27, v9, s[14:15]
	s_waitcnt vmcnt(0)
	v_cvt_f64_f32_e32 v[20:21], v27
	s_branch .LBB25_32
.LBB25_41:
	s_endpgm
	.section	.rodata,"a",@progbits
	.p2align	6, 0x0
	.amdhsa_kernel _ZN2at6native12_GLOBAL__N_125multi_tensor_apply_kernelINS1_18TensorListMetadataILi1EEENS1_14UnaryOpFunctorIdLi1ELi1ELi0EEEJZZZNS0_47_amp_foreach_non_finite_check_and_unscale_cuda_EN3c108ArrayRefINS_6TensorEEERS9_RKS9_ENKUlvE_clEvENKUlvE_clEvEUldE_EEEvT_T0_DpT1_
		.amdhsa_group_segment_fixed_size 0
		.amdhsa_private_segment_fixed_size 0
		.amdhsa_kernarg_size 3648
		.amdhsa_user_sgpr_count 6
		.amdhsa_user_sgpr_private_segment_buffer 1
		.amdhsa_user_sgpr_dispatch_ptr 0
		.amdhsa_user_sgpr_queue_ptr 0
		.amdhsa_user_sgpr_kernarg_segment_ptr 1
		.amdhsa_user_sgpr_dispatch_id 0
		.amdhsa_user_sgpr_flat_scratch_init 0
		.amdhsa_user_sgpr_kernarg_preload_length 0
		.amdhsa_user_sgpr_kernarg_preload_offset 0
		.amdhsa_user_sgpr_private_segment_size 0
		.amdhsa_uses_dynamic_stack 0
		.amdhsa_system_sgpr_private_segment_wavefront_offset 0
		.amdhsa_system_sgpr_workgroup_id_x 1
		.amdhsa_system_sgpr_workgroup_id_y 0
		.amdhsa_system_sgpr_workgroup_id_z 0
		.amdhsa_system_sgpr_workgroup_info 0
		.amdhsa_system_vgpr_workitem_id 0
		.amdhsa_next_free_vgpr 33
		.amdhsa_next_free_sgpr 35
		.amdhsa_accum_offset 36
		.amdhsa_reserve_vcc 1
		.amdhsa_reserve_flat_scratch 0
		.amdhsa_float_round_mode_32 0
		.amdhsa_float_round_mode_16_64 0
		.amdhsa_float_denorm_mode_32 3
		.amdhsa_float_denorm_mode_16_64 3
		.amdhsa_dx10_clamp 1
		.amdhsa_ieee_mode 1
		.amdhsa_fp16_overflow 0
		.amdhsa_tg_split 0
		.amdhsa_exception_fp_ieee_invalid_op 0
		.amdhsa_exception_fp_denorm_src 0
		.amdhsa_exception_fp_ieee_div_zero 0
		.amdhsa_exception_fp_ieee_overflow 0
		.amdhsa_exception_fp_ieee_underflow 0
		.amdhsa_exception_fp_ieee_inexact 0
		.amdhsa_exception_int_div_zero 0
	.end_amdhsa_kernel
	.section	.text._ZN2at6native12_GLOBAL__N_125multi_tensor_apply_kernelINS1_18TensorListMetadataILi1EEENS1_14UnaryOpFunctorIdLi1ELi1ELi0EEEJZZZNS0_47_amp_foreach_non_finite_check_and_unscale_cuda_EN3c108ArrayRefINS_6TensorEEERS9_RKS9_ENKUlvE_clEvENKUlvE_clEvEUldE_EEEvT_T0_DpT1_,"axG",@progbits,_ZN2at6native12_GLOBAL__N_125multi_tensor_apply_kernelINS1_18TensorListMetadataILi1EEENS1_14UnaryOpFunctorIdLi1ELi1ELi0EEEJZZZNS0_47_amp_foreach_non_finite_check_and_unscale_cuda_EN3c108ArrayRefINS_6TensorEEERS9_RKS9_ENKUlvE_clEvENKUlvE_clEvEUldE_EEEvT_T0_DpT1_,comdat
.Lfunc_end25:
	.size	_ZN2at6native12_GLOBAL__N_125multi_tensor_apply_kernelINS1_18TensorListMetadataILi1EEENS1_14UnaryOpFunctorIdLi1ELi1ELi0EEEJZZZNS0_47_amp_foreach_non_finite_check_and_unscale_cuda_EN3c108ArrayRefINS_6TensorEEERS9_RKS9_ENKUlvE_clEvENKUlvE_clEvEUldE_EEEvT_T0_DpT1_, .Lfunc_end25-_ZN2at6native12_GLOBAL__N_125multi_tensor_apply_kernelINS1_18TensorListMetadataILi1EEENS1_14UnaryOpFunctorIdLi1ELi1ELi0EEEJZZZNS0_47_amp_foreach_non_finite_check_and_unscale_cuda_EN3c108ArrayRefINS_6TensorEEERS9_RKS9_ENKUlvE_clEvENKUlvE_clEvEUldE_EEEvT_T0_DpT1_
                                        ; -- End function
	.section	.AMDGPU.csdata,"",@progbits
; Kernel info:
; codeLenInByte = 1684
; NumSgprs: 39
; NumVgprs: 33
; NumAgprs: 0
; TotalNumVgprs: 33
; ScratchSize: 0
; MemoryBound: 1
; FloatMode: 240
; IeeeMode: 1
; LDSByteSize: 0 bytes/workgroup (compile time only)
; SGPRBlocks: 4
; VGPRBlocks: 4
; NumSGPRsForWavesPerEU: 39
; NumVGPRsForWavesPerEU: 33
; AccumOffset: 36
; Occupancy: 8
; WaveLimiterHint : 0
; COMPUTE_PGM_RSRC2:SCRATCH_EN: 0
; COMPUTE_PGM_RSRC2:USER_SGPR: 6
; COMPUTE_PGM_RSRC2:TRAP_HANDLER: 0
; COMPUTE_PGM_RSRC2:TGID_X_EN: 1
; COMPUTE_PGM_RSRC2:TGID_Y_EN: 0
; COMPUTE_PGM_RSRC2:TGID_Z_EN: 0
; COMPUTE_PGM_RSRC2:TIDIG_COMP_CNT: 0
; COMPUTE_PGM_RSRC3_GFX90A:ACCUM_OFFSET: 8
; COMPUTE_PGM_RSRC3_GFX90A:TG_SPLIT: 0
	.section	.text._ZN2at6native12_GLOBAL__N_125multi_tensor_apply_kernelINS1_18TensorListMetadataILi1EEENS1_14UnaryOpFunctorIfLi1ELi1ELi0EEEJZZZNS0_47_amp_foreach_non_finite_check_and_unscale_cuda_EN3c108ArrayRefINS_6TensorEEERS9_RKS9_ENKUlvE_clEvENKUlvE0_clEvEUlfE_EEEvT_T0_DpT1_,"axG",@progbits,_ZN2at6native12_GLOBAL__N_125multi_tensor_apply_kernelINS1_18TensorListMetadataILi1EEENS1_14UnaryOpFunctorIfLi1ELi1ELi0EEEJZZZNS0_47_amp_foreach_non_finite_check_and_unscale_cuda_EN3c108ArrayRefINS_6TensorEEERS9_RKS9_ENKUlvE_clEvENKUlvE0_clEvEUlfE_EEEvT_T0_DpT1_,comdat
	.globl	_ZN2at6native12_GLOBAL__N_125multi_tensor_apply_kernelINS1_18TensorListMetadataILi1EEENS1_14UnaryOpFunctorIfLi1ELi1ELi0EEEJZZZNS0_47_amp_foreach_non_finite_check_and_unscale_cuda_EN3c108ArrayRefINS_6TensorEEERS9_RKS9_ENKUlvE_clEvENKUlvE0_clEvEUlfE_EEEvT_T0_DpT1_ ; -- Begin function _ZN2at6native12_GLOBAL__N_125multi_tensor_apply_kernelINS1_18TensorListMetadataILi1EEENS1_14UnaryOpFunctorIfLi1ELi1ELi0EEEJZZZNS0_47_amp_foreach_non_finite_check_and_unscale_cuda_EN3c108ArrayRefINS_6TensorEEERS9_RKS9_ENKUlvE_clEvENKUlvE0_clEvEUlfE_EEEvT_T0_DpT1_
	.p2align	8
	.type	_ZN2at6native12_GLOBAL__N_125multi_tensor_apply_kernelINS1_18TensorListMetadataILi1EEENS1_14UnaryOpFunctorIfLi1ELi1ELi0EEEJZZZNS0_47_amp_foreach_non_finite_check_and_unscale_cuda_EN3c108ArrayRefINS_6TensorEEERS9_RKS9_ENKUlvE_clEvENKUlvE0_clEvEUlfE_EEEvT_T0_DpT1_,@function
_ZN2at6native12_GLOBAL__N_125multi_tensor_apply_kernelINS1_18TensorListMetadataILi1EEENS1_14UnaryOpFunctorIfLi1ELi1ELi0EEEJZZZNS0_47_amp_foreach_non_finite_check_and_unscale_cuda_EN3c108ArrayRefINS_6TensorEEERS9_RKS9_ENKUlvE_clEvENKUlvE0_clEvEUlfE_EEEvT_T0_DpT1_: ; @_ZN2at6native12_GLOBAL__N_125multi_tensor_apply_kernelINS1_18TensorListMetadataILi1EEENS1_14UnaryOpFunctorIfLi1ELi1ELi0EEEJZZZNS0_47_amp_foreach_non_finite_check_and_unscale_cuda_EN3c108ArrayRefINS_6TensorEEERS9_RKS9_ENKUlvE_clEvENKUlvE0_clEvEUlfE_EEEvT_T0_DpT1_
; %bb.0:
	v_mov_b32_e32 v1, s6
	global_load_ubyte v1, v1, s[4:5] offset:1760
	s_add_u32 s0, s4, s6
	s_mul_hi_u32 s1, s6, 3
	s_mul_i32 s6, s6, 3
	s_addc_u32 s2, s5, 0
	s_add_u32 s0, s0, s6
	s_addc_u32 s1, s2, s1
	s_load_dword s0, s[0:1], 0x820
	s_mov_b32 s7, 0
	s_load_dwordx4 s[12:15], s[4:5], 0xd30
	s_waitcnt vmcnt(0)
	v_readfirstlane_b32 s1, v1
	s_lshl_b32 s1, s1, 3
	s_load_dwordx2 s[2:3], s[4:5], s1 offset:0x370
	s_load_dwordx2 s[16:17], s[4:5], s1 offset:0x0
	s_waitcnt lgkmcnt(0)
	s_ashr_i32 s1, s0, 31
	s_lshl_b64 s[18:19], s[0:1], 18
	s_lshl_b64 s[0:1], s[0:1], 16
	s_and_b32 s6, s16, 15
	s_sub_u32 s10, s2, s0
	s_subb_u32 s11, s3, s1
	s_and_b32 s0, s2, 3
	s_mov_b32 s1, s7
	s_or_b64 s[0:1], s[6:7], s[0:1]
	s_cmp_eq_u64 s[0:1], 0
	s_cbranch_scc1 .LBB26_29
; %bb.1:
	v_cmp_lt_i64_e64 s[0:1], s[10:11], 1
	s_and_b64 vcc, exec, s[0:1]
	s_cbranch_vccnz .LBB26_28
; %bb.2:
	s_load_dword s0, s[4:5], 0xd4c
	v_mov_b32_e32 v2, 0x10000
	v_mov_b32_e32 v3, 0
	v_cmp_lt_u64_e32 vcc, s[10:11], v[2:3]
	v_lshlrev_b32_e32 v2, 2, v0
	s_waitcnt lgkmcnt(0)
	s_and_b32 s3, s0, 0xffff
	s_and_b64 s[0:1], vcc, exec
	s_cselect_b32 s21, s11, 0
	s_cselect_b32 s20, s10, 0x10000
	s_lshl_b32 s6, s3, 1
	s_lshl_b32 s26, s3, 2
	s_add_u32 s7, s16, s18
	s_addc_u32 s8, s17, s19
	v_mov_b32_e32 v3, s8
	v_add_co_u32_e32 v2, vcc, s7, v2
	s_mul_i32 s0, s3, 3
	v_addc_co_u32_e32 v3, vcc, 0, v3, vcc
	v_add_co_u32_e32 v10, vcc, s0, v0
	v_addc_co_u32_e64 v11, s[0:1], 0, 0, vcc
	v_add_co_u32_e32 v12, vcc, s6, v0
	v_addc_co_u32_e64 v13, s[0:1], 0, 0, vcc
	v_add_co_u32_e32 v14, vcc, s3, v0
	v_lshlrev_b32_e32 v4, 2, v14
	s_mov_b32 s2, 0
	v_addc_co_u32_e64 v15, s[0:1], 0, 0, vcc
	v_mov_b32_e32 v5, s8
	v_add_co_u32_e32 v4, vcc, s7, v4
	v_mov_b32_e32 v8, 0xffff
	v_mov_b32_e32 v1, 0
	s_lshl_b32 s27, s3, 4
	s_mul_i32 s28, s3, 12
	s_mov_b32 s29, s2
	s_lshl_b32 s30, s3, 3
	s_mov_b32 s31, s2
	v_addc_co_u32_e32 v5, vcc, 0, v5, vcc
	s_mov_b64 s[22:23], 0
	s_mov_b32 s33, 0x7f800000
	v_mov_b32_e32 v16, 1.0
	v_pk_mov_b32 v[6:7], s[10:11], s[10:11] op_sel:[0,1]
	v_mov_b32_e32 v9, 0
	v_mov_b32_e32 v17, s2
	s_branch .LBB26_4
.LBB26_3:                               ;   in Loop: Header=BB26_4 Depth=1
	s_or_b64 exec, exec, s[0:1]
	s_add_u32 s22, s22, s26
	s_addc_u32 s23, s23, 0
	v_cmp_ge_i64_e32 vcc, s[22:23], v[6:7]
	v_cmp_gt_u64_e64 s[0:1], s[22:23], v[8:9]
	s_or_b64 s[0:1], vcc, s[0:1]
	v_add_co_u32_e32 v2, vcc, s27, v2
	v_addc_co_u32_e32 v3, vcc, v3, v17, vcc
	v_add_co_u32_e32 v4, vcc, s27, v4
	v_addc_co_u32_e32 v5, vcc, v5, v17, vcc
	s_and_b64 vcc, exec, s[0:1]
	s_cbranch_vccnz .LBB26_28
.LBB26_4:                               ; =>This Inner Loop Header: Depth=1
	v_mov_b32_e32 v19, s23
	v_add_co_u32_e32 v18, vcc, s22, v0
	v_addc_co_u32_e32 v19, vcc, 0, v19, vcc
	v_cmp_gt_u64_e32 vcc, s[20:21], v[18:19]
	v_mov_b32_e32 v19, 0
	s_and_saveexec_b64 s[0:1], vcc
	s_cbranch_execz .LBB26_6
; %bb.5:                                ;   in Loop: Header=BB26_4 Depth=1
	global_load_dword v19, v[2:3], off
.LBB26_6:                               ;   in Loop: Header=BB26_4 Depth=1
	s_or_b64 exec, exec, s[0:1]
	v_mov_b32_e32 v18, s23
	v_add_co_u32_e64 v20, s[0:1], s22, v14
	v_addc_co_u32_e64 v21, s[0:1], v15, v18, s[0:1]
	v_cmp_gt_u64_e64 s[0:1], s[20:21], v[20:21]
	v_mov_b32_e32 v18, 0
	v_mov_b32_e32 v20, 0
	s_and_saveexec_b64 s[2:3], s[0:1]
	s_cbranch_execz .LBB26_8
; %bb.7:                                ;   in Loop: Header=BB26_4 Depth=1
	global_load_dword v20, v[4:5], off
.LBB26_8:                               ;   in Loop: Header=BB26_4 Depth=1
	s_or_b64 exec, exec, s[2:3]
	v_mov_b32_e32 v21, s23
	s_waitcnt vmcnt(0)
	v_add_co_u32_e64 v22, s[2:3], s22, v12
	v_addc_co_u32_e64 v23, s[2:3], v13, v21, s[2:3]
	v_cmp_gt_u64_e64 s[2:3], s[20:21], v[22:23]
	s_and_saveexec_b64 s[8:9], s[2:3]
	s_cbranch_execz .LBB26_10
; %bb.9:                                ;   in Loop: Header=BB26_4 Depth=1
	v_mov_b32_e32 v18, s31
	v_add_co_u32_e64 v22, s[6:7], s30, v2
	v_addc_co_u32_e64 v23, s[6:7], v3, v18, s[6:7]
	global_load_dword v18, v[22:23], off
.LBB26_10:                              ;   in Loop: Header=BB26_4 Depth=1
	s_or_b64 exec, exec, s[8:9]
	v_mov_b32_e32 v21, s23
	v_add_co_u32_e64 v22, s[6:7], s22, v10
	v_addc_co_u32_e64 v23, s[6:7], v11, v21, s[6:7]
	v_cmp_gt_u64_e64 s[6:7], s[20:21], v[22:23]
	v_mov_b32_e32 v21, 0
	s_and_saveexec_b64 s[24:25], s[6:7]
	s_cbranch_execz .LBB26_12
; %bb.11:                               ;   in Loop: Header=BB26_4 Depth=1
	v_mov_b32_e32 v21, s29
	v_add_co_u32_e64 v22, s[8:9], s28, v2
	v_addc_co_u32_e64 v23, s[8:9], v3, v21, s[8:9]
	global_load_dword v21, v[22:23], off
.LBB26_12:                              ;   in Loop: Header=BB26_4 Depth=1
	s_or_b64 exec, exec, s[24:25]
	s_waitcnt vmcnt(0)
	v_cmp_nlg_f32_e64 s[24:25], |v19|, s33
	s_and_saveexec_b64 s[8:9], s[24:25]
	s_cbranch_execz .LBB26_14
; %bb.13:                               ;   in Loop: Header=BB26_4 Depth=1
	global_store_dword v1, v16, s[12:13]
.LBB26_14:                              ;   in Loop: Header=BB26_4 Depth=1
	s_or_b64 exec, exec, s[8:9]
	global_load_dword v25, v1, s[14:15]
	v_cmp_nlg_f32_e64 s[24:25], |v20|, s33
	s_waitcnt vmcnt(0)
	v_mov_b32_e32 v23, v25
	s_and_saveexec_b64 s[8:9], s[24:25]
	s_cbranch_execz .LBB26_16
; %bb.15:                               ;   in Loop: Header=BB26_4 Depth=1
	global_store_dword v1, v16, s[12:13]
	global_load_dword v23, v1, s[14:15]
.LBB26_16:                              ;   in Loop: Header=BB26_4 Depth=1
	s_or_b64 exec, exec, s[8:9]
	v_cmp_nlg_f32_e64 s[24:25], |v18|, s33
	s_waitcnt vmcnt(0)
	v_mov_b32_e32 v24, v23
	s_and_saveexec_b64 s[8:9], s[24:25]
	s_cbranch_execz .LBB26_18
; %bb.17:                               ;   in Loop: Header=BB26_4 Depth=1
	global_store_dword v1, v16, s[12:13]
	global_load_dword v24, v1, s[14:15]
.LBB26_18:                              ;   in Loop: Header=BB26_4 Depth=1
	s_or_b64 exec, exec, s[8:9]
	v_cmp_nlg_f32_e64 s[24:25], |v21|, s33
	s_waitcnt vmcnt(0)
	v_mov_b32_e32 v22, v24
	s_and_saveexec_b64 s[8:9], s[24:25]
	s_cbranch_execnz .LBB26_23
; %bb.19:                               ;   in Loop: Header=BB26_4 Depth=1
	s_or_b64 exec, exec, s[8:9]
	s_and_saveexec_b64 s[8:9], vcc
	s_xor_b64 s[8:9], exec, s[8:9]
	s_cbranch_execnz .LBB26_24
.LBB26_20:                              ;   in Loop: Header=BB26_4 Depth=1
	s_or_b64 exec, exec, s[8:9]
	s_and_saveexec_b64 s[8:9], s[0:1]
	s_cbranch_execnz .LBB26_25
.LBB26_21:                              ;   in Loop: Header=BB26_4 Depth=1
	s_or_b64 exec, exec, s[8:9]
	s_and_saveexec_b64 s[0:1], s[2:3]
	s_cbranch_execnz .LBB26_26
.LBB26_22:                              ;   in Loop: Header=BB26_4 Depth=1
	s_or_b64 exec, exec, s[0:1]
	s_and_saveexec_b64 s[0:1], s[6:7]
	s_cbranch_execz .LBB26_3
	s_branch .LBB26_27
.LBB26_23:                              ;   in Loop: Header=BB26_4 Depth=1
	global_store_dword v1, v16, s[12:13]
	global_load_dword v22, v1, s[14:15]
	s_or_b64 exec, exec, s[8:9]
	s_and_saveexec_b64 s[8:9], vcc
	s_xor_b64 s[8:9], exec, s[8:9]
	s_cbranch_execz .LBB26_20
.LBB26_24:                              ;   in Loop: Header=BB26_4 Depth=1
	v_mul_f32_e32 v26, v19, v25
	v_cmp_eq_f32_e32 vcc, 1.0, v25
	v_cndmask_b32_e32 v19, v26, v19, vcc
	global_store_dword v[2:3], v19, off
	s_or_b64 exec, exec, s[8:9]
	s_and_saveexec_b64 s[8:9], s[0:1]
	s_cbranch_execz .LBB26_21
.LBB26_25:                              ;   in Loop: Header=BB26_4 Depth=1
	v_mul_f32_e32 v19, v20, v23
	v_cmp_eq_f32_e32 vcc, 1.0, v23
	v_cndmask_b32_e32 v19, v19, v20, vcc
	global_store_dword v[4:5], v19, off
	s_or_b64 exec, exec, s[8:9]
	s_and_saveexec_b64 s[0:1], s[2:3]
	s_cbranch_execz .LBB26_22
.LBB26_26:                              ;   in Loop: Header=BB26_4 Depth=1
	v_mul_f32_e32 v19, v18, v24
	v_cmp_eq_f32_e32 vcc, 1.0, v24
	v_cndmask_b32_e32 v20, v19, v18, vcc
	v_mov_b32_e32 v19, s31
	v_add_co_u32_e32 v18, vcc, s30, v2
	v_addc_co_u32_e32 v19, vcc, v3, v19, vcc
	global_store_dword v[18:19], v20, off
	s_or_b64 exec, exec, s[0:1]
	s_and_saveexec_b64 s[0:1], s[6:7]
	s_cbranch_execz .LBB26_3
.LBB26_27:                              ;   in Loop: Header=BB26_4 Depth=1
	s_waitcnt vmcnt(0)
	v_mul_f32_e32 v18, v21, v22
	v_cmp_eq_f32_e32 vcc, 1.0, v22
	v_cndmask_b32_e32 v20, v18, v21, vcc
	v_mov_b32_e32 v19, s29
	v_add_co_u32_e32 v18, vcc, s28, v2
	v_addc_co_u32_e32 v19, vcc, v3, v19, vcc
	global_store_dword v[18:19], v20, off
	s_branch .LBB26_3
.LBB26_28:
	s_cbranch_execz .LBB26_30
	s_branch .LBB26_41
.LBB26_29:
.LBB26_30:
	v_mov_b32_e32 v5, 0
	v_lshlrev_b32_e32 v4, 2, v0
	s_mov_b32 s0, 0
	v_cmp_gt_i64_e32 vcc, s[10:11], v[4:5]
	s_and_saveexec_b64 s[2:3], vcc
	s_cbranch_execz .LBB26_41
; %bb.31:
	s_load_dword s1, s[4:5], 0xd4c
	v_lshlrev_b32_e32 v1, 4, v0
	s_mov_b32 s8, 0x7f800000
	v_mov_b32_e32 v10, 1.0
	s_mov_b64 s[4:5], 0xffff
	s_waitcnt lgkmcnt(0)
	s_and_b32 s1, s1, 0xffff
	s_lshl_b32 s6, s1, 2
	s_add_u32 s2, s16, s18
	s_addc_u32 s3, s17, s19
	v_add_lshl_u32 v4, v0, s1, 2
	v_mov_b32_e32 v0, s3
	v_add_co_u32_e32 v1, vcc, s2, v1
	v_addc_co_u32_e32 v0, vcc, 0, v0, vcc
	v_add_co_u32_e32 v6, vcc, 8, v1
	v_addc_co_u32_e32 v7, vcc, 0, v0, vcc
	s_lshl_b32 s7, s1, 4
	s_mov_b64 s[2:3], 0
	v_mov_b32_e32 v11, s0
	v_mov_b32_e32 v12, s0
	v_pk_mov_b32 v[8:9], v[4:5], v[4:5] op_sel:[0,1]
	s_branch .LBB26_33
.LBB26_32:                              ;   in Loop: Header=BB26_33 Depth=1
	s_or_b64 exec, exec, s[0:1]
	v_mul_f32_e32 v16, v2, v14
	v_cmp_eq_f32_e32 vcc, 1.0, v14
	v_cndmask_b32_e32 v2, v16, v2, vcc
	v_mul_f32_e32 v14, v1, v13
	v_cmp_eq_f32_e32 vcc, 1.0, v13
	v_cndmask_b32_e32 v1, v14, v1, vcc
	;; [unrolled: 3-line block ×3, first 2 shown]
	s_waitcnt vmcnt(0)
	v_mul_f32_e32 v4, v3, v15
	v_cmp_eq_f32_e32 vcc, 1.0, v15
	v_cndmask_b32_e32 v3, v4, v3, vcc
	v_cmp_le_i64_e32 vcc, s[10:11], v[8:9]
	v_cmp_lt_u64_e64 s[0:1], s[4:5], v[8:9]
	s_or_b64 s[0:1], vcc, s[0:1]
	v_add_co_u32_e32 v8, vcc, s6, v8
	v_addc_co_u32_e32 v9, vcc, v9, v11, vcc
	global_store_dwordx4 v[6:7], v[0:3], off offset:-8
	s_and_b64 s[0:1], exec, s[0:1]
	v_add_co_u32_e32 v6, vcc, s7, v6
	s_or_b64 s[2:3], s[0:1], s[2:3]
	v_addc_co_u32_e32 v7, vcc, v7, v12, vcc
	s_andn2_b64 exec, exec, s[2:3]
	s_cbranch_execz .LBB26_41
.LBB26_33:                              ; =>This Inner Loop Header: Depth=1
	global_load_dwordx4 v[0:3], v[6:7], off offset:-8
	s_waitcnt vmcnt(0)
	v_cmp_nlg_f32_e64 s[16:17], |v0|, s8
	s_and_saveexec_b64 s[0:1], s[16:17]
	s_cbranch_execz .LBB26_35
; %bb.34:                               ;   in Loop: Header=BB26_33 Depth=1
	global_store_dword v5, v10, s[12:13]
.LBB26_35:                              ;   in Loop: Header=BB26_33 Depth=1
	s_or_b64 exec, exec, s[0:1]
	global_load_dword v4, v5, s[14:15]
	v_cmp_nlg_f32_e64 s[16:17], |v1|, s8
	s_waitcnt vmcnt(0)
	v_mov_b32_e32 v13, v4
	s_and_saveexec_b64 s[0:1], s[16:17]
	s_cbranch_execz .LBB26_37
; %bb.36:                               ;   in Loop: Header=BB26_33 Depth=1
	global_store_dword v5, v10, s[12:13]
	global_load_dword v13, v5, s[14:15]
.LBB26_37:                              ;   in Loop: Header=BB26_33 Depth=1
	s_or_b64 exec, exec, s[0:1]
	v_cmp_nlg_f32_e64 s[16:17], |v2|, s8
	s_waitcnt vmcnt(0)
	v_mov_b32_e32 v14, v13
	s_and_saveexec_b64 s[0:1], s[16:17]
	s_cbranch_execz .LBB26_39
; %bb.38:                               ;   in Loop: Header=BB26_33 Depth=1
	global_store_dword v5, v10, s[12:13]
	global_load_dword v14, v5, s[14:15]
.LBB26_39:                              ;   in Loop: Header=BB26_33 Depth=1
	s_or_b64 exec, exec, s[0:1]
	v_cmp_nlg_f32_e64 s[16:17], |v3|, s8
	s_waitcnt vmcnt(0)
	v_mov_b32_e32 v15, v14
	s_and_saveexec_b64 s[0:1], s[16:17]
	s_cbranch_execz .LBB26_32
; %bb.40:                               ;   in Loop: Header=BB26_33 Depth=1
	global_store_dword v5, v10, s[12:13]
	global_load_dword v15, v5, s[14:15]
	s_branch .LBB26_32
.LBB26_41:
	s_endpgm
	.section	.rodata,"a",@progbits
	.p2align	6, 0x0
	.amdhsa_kernel _ZN2at6native12_GLOBAL__N_125multi_tensor_apply_kernelINS1_18TensorListMetadataILi1EEENS1_14UnaryOpFunctorIfLi1ELi1ELi0EEEJZZZNS0_47_amp_foreach_non_finite_check_and_unscale_cuda_EN3c108ArrayRefINS_6TensorEEERS9_RKS9_ENKUlvE_clEvENKUlvE0_clEvEUlfE_EEEvT_T0_DpT1_
		.amdhsa_group_segment_fixed_size 0
		.amdhsa_private_segment_fixed_size 0
		.amdhsa_kernarg_size 3648
		.amdhsa_user_sgpr_count 6
		.amdhsa_user_sgpr_private_segment_buffer 1
		.amdhsa_user_sgpr_dispatch_ptr 0
		.amdhsa_user_sgpr_queue_ptr 0
		.amdhsa_user_sgpr_kernarg_segment_ptr 1
		.amdhsa_user_sgpr_dispatch_id 0
		.amdhsa_user_sgpr_flat_scratch_init 0
		.amdhsa_user_sgpr_kernarg_preload_length 0
		.amdhsa_user_sgpr_kernarg_preload_offset 0
		.amdhsa_user_sgpr_private_segment_size 0
		.amdhsa_uses_dynamic_stack 0
		.amdhsa_system_sgpr_private_segment_wavefront_offset 0
		.amdhsa_system_sgpr_workgroup_id_x 1
		.amdhsa_system_sgpr_workgroup_id_y 0
		.amdhsa_system_sgpr_workgroup_id_z 0
		.amdhsa_system_sgpr_workgroup_info 0
		.amdhsa_system_vgpr_workitem_id 0
		.amdhsa_next_free_vgpr 27
		.amdhsa_next_free_sgpr 34
		.amdhsa_accum_offset 28
		.amdhsa_reserve_vcc 1
		.amdhsa_reserve_flat_scratch 0
		.amdhsa_float_round_mode_32 0
		.amdhsa_float_round_mode_16_64 0
		.amdhsa_float_denorm_mode_32 3
		.amdhsa_float_denorm_mode_16_64 3
		.amdhsa_dx10_clamp 1
		.amdhsa_ieee_mode 1
		.amdhsa_fp16_overflow 0
		.amdhsa_tg_split 0
		.amdhsa_exception_fp_ieee_invalid_op 0
		.amdhsa_exception_fp_denorm_src 0
		.amdhsa_exception_fp_ieee_div_zero 0
		.amdhsa_exception_fp_ieee_overflow 0
		.amdhsa_exception_fp_ieee_underflow 0
		.amdhsa_exception_fp_ieee_inexact 0
		.amdhsa_exception_int_div_zero 0
	.end_amdhsa_kernel
	.section	.text._ZN2at6native12_GLOBAL__N_125multi_tensor_apply_kernelINS1_18TensorListMetadataILi1EEENS1_14UnaryOpFunctorIfLi1ELi1ELi0EEEJZZZNS0_47_amp_foreach_non_finite_check_and_unscale_cuda_EN3c108ArrayRefINS_6TensorEEERS9_RKS9_ENKUlvE_clEvENKUlvE0_clEvEUlfE_EEEvT_T0_DpT1_,"axG",@progbits,_ZN2at6native12_GLOBAL__N_125multi_tensor_apply_kernelINS1_18TensorListMetadataILi1EEENS1_14UnaryOpFunctorIfLi1ELi1ELi0EEEJZZZNS0_47_amp_foreach_non_finite_check_and_unscale_cuda_EN3c108ArrayRefINS_6TensorEEERS9_RKS9_ENKUlvE_clEvENKUlvE0_clEvEUlfE_EEEvT_T0_DpT1_,comdat
.Lfunc_end26:
	.size	_ZN2at6native12_GLOBAL__N_125multi_tensor_apply_kernelINS1_18TensorListMetadataILi1EEENS1_14UnaryOpFunctorIfLi1ELi1ELi0EEEJZZZNS0_47_amp_foreach_non_finite_check_and_unscale_cuda_EN3c108ArrayRefINS_6TensorEEERS9_RKS9_ENKUlvE_clEvENKUlvE0_clEvEUlfE_EEEvT_T0_DpT1_, .Lfunc_end26-_ZN2at6native12_GLOBAL__N_125multi_tensor_apply_kernelINS1_18TensorListMetadataILi1EEENS1_14UnaryOpFunctorIfLi1ELi1ELi0EEEJZZZNS0_47_amp_foreach_non_finite_check_and_unscale_cuda_EN3c108ArrayRefINS_6TensorEEERS9_RKS9_ENKUlvE_clEvENKUlvE0_clEvEUlfE_EEEvT_T0_DpT1_
                                        ; -- End function
	.section	.AMDGPU.csdata,"",@progbits
; Kernel info:
; codeLenInByte = 1480
; NumSgprs: 38
; NumVgprs: 27
; NumAgprs: 0
; TotalNumVgprs: 27
; ScratchSize: 0
; MemoryBound: 0
; FloatMode: 240
; IeeeMode: 1
; LDSByteSize: 0 bytes/workgroup (compile time only)
; SGPRBlocks: 4
; VGPRBlocks: 3
; NumSGPRsForWavesPerEU: 38
; NumVGPRsForWavesPerEU: 27
; AccumOffset: 28
; Occupancy: 8
; WaveLimiterHint : 0
; COMPUTE_PGM_RSRC2:SCRATCH_EN: 0
; COMPUTE_PGM_RSRC2:USER_SGPR: 6
; COMPUTE_PGM_RSRC2:TRAP_HANDLER: 0
; COMPUTE_PGM_RSRC2:TGID_X_EN: 1
; COMPUTE_PGM_RSRC2:TGID_Y_EN: 0
; COMPUTE_PGM_RSRC2:TGID_Z_EN: 0
; COMPUTE_PGM_RSRC2:TIDIG_COMP_CNT: 0
; COMPUTE_PGM_RSRC3_GFX90A:ACCUM_OFFSET: 6
; COMPUTE_PGM_RSRC3_GFX90A:TG_SPLIT: 0
	.section	.text._ZN2at6native12_GLOBAL__N_125multi_tensor_apply_kernelINS1_18TensorListMetadataILi1EEENS1_14UnaryOpFunctorIN3c104HalfELi1ELi1ELi0EEEJZZZNS0_47_amp_foreach_non_finite_check_and_unscale_cuda_ENS6_8ArrayRefINS_6TensorEEERSA_RKSA_ENKUlvE_clEvENKUlvE1_clEvEUlfE_EEEvT_T0_DpT1_,"axG",@progbits,_ZN2at6native12_GLOBAL__N_125multi_tensor_apply_kernelINS1_18TensorListMetadataILi1EEENS1_14UnaryOpFunctorIN3c104HalfELi1ELi1ELi0EEEJZZZNS0_47_amp_foreach_non_finite_check_and_unscale_cuda_ENS6_8ArrayRefINS_6TensorEEERSA_RKSA_ENKUlvE_clEvENKUlvE1_clEvEUlfE_EEEvT_T0_DpT1_,comdat
	.globl	_ZN2at6native12_GLOBAL__N_125multi_tensor_apply_kernelINS1_18TensorListMetadataILi1EEENS1_14UnaryOpFunctorIN3c104HalfELi1ELi1ELi0EEEJZZZNS0_47_amp_foreach_non_finite_check_and_unscale_cuda_ENS6_8ArrayRefINS_6TensorEEERSA_RKSA_ENKUlvE_clEvENKUlvE1_clEvEUlfE_EEEvT_T0_DpT1_ ; -- Begin function _ZN2at6native12_GLOBAL__N_125multi_tensor_apply_kernelINS1_18TensorListMetadataILi1EEENS1_14UnaryOpFunctorIN3c104HalfELi1ELi1ELi0EEEJZZZNS0_47_amp_foreach_non_finite_check_and_unscale_cuda_ENS6_8ArrayRefINS_6TensorEEERSA_RKSA_ENKUlvE_clEvENKUlvE1_clEvEUlfE_EEEvT_T0_DpT1_
	.p2align	8
	.type	_ZN2at6native12_GLOBAL__N_125multi_tensor_apply_kernelINS1_18TensorListMetadataILi1EEENS1_14UnaryOpFunctorIN3c104HalfELi1ELi1ELi0EEEJZZZNS0_47_amp_foreach_non_finite_check_and_unscale_cuda_ENS6_8ArrayRefINS_6TensorEEERSA_RKSA_ENKUlvE_clEvENKUlvE1_clEvEUlfE_EEEvT_T0_DpT1_,@function
_ZN2at6native12_GLOBAL__N_125multi_tensor_apply_kernelINS1_18TensorListMetadataILi1EEENS1_14UnaryOpFunctorIN3c104HalfELi1ELi1ELi0EEEJZZZNS0_47_amp_foreach_non_finite_check_and_unscale_cuda_ENS6_8ArrayRefINS_6TensorEEERSA_RKSA_ENKUlvE_clEvENKUlvE1_clEvEUlfE_EEEvT_T0_DpT1_: ; @_ZN2at6native12_GLOBAL__N_125multi_tensor_apply_kernelINS1_18TensorListMetadataILi1EEENS1_14UnaryOpFunctorIN3c104HalfELi1ELi1ELi0EEEJZZZNS0_47_amp_foreach_non_finite_check_and_unscale_cuda_ENS6_8ArrayRefINS_6TensorEEERSA_RKSA_ENKUlvE_clEvENKUlvE1_clEvEUlfE_EEEvT_T0_DpT1_
; %bb.0:
	v_mov_b32_e32 v1, s6
	global_load_ubyte v1, v1, s[4:5] offset:1760
	s_add_u32 s0, s4, s6
	s_mul_hi_u32 s1, s6, 3
	s_mul_i32 s6, s6, 3
	s_addc_u32 s2, s5, 0
	s_add_u32 s0, s0, s6
	s_addc_u32 s1, s2, s1
	s_load_dword s0, s[0:1], 0x820
	s_mov_b32 s7, 0
	s_load_dwordx4 s[12:15], s[4:5], 0xd30
	s_waitcnt vmcnt(0)
	v_readfirstlane_b32 s1, v1
	s_lshl_b32 s1, s1, 3
	s_load_dwordx2 s[2:3], s[4:5], s1 offset:0x370
	s_load_dwordx2 s[16:17], s[4:5], s1 offset:0x0
	s_waitcnt lgkmcnt(0)
	s_ashr_i32 s1, s0, 31
	s_lshl_b64 s[18:19], s[0:1], 17
	s_lshl_b64 s[0:1], s[0:1], 16
	s_and_b32 s6, s16, 7
	s_sub_u32 s10, s2, s0
	s_subb_u32 s11, s3, s1
	s_and_b32 s0, s2, 3
	s_mov_b32 s1, s7
	s_or_b64 s[0:1], s[6:7], s[0:1]
	s_cmp_eq_u64 s[0:1], 0
	s_cbranch_scc1 .LBB27_29
; %bb.1:
	v_cmp_lt_i64_e64 s[0:1], s[10:11], 1
	s_and_b64 vcc, exec, s[0:1]
	s_cbranch_vccnz .LBB27_28
; %bb.2:
	s_load_dword s0, s[4:5], 0xd4c
	v_mov_b32_e32 v2, 0x10000
	v_mov_b32_e32 v3, 0
	v_cmp_lt_u64_e32 vcc, s[10:11], v[2:3]
	v_lshlrev_b32_e32 v2, 1, v0
	s_waitcnt lgkmcnt(0)
	s_and_b32 s2, s0, 0xffff
	s_and_b64 s[0:1], vcc, exec
	s_cselect_b32 s21, s11, 0
	s_cselect_b32 s20, s10, 0x10000
	s_lshl_b32 s3, s2, 1
	s_lshl_b32 s27, s2, 2
	s_add_u32 s6, s16, s18
	s_addc_u32 s7, s17, s19
	v_mov_b32_e32 v3, s7
	v_add_co_u32_e32 v2, vcc, s6, v2
	s_mul_i32 s0, s2, 3
	v_addc_co_u32_e32 v3, vcc, 0, v3, vcc
	v_add_co_u32_e32 v8, vcc, s0, v0
	v_addc_co_u32_e64 v9, s[0:1], 0, 0, vcc
	v_add_co_u32_e32 v10, vcc, s3, v0
	v_addc_co_u32_e64 v11, s[0:1], 0, 0, vcc
	v_add_co_u32_e32 v12, vcc, s2, v0
	v_lshlrev_b32_e32 v4, 1, v12
	s_mov_b32 s26, 0
	v_addc_co_u32_e64 v13, s[0:1], 0, 0, vcc
	v_mov_b32_e32 v5, s7
	v_add_co_u32_e32 v4, vcc, s6, v4
	v_mov_b32_e32 v1, 0
	s_lshl_b32 s28, s2, 3
	s_mul_i32 s29, s2, 6
	s_mov_b32 s30, s26
	v_addc_co_u32_e32 v5, vcc, 0, v5, vcc
	s_mov_b64 s[22:23], 0
	s_mov_b32 s31, 0x7f800000
	v_mov_b32_e32 v14, 1.0
	v_mov_b32_e32 v15, s26
	v_pk_mov_b32 v[6:7], s[10:11], s[10:11] op_sel:[0,1]
	s_branch .LBB27_4
.LBB27_3:                               ;   in Loop: Header=BB27_4 Depth=1
	s_or_b64 exec, exec, s[0:1]
	s_add_u32 s22, s22, s27
	v_mov_b32_e32 v16, 0xffff
	s_addc_u32 s23, s23, 0
	v_mov_b32_e32 v17, 0
	v_cmp_ge_i64_e32 vcc, s[22:23], v[6:7]
	v_cmp_gt_u64_e64 s[0:1], s[22:23], v[16:17]
	s_or_b64 s[0:1], vcc, s[0:1]
	v_add_co_u32_e32 v2, vcc, s28, v2
	v_addc_co_u32_e32 v3, vcc, v3, v15, vcc
	v_add_co_u32_e32 v4, vcc, s28, v4
	v_addc_co_u32_e32 v5, vcc, v5, v15, vcc
	s_and_b64 vcc, exec, s[0:1]
	s_cbranch_vccnz .LBB27_28
.LBB27_4:                               ; =>This Inner Loop Header: Depth=1
	v_mov_b32_e32 v17, s23
	v_add_co_u32_e32 v16, vcc, s22, v0
	v_addc_co_u32_e32 v17, vcc, 0, v17, vcc
	v_cmp_gt_u64_e32 vcc, s[20:21], v[16:17]
	v_mov_b32_e32 v17, 0
	s_and_saveexec_b64 s[0:1], vcc
	s_cbranch_execz .LBB27_6
; %bb.5:                                ;   in Loop: Header=BB27_4 Depth=1
	global_load_ushort v17, v[2:3], off
.LBB27_6:                               ;   in Loop: Header=BB27_4 Depth=1
	s_or_b64 exec, exec, s[0:1]
	v_mov_b32_e32 v16, s23
	v_add_co_u32_e64 v18, s[0:1], s22, v12
	v_addc_co_u32_e64 v19, s[0:1], v13, v16, s[0:1]
	v_cmp_gt_u64_e64 s[0:1], s[20:21], v[18:19]
	v_mov_b32_e32 v16, 0
	v_mov_b32_e32 v18, 0
	s_and_saveexec_b64 s[2:3], s[0:1]
	s_cbranch_execz .LBB27_8
; %bb.7:                                ;   in Loop: Header=BB27_4 Depth=1
	global_load_ushort v18, v[4:5], off
.LBB27_8:                               ;   in Loop: Header=BB27_4 Depth=1
	s_or_b64 exec, exec, s[2:3]
	v_mov_b32_e32 v19, s23
	v_add_co_u32_e64 v20, s[2:3], s22, v10
	v_addc_co_u32_e64 v21, s[2:3], v11, v19, s[2:3]
	v_cmp_gt_u64_e64 s[2:3], s[20:21], v[20:21]
	s_and_saveexec_b64 s[8:9], s[2:3]
	s_cbranch_execz .LBB27_10
; %bb.9:                                ;   in Loop: Header=BB27_4 Depth=1
	v_mov_b32_e32 v16, s26
	v_add_co_u32_e64 v20, s[6:7], s27, v2
	v_addc_co_u32_e64 v21, s[6:7], v3, v16, s[6:7]
	global_load_ushort v16, v[20:21], off
.LBB27_10:                              ;   in Loop: Header=BB27_4 Depth=1
	s_or_b64 exec, exec, s[8:9]
	v_mov_b32_e32 v19, s23
	v_add_co_u32_e64 v20, s[6:7], s22, v8
	v_addc_co_u32_e64 v21, s[6:7], v9, v19, s[6:7]
	v_cmp_gt_u64_e64 s[6:7], s[20:21], v[20:21]
	v_mov_b32_e32 v19, 0
	s_and_saveexec_b64 s[24:25], s[6:7]
	s_cbranch_execz .LBB27_12
; %bb.11:                               ;   in Loop: Header=BB27_4 Depth=1
	v_mov_b32_e32 v19, s30
	v_add_co_u32_e64 v20, s[8:9], s29, v2
	v_addc_co_u32_e64 v21, s[8:9], v3, v19, s[8:9]
	global_load_ushort v19, v[20:21], off
.LBB27_12:                              ;   in Loop: Header=BB27_4 Depth=1
	s_or_b64 exec, exec, s[24:25]
	s_waitcnt vmcnt(0)
	v_cvt_f32_f16_e32 v22, v17
	v_cmp_nlg_f32_e64 s[24:25], |v22|, s31
	s_and_saveexec_b64 s[8:9], s[24:25]
	s_cbranch_execz .LBB27_14
; %bb.13:                               ;   in Loop: Header=BB27_4 Depth=1
	global_store_dword v1, v14, s[12:13]
.LBB27_14:                              ;   in Loop: Header=BB27_4 Depth=1
	s_or_b64 exec, exec, s[8:9]
	global_load_dword v27, v1, s[14:15]
	v_cvt_f32_f16_e32 v21, v18
	v_cmp_nlg_f32_e64 s[24:25], |v21|, s31
	s_waitcnt vmcnt(0)
	v_mov_b32_e32 v25, v27
	s_and_saveexec_b64 s[8:9], s[24:25]
	s_cbranch_execz .LBB27_16
; %bb.15:                               ;   in Loop: Header=BB27_4 Depth=1
	global_store_dword v1, v14, s[12:13]
	global_load_dword v25, v1, s[14:15]
.LBB27_16:                              ;   in Loop: Header=BB27_4 Depth=1
	s_or_b64 exec, exec, s[8:9]
	v_cvt_f32_f16_e32 v24, v16
	s_waitcnt vmcnt(0)
	v_mov_b32_e32 v26, v25
	v_cmp_nlg_f32_e64 s[24:25], |v24|, s31
	s_and_saveexec_b64 s[8:9], s[24:25]
	s_cbranch_execz .LBB27_18
; %bb.17:                               ;   in Loop: Header=BB27_4 Depth=1
	global_store_dword v1, v14, s[12:13]
	global_load_dword v26, v1, s[14:15]
.LBB27_18:                              ;   in Loop: Header=BB27_4 Depth=1
	s_or_b64 exec, exec, s[8:9]
	v_cvt_f32_f16_e32 v20, v19
	s_waitcnt vmcnt(0)
	v_mov_b32_e32 v23, v26
	v_cmp_nlg_f32_e64 s[24:25], |v20|, s31
	s_and_saveexec_b64 s[8:9], s[24:25]
	s_cbranch_execnz .LBB27_23
; %bb.19:                               ;   in Loop: Header=BB27_4 Depth=1
	s_or_b64 exec, exec, s[8:9]
	s_and_saveexec_b64 s[8:9], vcc
	s_xor_b64 s[8:9], exec, s[8:9]
	s_cbranch_execnz .LBB27_24
.LBB27_20:                              ;   in Loop: Header=BB27_4 Depth=1
	s_or_b64 exec, exec, s[8:9]
	s_and_saveexec_b64 s[8:9], s[0:1]
	s_cbranch_execnz .LBB27_25
.LBB27_21:                              ;   in Loop: Header=BB27_4 Depth=1
	s_or_b64 exec, exec, s[8:9]
	s_and_saveexec_b64 s[0:1], s[2:3]
	s_cbranch_execnz .LBB27_26
.LBB27_22:                              ;   in Loop: Header=BB27_4 Depth=1
	s_or_b64 exec, exec, s[0:1]
	s_and_saveexec_b64 s[0:1], s[6:7]
	s_cbranch_execz .LBB27_3
	s_branch .LBB27_27
.LBB27_23:                              ;   in Loop: Header=BB27_4 Depth=1
	global_store_dword v1, v14, s[12:13]
	global_load_dword v23, v1, s[14:15]
	s_or_b64 exec, exec, s[8:9]
	s_and_saveexec_b64 s[8:9], vcc
	s_xor_b64 s[8:9], exec, s[8:9]
	s_cbranch_execz .LBB27_20
.LBB27_24:                              ;   in Loop: Header=BB27_4 Depth=1
	v_fma_mixlo_f16 v22, v27, v22, 0
	v_cmp_eq_f32_e32 vcc, 1.0, v27
	v_cndmask_b32_e32 v17, v22, v17, vcc
	global_store_short v[2:3], v17, off
	s_or_b64 exec, exec, s[8:9]
	s_and_saveexec_b64 s[8:9], s[0:1]
	s_cbranch_execz .LBB27_21
.LBB27_25:                              ;   in Loop: Header=BB27_4 Depth=1
	v_fma_mixlo_f16 v17, v25, v21, 0
	v_cmp_eq_f32_e32 vcc, 1.0, v25
	v_cndmask_b32_e32 v17, v17, v18, vcc
	global_store_short v[4:5], v17, off
	s_or_b64 exec, exec, s[8:9]
	s_and_saveexec_b64 s[0:1], s[2:3]
	s_cbranch_execz .LBB27_22
.LBB27_26:                              ;   in Loop: Header=BB27_4 Depth=1
	v_fma_mixlo_f16 v17, v26, v24, 0
	v_cmp_eq_f32_e32 vcc, 1.0, v26
	v_cndmask_b32_e32 v18, v17, v16, vcc
	v_mov_b32_e32 v17, s26
	v_add_co_u32_e32 v16, vcc, s27, v2
	v_addc_co_u32_e32 v17, vcc, v3, v17, vcc
	global_store_short v[16:17], v18, off
	s_or_b64 exec, exec, s[0:1]
	s_and_saveexec_b64 s[0:1], s[6:7]
	s_cbranch_execz .LBB27_3
.LBB27_27:                              ;   in Loop: Header=BB27_4 Depth=1
	s_waitcnt vmcnt(0)
	v_fma_mixlo_f16 v16, v23, v20, 0
	v_cmp_eq_f32_e32 vcc, 1.0, v23
	v_cndmask_b32_e32 v18, v16, v19, vcc
	v_mov_b32_e32 v17, s30
	v_add_co_u32_e32 v16, vcc, s29, v2
	v_addc_co_u32_e32 v17, vcc, v3, v17, vcc
	global_store_short v[16:17], v18, off
	s_branch .LBB27_3
.LBB27_28:
	s_cbranch_execz .LBB27_30
	s_branch .LBB27_41
.LBB27_29:
.LBB27_30:
	v_mov_b32_e32 v3, 0
	v_lshlrev_b32_e32 v2, 2, v0
	s_mov_b32 s0, 0
	v_cmp_gt_i64_e32 vcc, s[10:11], v[2:3]
	s_and_saveexec_b64 s[2:3], vcc
	s_cbranch_execz .LBB27_41
; %bb.31:
	s_load_dword s1, s[4:5], 0xd4c
	v_lshlrev_b32_e32 v1, 3, v0
	s_mov_b32 s8, 0x7f800000
	v_mov_b32_e32 v8, 1.0
	s_mov_b32 s9, 0x5040100
	s_waitcnt lgkmcnt(0)
	s_and_b32 s1, s1, 0xffff
	s_lshl_b32 s6, s1, 2
	s_add_u32 s2, s16, s18
	s_addc_u32 s3, s17, s19
	v_add_lshl_u32 v2, v0, s1, 2
	v_mov_b32_e32 v0, s3
	v_add_co_u32_e32 v1, vcc, s2, v1
	v_addc_co_u32_e32 v4, vcc, 0, v0, vcc
	v_add_co_u32_e32 v0, vcc, 4, v1
	v_addc_co_u32_e32 v1, vcc, 0, v4, vcc
	s_lshl_b32 s7, s1, 3
	s_mov_b64 s[2:3], 0
	s_mov_b64 s[4:5], 0xffff
	v_mov_b32_e32 v9, s0
	v_mov_b32_e32 v10, s0
	v_pk_mov_b32 v[4:5], v[2:3], v[2:3] op_sel:[0,1]
	s_branch .LBB27_33
.LBB27_32:                              ;   in Loop: Header=BB27_33 Depth=1
	s_or_b64 exec, exec, s[0:1]
	v_fma_mixlo_f16 v15, v17, v15, 0
	v_cmp_eq_f32_e32 vcc, 1.0, v17
	v_cndmask_b32_e32 v7, v15, v7, vcc
	v_fma_mixlo_f16 v13, v14, v13, 0
	v_cmp_eq_f32_e32 vcc, 1.0, v14
	v_cndmask_b32_e32 v12, v13, v12, vcc
	;; [unrolled: 3-line block ×3, first 2 shown]
	s_waitcnt vmcnt(0)
	v_fma_mixlo_f16 v6, v19, v18, 0
	v_cmp_eq_f32_e32 vcc, 1.0, v19
	v_cndmask_b32_e32 v6, v6, v16, vcc
	v_cmp_le_i64_e32 vcc, s[10:11], v[4:5]
	v_cmp_lt_u64_e64 s[0:1], s[4:5], v[4:5]
	s_or_b64 s[0:1], vcc, s[0:1]
	v_add_co_u32_e32 v4, vcc, s6, v4
	v_perm_b32 v7, v6, v7, s9
	v_perm_b32 v6, v12, v2, s9
	v_addc_co_u32_e32 v5, vcc, v5, v9, vcc
	global_store_dwordx2 v[0:1], v[6:7], off offset:-4
	s_and_b64 s[0:1], exec, s[0:1]
	v_add_co_u32_e32 v0, vcc, s7, v0
	s_or_b64 s[2:3], s[0:1], s[2:3]
	v_addc_co_u32_e32 v1, vcc, v1, v10, vcc
	s_andn2_b64 exec, exec, s[2:3]
	s_cbranch_execz .LBB27_41
.LBB27_33:                              ; =>This Inner Loop Header: Depth=1
	global_load_dwordx2 v[6:7], v[0:1], off offset:-4
	s_waitcnt vmcnt(0)
	v_cvt_f32_f16_e32 v2, v6
	v_cmp_nlg_f32_e64 s[16:17], |v2|, s8
	s_and_saveexec_b64 s[0:1], s[16:17]
	s_cbranch_execz .LBB27_35
; %bb.34:                               ;   in Loop: Header=BB27_33 Depth=1
	global_store_dword v3, v8, s[12:13]
.LBB27_35:                              ;   in Loop: Header=BB27_33 Depth=1
	s_or_b64 exec, exec, s[0:1]
	global_load_dword v11, v3, s[14:15]
	v_lshrrev_b32_e32 v12, 16, v6
	v_cvt_f32_f16_e32 v13, v12
	v_cmp_nlg_f32_e64 s[16:17], |v13|, s8
	s_waitcnt vmcnt(0)
	v_mov_b32_e32 v14, v11
	s_and_saveexec_b64 s[0:1], s[16:17]
	s_cbranch_execz .LBB27_37
; %bb.36:                               ;   in Loop: Header=BB27_33 Depth=1
	global_store_dword v3, v8, s[12:13]
	global_load_dword v14, v3, s[14:15]
.LBB27_37:                              ;   in Loop: Header=BB27_33 Depth=1
	s_or_b64 exec, exec, s[0:1]
	v_cvt_f32_f16_e32 v15, v7
	s_waitcnt vmcnt(0)
	v_mov_b32_e32 v17, v14
	v_cmp_nlg_f32_e64 s[16:17], |v15|, s8
	s_and_saveexec_b64 s[0:1], s[16:17]
	s_cbranch_execz .LBB27_39
; %bb.38:                               ;   in Loop: Header=BB27_33 Depth=1
	global_store_dword v3, v8, s[12:13]
	global_load_dword v17, v3, s[14:15]
.LBB27_39:                              ;   in Loop: Header=BB27_33 Depth=1
	s_or_b64 exec, exec, s[0:1]
	v_lshrrev_b32_e32 v16, 16, v7
	v_cvt_f32_f16_e32 v18, v16
	s_waitcnt vmcnt(0)
	v_mov_b32_e32 v19, v17
	v_cmp_nlg_f32_e64 s[16:17], |v18|, s8
	s_and_saveexec_b64 s[0:1], s[16:17]
	s_cbranch_execz .LBB27_32
; %bb.40:                               ;   in Loop: Header=BB27_33 Depth=1
	global_store_dword v3, v8, s[12:13]
	global_load_dword v19, v3, s[14:15]
	s_branch .LBB27_32
.LBB27_41:
	s_endpgm
	.section	.rodata,"a",@progbits
	.p2align	6, 0x0
	.amdhsa_kernel _ZN2at6native12_GLOBAL__N_125multi_tensor_apply_kernelINS1_18TensorListMetadataILi1EEENS1_14UnaryOpFunctorIN3c104HalfELi1ELi1ELi0EEEJZZZNS0_47_amp_foreach_non_finite_check_and_unscale_cuda_ENS6_8ArrayRefINS_6TensorEEERSA_RKSA_ENKUlvE_clEvENKUlvE1_clEvEUlfE_EEEvT_T0_DpT1_
		.amdhsa_group_segment_fixed_size 0
		.amdhsa_private_segment_fixed_size 0
		.amdhsa_kernarg_size 3648
		.amdhsa_user_sgpr_count 6
		.amdhsa_user_sgpr_private_segment_buffer 1
		.amdhsa_user_sgpr_dispatch_ptr 0
		.amdhsa_user_sgpr_queue_ptr 0
		.amdhsa_user_sgpr_kernarg_segment_ptr 1
		.amdhsa_user_sgpr_dispatch_id 0
		.amdhsa_user_sgpr_flat_scratch_init 0
		.amdhsa_user_sgpr_kernarg_preload_length 0
		.amdhsa_user_sgpr_kernarg_preload_offset 0
		.amdhsa_user_sgpr_private_segment_size 0
		.amdhsa_uses_dynamic_stack 0
		.amdhsa_system_sgpr_private_segment_wavefront_offset 0
		.amdhsa_system_sgpr_workgroup_id_x 1
		.amdhsa_system_sgpr_workgroup_id_y 0
		.amdhsa_system_sgpr_workgroup_id_z 0
		.amdhsa_system_sgpr_workgroup_info 0
		.amdhsa_system_vgpr_workitem_id 0
		.amdhsa_next_free_vgpr 28
		.amdhsa_next_free_sgpr 32
		.amdhsa_accum_offset 28
		.amdhsa_reserve_vcc 1
		.amdhsa_reserve_flat_scratch 0
		.amdhsa_float_round_mode_32 0
		.amdhsa_float_round_mode_16_64 0
		.amdhsa_float_denorm_mode_32 3
		.amdhsa_float_denorm_mode_16_64 3
		.amdhsa_dx10_clamp 1
		.amdhsa_ieee_mode 1
		.amdhsa_fp16_overflow 0
		.amdhsa_tg_split 0
		.amdhsa_exception_fp_ieee_invalid_op 0
		.amdhsa_exception_fp_denorm_src 0
		.amdhsa_exception_fp_ieee_div_zero 0
		.amdhsa_exception_fp_ieee_overflow 0
		.amdhsa_exception_fp_ieee_underflow 0
		.amdhsa_exception_fp_ieee_inexact 0
		.amdhsa_exception_int_div_zero 0
	.end_amdhsa_kernel
	.section	.text._ZN2at6native12_GLOBAL__N_125multi_tensor_apply_kernelINS1_18TensorListMetadataILi1EEENS1_14UnaryOpFunctorIN3c104HalfELi1ELi1ELi0EEEJZZZNS0_47_amp_foreach_non_finite_check_and_unscale_cuda_ENS6_8ArrayRefINS_6TensorEEERSA_RKSA_ENKUlvE_clEvENKUlvE1_clEvEUlfE_EEEvT_T0_DpT1_,"axG",@progbits,_ZN2at6native12_GLOBAL__N_125multi_tensor_apply_kernelINS1_18TensorListMetadataILi1EEENS1_14UnaryOpFunctorIN3c104HalfELi1ELi1ELi0EEEJZZZNS0_47_amp_foreach_non_finite_check_and_unscale_cuda_ENS6_8ArrayRefINS_6TensorEEERSA_RKSA_ENKUlvE_clEvENKUlvE1_clEvEUlfE_EEEvT_T0_DpT1_,comdat
.Lfunc_end27:
	.size	_ZN2at6native12_GLOBAL__N_125multi_tensor_apply_kernelINS1_18TensorListMetadataILi1EEENS1_14UnaryOpFunctorIN3c104HalfELi1ELi1ELi0EEEJZZZNS0_47_amp_foreach_non_finite_check_and_unscale_cuda_ENS6_8ArrayRefINS_6TensorEEERSA_RKSA_ENKUlvE_clEvENKUlvE1_clEvEUlfE_EEEvT_T0_DpT1_, .Lfunc_end27-_ZN2at6native12_GLOBAL__N_125multi_tensor_apply_kernelINS1_18TensorListMetadataILi1EEENS1_14UnaryOpFunctorIN3c104HalfELi1ELi1ELi0EEEJZZZNS0_47_amp_foreach_non_finite_check_and_unscale_cuda_ENS6_8ArrayRefINS_6TensorEEERSA_RKSA_ENKUlvE_clEvENKUlvE1_clEvEUlfE_EEEvT_T0_DpT1_
                                        ; -- End function
	.section	.AMDGPU.csdata,"",@progbits
; Kernel info:
; codeLenInByte = 1564
; NumSgprs: 36
; NumVgprs: 28
; NumAgprs: 0
; TotalNumVgprs: 28
; ScratchSize: 0
; MemoryBound: 0
; FloatMode: 240
; IeeeMode: 1
; LDSByteSize: 0 bytes/workgroup (compile time only)
; SGPRBlocks: 4
; VGPRBlocks: 3
; NumSGPRsForWavesPerEU: 36
; NumVGPRsForWavesPerEU: 28
; AccumOffset: 28
; Occupancy: 8
; WaveLimiterHint : 0
; COMPUTE_PGM_RSRC2:SCRATCH_EN: 0
; COMPUTE_PGM_RSRC2:USER_SGPR: 6
; COMPUTE_PGM_RSRC2:TRAP_HANDLER: 0
; COMPUTE_PGM_RSRC2:TGID_X_EN: 1
; COMPUTE_PGM_RSRC2:TGID_Y_EN: 0
; COMPUTE_PGM_RSRC2:TGID_Z_EN: 0
; COMPUTE_PGM_RSRC2:TIDIG_COMP_CNT: 0
; COMPUTE_PGM_RSRC3_GFX90A:ACCUM_OFFSET: 6
; COMPUTE_PGM_RSRC3_GFX90A:TG_SPLIT: 0
	.text
	.p2alignl 6, 3212836864
	.fill 256, 4, 3212836864
	.type	__hip_cuid_e50f4c0bf1520d66,@object ; @__hip_cuid_e50f4c0bf1520d66
	.section	.bss,"aw",@nobits
	.globl	__hip_cuid_e50f4c0bf1520d66
__hip_cuid_e50f4c0bf1520d66:
	.byte	0                               ; 0x0
	.size	__hip_cuid_e50f4c0bf1520d66, 1

	.ident	"AMD clang version 19.0.0git (https://github.com/RadeonOpenCompute/llvm-project roc-6.4.0 25133 c7fe45cf4b819c5991fe208aaa96edf142730f1d)"
	.section	".note.GNU-stack","",@progbits
	.addrsig
	.addrsig_sym __hip_cuid_e50f4c0bf1520d66
	.amdgpu_metadata
---
amdhsa.kernels:
  - .agpr_count:     0
    .args:
      - .address_space:  global
        .offset:         0
        .size:           8
        .value_kind:     global_buffer
      - .address_space:  global
        .offset:         8
        .size:           8
        .value_kind:     global_buffer
      - .address_space:  global
        .offset:         16
        .size:           8
        .value_kind:     global_buffer
      - .offset:         24
        .size:           8
        .value_kind:     by_value
      - .offset:         32
        .size:           8
        .value_kind:     by_value
      - .offset:         40
        .size:           4
        .value_kind:     by_value
    .group_segment_fixed_size: 0
    .kernarg_segment_align: 8
    .kernarg_segment_size: 44
    .language:       OpenCL C
    .language_version:
      - 2
      - 0
    .max_flat_workgroup_size: 1024
    .name:           _ZN2at6native28amp_update_scale_cuda_kernelEPfPiPKfddi
    .private_segment_fixed_size: 0
    .sgpr_count:     20
    .sgpr_spill_count: 0
    .symbol:         _ZN2at6native28amp_update_scale_cuda_kernelEPfPiPKfddi.kd
    .uniform_work_group_size: 1
    .uses_dynamic_stack: false
    .vgpr_count:     2
    .vgpr_spill_count: 0
    .wavefront_size: 64
  - .agpr_count:     0
    .args:
      - .offset:         0
        .size:           4
        .value_kind:     by_value
      - .offset:         8
        .size:           16
        .value_kind:     by_value
      - .offset:         24
        .size:           16
        .value_kind:     by_value
    .group_segment_fixed_size: 0
    .kernarg_segment_align: 8
    .kernarg_segment_size: 40
    .language:       OpenCL C
    .language_version:
      - 2
      - 0
    .max_flat_workgroup_size: 256
    .name:           _ZN2at6native29vectorized_elementwise_kernelILi16EZZZNS0_12_GLOBAL__N_139_amp_non_finite_check_and_unscale_cuda_ERNS_6TensorES4_RKS3_ENKUlvE_clEvENKUlvE_clEvEUldE_St5arrayIPcLm2EEEEviT0_T1_
    .private_segment_fixed_size: 0
    .sgpr_count:     22
    .sgpr_spill_count: 0
    .symbol:         _ZN2at6native29vectorized_elementwise_kernelILi16EZZZNS0_12_GLOBAL__N_139_amp_non_finite_check_and_unscale_cuda_ERNS_6TensorES4_RKS3_ENKUlvE_clEvENKUlvE_clEvEUldE_St5arrayIPcLm2EEEEviT0_T1_.kd
    .uniform_work_group_size: 1
    .uses_dynamic_stack: false
    .vgpr_count:     22
    .vgpr_spill_count: 0
    .wavefront_size: 64
  - .agpr_count:     0
    .args:
      - .offset:         0
        .size:           4
        .value_kind:     by_value
      - .offset:         8
        .size:           16
        .value_kind:     by_value
      - .offset:         24
        .size:           16
        .value_kind:     by_value
    .group_segment_fixed_size: 0
    .kernarg_segment_align: 8
    .kernarg_segment_size: 40
    .language:       OpenCL C
    .language_version:
      - 2
      - 0
    .max_flat_workgroup_size: 256
    .name:           _ZN2at6native29vectorized_elementwise_kernelILi8EZZZNS0_12_GLOBAL__N_139_amp_non_finite_check_and_unscale_cuda_ERNS_6TensorES4_RKS3_ENKUlvE_clEvENKUlvE_clEvEUldE_St5arrayIPcLm2EEEEviT0_T1_
    .private_segment_fixed_size: 0
    .sgpr_count:     22
    .sgpr_spill_count: 0
    .symbol:         _ZN2at6native29vectorized_elementwise_kernelILi8EZZZNS0_12_GLOBAL__N_139_amp_non_finite_check_and_unscale_cuda_ERNS_6TensorES4_RKS3_ENKUlvE_clEvENKUlvE_clEvEUldE_St5arrayIPcLm2EEEEviT0_T1_.kd
    .uniform_work_group_size: 1
    .uses_dynamic_stack: false
    .vgpr_count:     22
    .vgpr_spill_count: 0
    .wavefront_size: 64
  - .agpr_count:     0
    .args:
      - .offset:         0
        .size:           4
        .value_kind:     by_value
      - .offset:         8
        .size:           16
        .value_kind:     by_value
      - .offset:         24
        .size:           16
        .value_kind:     by_value
    .group_segment_fixed_size: 0
    .kernarg_segment_align: 8
    .kernarg_segment_size: 40
    .language:       OpenCL C
    .language_version:
      - 2
      - 0
    .max_flat_workgroup_size: 256
    .name:           _ZN2at6native29vectorized_elementwise_kernelILi4EZZZNS0_12_GLOBAL__N_139_amp_non_finite_check_and_unscale_cuda_ERNS_6TensorES4_RKS3_ENKUlvE_clEvENKUlvE_clEvEUldE_St5arrayIPcLm2EEEEviT0_T1_
    .private_segment_fixed_size: 0
    .sgpr_count:     22
    .sgpr_spill_count: 0
    .symbol:         _ZN2at6native29vectorized_elementwise_kernelILi4EZZZNS0_12_GLOBAL__N_139_amp_non_finite_check_and_unscale_cuda_ERNS_6TensorES4_RKS3_ENKUlvE_clEvENKUlvE_clEvEUldE_St5arrayIPcLm2EEEEviT0_T1_.kd
    .uniform_work_group_size: 1
    .uses_dynamic_stack: false
    .vgpr_count:     22
    .vgpr_spill_count: 0
    .wavefront_size: 64
  - .agpr_count:     0
    .args:
      - .offset:         0
        .size:           4
        .value_kind:     by_value
      - .offset:         8
        .size:           16
        .value_kind:     by_value
      - .offset:         24
        .size:           16
        .value_kind:     by_value
    .group_segment_fixed_size: 0
    .kernarg_segment_align: 8
    .kernarg_segment_size: 40
    .language:       OpenCL C
    .language_version:
      - 2
      - 0
    .max_flat_workgroup_size: 256
    .name:           _ZN2at6native29vectorized_elementwise_kernelILi2EZZZNS0_12_GLOBAL__N_139_amp_non_finite_check_and_unscale_cuda_ERNS_6TensorES4_RKS3_ENKUlvE_clEvENKUlvE_clEvEUldE_St5arrayIPcLm2EEEEviT0_T1_
    .private_segment_fixed_size: 0
    .sgpr_count:     22
    .sgpr_spill_count: 0
    .symbol:         _ZN2at6native29vectorized_elementwise_kernelILi2EZZZNS0_12_GLOBAL__N_139_amp_non_finite_check_and_unscale_cuda_ERNS_6TensorES4_RKS3_ENKUlvE_clEvENKUlvE_clEvEUldE_St5arrayIPcLm2EEEEviT0_T1_.kd
    .uniform_work_group_size: 1
    .uses_dynamic_stack: false
    .vgpr_count:     22
    .vgpr_spill_count: 0
    .wavefront_size: 64
  - .agpr_count:     0
    .args:
      - .offset:         0
        .size:           4
        .value_kind:     by_value
      - .offset:         8
        .size:           16
        .value_kind:     by_value
      - .offset:         24
        .size:           16
        .value_kind:     by_value
      - .offset:         40
        .size:           1
        .value_kind:     by_value
      - .offset:         41
        .size:           1
        .value_kind:     by_value
      - .offset:         42
        .size:           1
        .value_kind:     by_value
      - .offset:         43
        .size:           1
        .value_kind:     by_value
    .group_segment_fixed_size: 0
    .kernarg_segment_align: 8
    .kernarg_segment_size: 44
    .language:       OpenCL C
    .language_version:
      - 2
      - 0
    .max_flat_workgroup_size: 256
    .name:           _ZN2at6native27unrolled_elementwise_kernelIZZZNS0_12_GLOBAL__N_139_amp_non_finite_check_and_unscale_cuda_ERNS_6TensorES4_RKS3_ENKUlvE_clEvENKUlvE_clEvEUldE_St5arrayIPcLm2EELi4E23TrivialOffsetCalculatorILi1EjESE_NS0_6memory15LoadWithoutCastENSF_16StoreWithoutCastEEEviT_T0_T2_T3_T4_T5_
    .private_segment_fixed_size: 0
    .sgpr_count:     20
    .sgpr_spill_count: 0
    .symbol:         _ZN2at6native27unrolled_elementwise_kernelIZZZNS0_12_GLOBAL__N_139_amp_non_finite_check_and_unscale_cuda_ERNS_6TensorES4_RKS3_ENKUlvE_clEvENKUlvE_clEvEUldE_St5arrayIPcLm2EELi4E23TrivialOffsetCalculatorILi1EjESE_NS0_6memory15LoadWithoutCastENSF_16StoreWithoutCastEEEviT_T0_T2_T3_T4_T5_.kd
    .uniform_work_group_size: 1
    .uses_dynamic_stack: false
    .vgpr_count:     20
    .vgpr_spill_count: 0
    .wavefront_size: 64
  - .agpr_count:     0
    .args:
      - .offset:         0
        .size:           4
        .value_kind:     by_value
      - .offset:         8
        .size:           360
        .value_kind:     by_value
    .group_segment_fixed_size: 0
    .kernarg_segment_align: 8
    .kernarg_segment_size: 368
    .language:       OpenCL C
    .language_version:
      - 2
      - 0
    .max_flat_workgroup_size: 128
    .name:           _ZN2at6native32elementwise_kernel_manual_unrollILi128ELi4EZNS0_22gpu_kernel_impl_nocastIZZZNS0_12_GLOBAL__N_139_amp_non_finite_check_and_unscale_cuda_ERNS_6TensorES5_RKS4_ENKUlvE_clEvENKUlvE_clEvEUldE_EEvRNS_18TensorIteratorBaseERKT_EUlibE_EEviT1_
    .private_segment_fixed_size: 0
    .sgpr_count:     68
    .sgpr_spill_count: 0
    .symbol:         _ZN2at6native32elementwise_kernel_manual_unrollILi128ELi4EZNS0_22gpu_kernel_impl_nocastIZZZNS0_12_GLOBAL__N_139_amp_non_finite_check_and_unscale_cuda_ERNS_6TensorES5_RKS4_ENKUlvE_clEvENKUlvE_clEvEUldE_EEvRNS_18TensorIteratorBaseERKT_EUlibE_EEviT1_.kd
    .uniform_work_group_size: 1
    .uses_dynamic_stack: false
    .vgpr_count:     24
    .vgpr_spill_count: 0
    .wavefront_size: 64
  - .agpr_count:     0
    .args:
      - .offset:         0
        .size:           4
        .value_kind:     by_value
      - .offset:         8
        .size:           48
        .value_kind:     by_value
    .group_segment_fixed_size: 0
    .kernarg_segment_align: 8
    .kernarg_segment_size: 56
    .language:       OpenCL C
    .language_version:
      - 2
      - 0
    .max_flat_workgroup_size: 128
    .name:           _ZN2at6native32elementwise_kernel_manual_unrollILi128ELi4EZNS0_15gpu_kernel_implIZZZNS0_12_GLOBAL__N_139_amp_non_finite_check_and_unscale_cuda_ERNS_6TensorES5_RKS4_ENKUlvE_clEvENKUlvE_clEvEUldE_EEvRNS_18TensorIteratorBaseERKT_EUlibE_EEviT1_
    .private_segment_fixed_size: 0
    .sgpr_count:     52
    .sgpr_spill_count: 0
    .symbol:         _ZN2at6native32elementwise_kernel_manual_unrollILi128ELi4EZNS0_15gpu_kernel_implIZZZNS0_12_GLOBAL__N_139_amp_non_finite_check_and_unscale_cuda_ERNS_6TensorES5_RKS4_ENKUlvE_clEvENKUlvE_clEvEUldE_EEvRNS_18TensorIteratorBaseERKT_EUlibE_EEviT1_.kd
    .uniform_work_group_size: 1
    .uses_dynamic_stack: false
    .vgpr_count:     26
    .vgpr_spill_count: 0
    .wavefront_size: 64
  - .agpr_count:     0
    .args:
      - .offset:         0
        .size:           4
        .value_kind:     by_value
      - .offset:         8
        .size:           368
        .value_kind:     by_value
    .group_segment_fixed_size: 0
    .kernarg_segment_align: 8
    .kernarg_segment_size: 376
    .language:       OpenCL C
    .language_version:
      - 2
      - 0
    .max_flat_workgroup_size: 128
    .name:           _ZN2at6native32elementwise_kernel_manual_unrollILi128ELi4EZNS0_15gpu_kernel_implIZZZNS0_12_GLOBAL__N_139_amp_non_finite_check_and_unscale_cuda_ERNS_6TensorES5_RKS4_ENKUlvE_clEvENKUlvE_clEvEUldE_EEvRNS_18TensorIteratorBaseERKT_EUlibE0_EEviT1_
    .private_segment_fixed_size: 0
    .sgpr_count:     85
    .sgpr_spill_count: 0
    .symbol:         _ZN2at6native32elementwise_kernel_manual_unrollILi128ELi4EZNS0_15gpu_kernel_implIZZZNS0_12_GLOBAL__N_139_amp_non_finite_check_and_unscale_cuda_ERNS_6TensorES5_RKS4_ENKUlvE_clEvENKUlvE_clEvEUldE_EEvRNS_18TensorIteratorBaseERKT_EUlibE0_EEviT1_.kd
    .uniform_work_group_size: 1
    .uses_dynamic_stack: false
    .vgpr_count:     30
    .vgpr_spill_count: 0
    .wavefront_size: 64
  - .agpr_count:     0
    .args:
      - .offset:         0
        .size:           4
        .value_kind:     by_value
      - .offset:         8
        .size:           16
        .value_kind:     by_value
      - .offset:         24
        .size:           16
        .value_kind:     by_value
    .group_segment_fixed_size: 0
    .kernarg_segment_align: 8
    .kernarg_segment_size: 40
    .language:       OpenCL C
    .language_version:
      - 2
      - 0
    .max_flat_workgroup_size: 256
    .name:           _ZN2at6native29vectorized_elementwise_kernelILi16EZZZNS0_12_GLOBAL__N_139_amp_non_finite_check_and_unscale_cuda_ERNS_6TensorES4_RKS3_ENKUlvE_clEvENKUlvE0_clEvEUlfE_St5arrayIPcLm2EEEEviT0_T1_
    .private_segment_fixed_size: 0
    .sgpr_count:     22
    .sgpr_spill_count: 0
    .symbol:         _ZN2at6native29vectorized_elementwise_kernelILi16EZZZNS0_12_GLOBAL__N_139_amp_non_finite_check_and_unscale_cuda_ERNS_6TensorES4_RKS3_ENKUlvE_clEvENKUlvE0_clEvEUlfE_St5arrayIPcLm2EEEEviT0_T1_.kd
    .uniform_work_group_size: 1
    .uses_dynamic_stack: false
    .vgpr_count:     14
    .vgpr_spill_count: 0
    .wavefront_size: 64
  - .agpr_count:     0
    .args:
      - .offset:         0
        .size:           4
        .value_kind:     by_value
      - .offset:         8
        .size:           16
        .value_kind:     by_value
      - .offset:         24
        .size:           16
        .value_kind:     by_value
    .group_segment_fixed_size: 0
    .kernarg_segment_align: 8
    .kernarg_segment_size: 40
    .language:       OpenCL C
    .language_version:
      - 2
      - 0
    .max_flat_workgroup_size: 256
    .name:           _ZN2at6native29vectorized_elementwise_kernelILi8EZZZNS0_12_GLOBAL__N_139_amp_non_finite_check_and_unscale_cuda_ERNS_6TensorES4_RKS3_ENKUlvE_clEvENKUlvE0_clEvEUlfE_St5arrayIPcLm2EEEEviT0_T1_
    .private_segment_fixed_size: 0
    .sgpr_count:     22
    .sgpr_spill_count: 0
    .symbol:         _ZN2at6native29vectorized_elementwise_kernelILi8EZZZNS0_12_GLOBAL__N_139_amp_non_finite_check_and_unscale_cuda_ERNS_6TensorES4_RKS3_ENKUlvE_clEvENKUlvE0_clEvEUlfE_St5arrayIPcLm2EEEEviT0_T1_.kd
    .uniform_work_group_size: 1
    .uses_dynamic_stack: false
    .vgpr_count:     14
    .vgpr_spill_count: 0
    .wavefront_size: 64
  - .agpr_count:     0
    .args:
      - .offset:         0
        .size:           4
        .value_kind:     by_value
      - .offset:         8
        .size:           16
        .value_kind:     by_value
      - .offset:         24
        .size:           16
        .value_kind:     by_value
    .group_segment_fixed_size: 0
    .kernarg_segment_align: 8
    .kernarg_segment_size: 40
    .language:       OpenCL C
    .language_version:
      - 2
      - 0
    .max_flat_workgroup_size: 256
    .name:           _ZN2at6native29vectorized_elementwise_kernelILi4EZZZNS0_12_GLOBAL__N_139_amp_non_finite_check_and_unscale_cuda_ERNS_6TensorES4_RKS3_ENKUlvE_clEvENKUlvE0_clEvEUlfE_St5arrayIPcLm2EEEEviT0_T1_
    .private_segment_fixed_size: 0
    .sgpr_count:     22
    .sgpr_spill_count: 0
    .symbol:         _ZN2at6native29vectorized_elementwise_kernelILi4EZZZNS0_12_GLOBAL__N_139_amp_non_finite_check_and_unscale_cuda_ERNS_6TensorES4_RKS3_ENKUlvE_clEvENKUlvE0_clEvEUlfE_St5arrayIPcLm2EEEEviT0_T1_.kd
    .uniform_work_group_size: 1
    .uses_dynamic_stack: false
    .vgpr_count:     14
    .vgpr_spill_count: 0
    .wavefront_size: 64
  - .agpr_count:     0
    .args:
      - .offset:         0
        .size:           4
        .value_kind:     by_value
      - .offset:         8
        .size:           16
        .value_kind:     by_value
      - .offset:         24
        .size:           16
        .value_kind:     by_value
    .group_segment_fixed_size: 0
    .kernarg_segment_align: 8
    .kernarg_segment_size: 40
    .language:       OpenCL C
    .language_version:
      - 2
      - 0
    .max_flat_workgroup_size: 256
    .name:           _ZN2at6native29vectorized_elementwise_kernelILi2EZZZNS0_12_GLOBAL__N_139_amp_non_finite_check_and_unscale_cuda_ERNS_6TensorES4_RKS3_ENKUlvE_clEvENKUlvE0_clEvEUlfE_St5arrayIPcLm2EEEEviT0_T1_
    .private_segment_fixed_size: 0
    .sgpr_count:     22
    .sgpr_spill_count: 0
    .symbol:         _ZN2at6native29vectorized_elementwise_kernelILi2EZZZNS0_12_GLOBAL__N_139_amp_non_finite_check_and_unscale_cuda_ERNS_6TensorES4_RKS3_ENKUlvE_clEvENKUlvE0_clEvEUlfE_St5arrayIPcLm2EEEEviT0_T1_.kd
    .uniform_work_group_size: 1
    .uses_dynamic_stack: false
    .vgpr_count:     14
    .vgpr_spill_count: 0
    .wavefront_size: 64
  - .agpr_count:     0
    .args:
      - .offset:         0
        .size:           4
        .value_kind:     by_value
      - .offset:         8
        .size:           16
        .value_kind:     by_value
      - .offset:         24
        .size:           16
        .value_kind:     by_value
      - .offset:         40
        .size:           1
        .value_kind:     by_value
      - .offset:         41
        .size:           1
        .value_kind:     by_value
      - .offset:         42
        .size:           1
        .value_kind:     by_value
      - .offset:         43
        .size:           1
        .value_kind:     by_value
    .group_segment_fixed_size: 0
    .kernarg_segment_align: 8
    .kernarg_segment_size: 44
    .language:       OpenCL C
    .language_version:
      - 2
      - 0
    .max_flat_workgroup_size: 256
    .name:           _ZN2at6native27unrolled_elementwise_kernelIZZZNS0_12_GLOBAL__N_139_amp_non_finite_check_and_unscale_cuda_ERNS_6TensorES4_RKS3_ENKUlvE_clEvENKUlvE0_clEvEUlfE_St5arrayIPcLm2EELi4E23TrivialOffsetCalculatorILi1EjESE_NS0_6memory15LoadWithoutCastENSF_16StoreWithoutCastEEEviT_T0_T2_T3_T4_T5_
    .private_segment_fixed_size: 0
    .sgpr_count:     20
    .sgpr_spill_count: 0
    .symbol:         _ZN2at6native27unrolled_elementwise_kernelIZZZNS0_12_GLOBAL__N_139_amp_non_finite_check_and_unscale_cuda_ERNS_6TensorES4_RKS3_ENKUlvE_clEvENKUlvE0_clEvEUlfE_St5arrayIPcLm2EELi4E23TrivialOffsetCalculatorILi1EjESE_NS0_6memory15LoadWithoutCastENSF_16StoreWithoutCastEEEviT_T0_T2_T3_T4_T5_.kd
    .uniform_work_group_size: 1
    .uses_dynamic_stack: false
    .vgpr_count:     11
    .vgpr_spill_count: 0
    .wavefront_size: 64
  - .agpr_count:     0
    .args:
      - .offset:         0
        .size:           4
        .value_kind:     by_value
      - .offset:         8
        .size:           360
        .value_kind:     by_value
    .group_segment_fixed_size: 0
    .kernarg_segment_align: 8
    .kernarg_segment_size: 368
    .language:       OpenCL C
    .language_version:
      - 2
      - 0
    .max_flat_workgroup_size: 128
    .name:           _ZN2at6native32elementwise_kernel_manual_unrollILi128ELi4EZNS0_22gpu_kernel_impl_nocastIZZZNS0_12_GLOBAL__N_139_amp_non_finite_check_and_unscale_cuda_ERNS_6TensorES5_RKS4_ENKUlvE_clEvENKUlvE0_clEvEUlfE_EEvRNS_18TensorIteratorBaseERKT_EUlibE_EEviT1_
    .private_segment_fixed_size: 0
    .sgpr_count:     68
    .sgpr_spill_count: 0
    .symbol:         _ZN2at6native32elementwise_kernel_manual_unrollILi128ELi4EZNS0_22gpu_kernel_impl_nocastIZZZNS0_12_GLOBAL__N_139_amp_non_finite_check_and_unscale_cuda_ERNS_6TensorES5_RKS4_ENKUlvE_clEvENKUlvE0_clEvEUlfE_EEvRNS_18TensorIteratorBaseERKT_EUlibE_EEviT1_.kd
    .uniform_work_group_size: 1
    .uses_dynamic_stack: false
    .vgpr_count:     18
    .vgpr_spill_count: 0
    .wavefront_size: 64
  - .agpr_count:     0
    .args:
      - .offset:         0
        .size:           4
        .value_kind:     by_value
      - .offset:         8
        .size:           48
        .value_kind:     by_value
    .group_segment_fixed_size: 0
    .kernarg_segment_align: 8
    .kernarg_segment_size: 56
    .language:       OpenCL C
    .language_version:
      - 2
      - 0
    .max_flat_workgroup_size: 128
    .name:           _ZN2at6native32elementwise_kernel_manual_unrollILi128ELi4EZNS0_15gpu_kernel_implIZZZNS0_12_GLOBAL__N_139_amp_non_finite_check_and_unscale_cuda_ERNS_6TensorES5_RKS4_ENKUlvE_clEvENKUlvE0_clEvEUlfE_EEvRNS_18TensorIteratorBaseERKT_EUlibE_EEviT1_
    .private_segment_fixed_size: 0
    .sgpr_count:     51
    .sgpr_spill_count: 0
    .symbol:         _ZN2at6native32elementwise_kernel_manual_unrollILi128ELi4EZNS0_15gpu_kernel_implIZZZNS0_12_GLOBAL__N_139_amp_non_finite_check_and_unscale_cuda_ERNS_6TensorES5_RKS4_ENKUlvE_clEvENKUlvE0_clEvEUlfE_EEvRNS_18TensorIteratorBaseERKT_EUlibE_EEviT1_.kd
    .uniform_work_group_size: 1
    .uses_dynamic_stack: false
    .vgpr_count:     16
    .vgpr_spill_count: 0
    .wavefront_size: 64
  - .agpr_count:     0
    .args:
      - .offset:         0
        .size:           4
        .value_kind:     by_value
      - .offset:         8
        .size:           368
        .value_kind:     by_value
    .group_segment_fixed_size: 0
    .kernarg_segment_align: 8
    .kernarg_segment_size: 376
    .language:       OpenCL C
    .language_version:
      - 2
      - 0
    .max_flat_workgroup_size: 128
    .name:           _ZN2at6native32elementwise_kernel_manual_unrollILi128ELi4EZNS0_15gpu_kernel_implIZZZNS0_12_GLOBAL__N_139_amp_non_finite_check_and_unscale_cuda_ERNS_6TensorES5_RKS4_ENKUlvE_clEvENKUlvE0_clEvEUlfE_EEvRNS_18TensorIteratorBaseERKT_EUlibE0_EEviT1_
    .private_segment_fixed_size: 0
    .sgpr_count:     85
    .sgpr_spill_count: 0
    .symbol:         _ZN2at6native32elementwise_kernel_manual_unrollILi128ELi4EZNS0_15gpu_kernel_implIZZZNS0_12_GLOBAL__N_139_amp_non_finite_check_and_unscale_cuda_ERNS_6TensorES5_RKS4_ENKUlvE_clEvENKUlvE0_clEvEUlfE_EEvRNS_18TensorIteratorBaseERKT_EUlibE0_EEviT1_.kd
    .uniform_work_group_size: 1
    .uses_dynamic_stack: false
    .vgpr_count:     20
    .vgpr_spill_count: 0
    .wavefront_size: 64
  - .agpr_count:     0
    .args:
      - .offset:         0
        .size:           4
        .value_kind:     by_value
      - .offset:         8
        .size:           16
        .value_kind:     by_value
      - .offset:         24
        .size:           16
        .value_kind:     by_value
    .group_segment_fixed_size: 0
    .kernarg_segment_align: 8
    .kernarg_segment_size: 40
    .language:       OpenCL C
    .language_version:
      - 2
      - 0
    .max_flat_workgroup_size: 256
    .name:           _ZN2at6native29vectorized_elementwise_kernelILi16EZZZNS0_12_GLOBAL__N_139_amp_non_finite_check_and_unscale_cuda_ERNS_6TensorES4_RKS3_ENKUlvE_clEvENKUlvE1_clEvEUlN3c104HalfEE_St5arrayIPcLm2EEEEviT0_T1_
    .private_segment_fixed_size: 0
    .sgpr_count:     22
    .sgpr_spill_count: 0
    .symbol:         _ZN2at6native29vectorized_elementwise_kernelILi16EZZZNS0_12_GLOBAL__N_139_amp_non_finite_check_and_unscale_cuda_ERNS_6TensorES4_RKS3_ENKUlvE_clEvENKUlvE1_clEvEUlN3c104HalfEE_St5arrayIPcLm2EEEEviT0_T1_.kd
    .uniform_work_group_size: 1
    .uses_dynamic_stack: false
    .vgpr_count:     27
    .vgpr_spill_count: 0
    .wavefront_size: 64
  - .agpr_count:     0
    .args:
      - .offset:         0
        .size:           4
        .value_kind:     by_value
      - .offset:         8
        .size:           16
        .value_kind:     by_value
      - .offset:         24
        .size:           16
        .value_kind:     by_value
    .group_segment_fixed_size: 0
    .kernarg_segment_align: 8
    .kernarg_segment_size: 40
    .language:       OpenCL C
    .language_version:
      - 2
      - 0
    .max_flat_workgroup_size: 256
    .name:           _ZN2at6native29vectorized_elementwise_kernelILi8EZZZNS0_12_GLOBAL__N_139_amp_non_finite_check_and_unscale_cuda_ERNS_6TensorES4_RKS3_ENKUlvE_clEvENKUlvE1_clEvEUlN3c104HalfEE_St5arrayIPcLm2EEEEviT0_T1_
    .private_segment_fixed_size: 0
    .sgpr_count:     22
    .sgpr_spill_count: 0
    .symbol:         _ZN2at6native29vectorized_elementwise_kernelILi8EZZZNS0_12_GLOBAL__N_139_amp_non_finite_check_and_unscale_cuda_ERNS_6TensorES4_RKS3_ENKUlvE_clEvENKUlvE1_clEvEUlN3c104HalfEE_St5arrayIPcLm2EEEEviT0_T1_.kd
    .uniform_work_group_size: 1
    .uses_dynamic_stack: false
    .vgpr_count:     27
    .vgpr_spill_count: 0
    .wavefront_size: 64
  - .agpr_count:     0
    .args:
      - .offset:         0
        .size:           4
        .value_kind:     by_value
      - .offset:         8
        .size:           16
        .value_kind:     by_value
      - .offset:         24
        .size:           16
        .value_kind:     by_value
    .group_segment_fixed_size: 0
    .kernarg_segment_align: 8
    .kernarg_segment_size: 40
    .language:       OpenCL C
    .language_version:
      - 2
      - 0
    .max_flat_workgroup_size: 256
    .name:           _ZN2at6native29vectorized_elementwise_kernelILi4EZZZNS0_12_GLOBAL__N_139_amp_non_finite_check_and_unscale_cuda_ERNS_6TensorES4_RKS3_ENKUlvE_clEvENKUlvE1_clEvEUlN3c104HalfEE_St5arrayIPcLm2EEEEviT0_T1_
    .private_segment_fixed_size: 0
    .sgpr_count:     22
    .sgpr_spill_count: 0
    .symbol:         _ZN2at6native29vectorized_elementwise_kernelILi4EZZZNS0_12_GLOBAL__N_139_amp_non_finite_check_and_unscale_cuda_ERNS_6TensorES4_RKS3_ENKUlvE_clEvENKUlvE1_clEvEUlN3c104HalfEE_St5arrayIPcLm2EEEEviT0_T1_.kd
    .uniform_work_group_size: 1
    .uses_dynamic_stack: false
    .vgpr_count:     27
    .vgpr_spill_count: 0
    .wavefront_size: 64
  - .agpr_count:     0
    .args:
      - .offset:         0
        .size:           4
        .value_kind:     by_value
      - .offset:         8
        .size:           16
        .value_kind:     by_value
      - .offset:         24
        .size:           16
        .value_kind:     by_value
    .group_segment_fixed_size: 0
    .kernarg_segment_align: 8
    .kernarg_segment_size: 40
    .language:       OpenCL C
    .language_version:
      - 2
      - 0
    .max_flat_workgroup_size: 256
    .name:           _ZN2at6native29vectorized_elementwise_kernelILi2EZZZNS0_12_GLOBAL__N_139_amp_non_finite_check_and_unscale_cuda_ERNS_6TensorES4_RKS3_ENKUlvE_clEvENKUlvE1_clEvEUlN3c104HalfEE_St5arrayIPcLm2EEEEviT0_T1_
    .private_segment_fixed_size: 0
    .sgpr_count:     22
    .sgpr_spill_count: 0
    .symbol:         _ZN2at6native29vectorized_elementwise_kernelILi2EZZZNS0_12_GLOBAL__N_139_amp_non_finite_check_and_unscale_cuda_ERNS_6TensorES4_RKS3_ENKUlvE_clEvENKUlvE1_clEvEUlN3c104HalfEE_St5arrayIPcLm2EEEEviT0_T1_.kd
    .uniform_work_group_size: 1
    .uses_dynamic_stack: false
    .vgpr_count:     27
    .vgpr_spill_count: 0
    .wavefront_size: 64
  - .agpr_count:     0
    .args:
      - .offset:         0
        .size:           4
        .value_kind:     by_value
      - .offset:         8
        .size:           16
        .value_kind:     by_value
      - .offset:         24
        .size:           16
        .value_kind:     by_value
      - .offset:         40
        .size:           1
        .value_kind:     by_value
      - .offset:         41
        .size:           1
        .value_kind:     by_value
      - .offset:         42
        .size:           1
        .value_kind:     by_value
      - .offset:         43
        .size:           1
        .value_kind:     by_value
    .group_segment_fixed_size: 0
    .kernarg_segment_align: 8
    .kernarg_segment_size: 44
    .language:       OpenCL C
    .language_version:
      - 2
      - 0
    .max_flat_workgroup_size: 256
    .name:           _ZN2at6native27unrolled_elementwise_kernelIZZZNS0_12_GLOBAL__N_139_amp_non_finite_check_and_unscale_cuda_ERNS_6TensorES4_RKS3_ENKUlvE_clEvENKUlvE1_clEvEUlN3c104HalfEE_St5arrayIPcLm2EELi4E23TrivialOffsetCalculatorILi1EjESG_NS0_6memory15LoadWithoutCastENSH_16StoreWithoutCastEEEviT_T0_T2_T3_T4_T5_
    .private_segment_fixed_size: 0
    .sgpr_count:     20
    .sgpr_spill_count: 0
    .symbol:         _ZN2at6native27unrolled_elementwise_kernelIZZZNS0_12_GLOBAL__N_139_amp_non_finite_check_and_unscale_cuda_ERNS_6TensorES4_RKS3_ENKUlvE_clEvENKUlvE1_clEvEUlN3c104HalfEE_St5arrayIPcLm2EELi4E23TrivialOffsetCalculatorILi1EjESG_NS0_6memory15LoadWithoutCastENSH_16StoreWithoutCastEEEviT_T0_T2_T3_T4_T5_.kd
    .uniform_work_group_size: 1
    .uses_dynamic_stack: false
    .vgpr_count:     10
    .vgpr_spill_count: 0
    .wavefront_size: 64
  - .agpr_count:     0
    .args:
      - .offset:         0
        .size:           4
        .value_kind:     by_value
      - .offset:         8
        .size:           360
        .value_kind:     by_value
    .group_segment_fixed_size: 0
    .kernarg_segment_align: 8
    .kernarg_segment_size: 368
    .language:       OpenCL C
    .language_version:
      - 2
      - 0
    .max_flat_workgroup_size: 128
    .name:           _ZN2at6native32elementwise_kernel_manual_unrollILi128ELi8EZNS0_22gpu_kernel_impl_nocastIZZZNS0_12_GLOBAL__N_139_amp_non_finite_check_and_unscale_cuda_ERNS_6TensorES5_RKS4_ENKUlvE_clEvENKUlvE1_clEvEUlN3c104HalfEE_EEvRNS_18TensorIteratorBaseERKT_EUlibE_EEviT1_
    .private_segment_fixed_size: 0
    .sgpr_count:     68
    .sgpr_spill_count: 0
    .symbol:         _ZN2at6native32elementwise_kernel_manual_unrollILi128ELi8EZNS0_22gpu_kernel_impl_nocastIZZZNS0_12_GLOBAL__N_139_amp_non_finite_check_and_unscale_cuda_ERNS_6TensorES5_RKS4_ENKUlvE_clEvENKUlvE1_clEvEUlN3c104HalfEE_EEvRNS_18TensorIteratorBaseERKT_EUlibE_EEviT1_.kd
    .uniform_work_group_size: 1
    .uses_dynamic_stack: false
    .vgpr_count:     34
    .vgpr_spill_count: 0
    .wavefront_size: 64
  - .agpr_count:     0
    .args:
      - .offset:         0
        .size:           4
        .value_kind:     by_value
      - .offset:         8
        .size:           48
        .value_kind:     by_value
    .group_segment_fixed_size: 0
    .kernarg_segment_align: 8
    .kernarg_segment_size: 56
    .language:       OpenCL C
    .language_version:
      - 2
      - 0
    .max_flat_workgroup_size: 128
    .name:           _ZN2at6native32elementwise_kernel_manual_unrollILi128ELi4EZNS0_15gpu_kernel_implIZZZNS0_12_GLOBAL__N_139_amp_non_finite_check_and_unscale_cuda_ERNS_6TensorES5_RKS4_ENKUlvE_clEvENKUlvE1_clEvEUlN3c104HalfEE_EEvRNS_18TensorIteratorBaseERKT_EUlibE_EEviT1_
    .private_segment_fixed_size: 0
    .sgpr_count:     51
    .sgpr_spill_count: 0
    .symbol:         _ZN2at6native32elementwise_kernel_manual_unrollILi128ELi4EZNS0_15gpu_kernel_implIZZZNS0_12_GLOBAL__N_139_amp_non_finite_check_and_unscale_cuda_ERNS_6TensorES5_RKS4_ENKUlvE_clEvENKUlvE1_clEvEUlN3c104HalfEE_EEvRNS_18TensorIteratorBaseERKT_EUlibE_EEviT1_.kd
    .uniform_work_group_size: 1
    .uses_dynamic_stack: false
    .vgpr_count:     20
    .vgpr_spill_count: 0
    .wavefront_size: 64
  - .agpr_count:     0
    .args:
      - .offset:         0
        .size:           4
        .value_kind:     by_value
      - .offset:         8
        .size:           368
        .value_kind:     by_value
    .group_segment_fixed_size: 0
    .kernarg_segment_align: 8
    .kernarg_segment_size: 376
    .language:       OpenCL C
    .language_version:
      - 2
      - 0
    .max_flat_workgroup_size: 128
    .name:           _ZN2at6native32elementwise_kernel_manual_unrollILi128ELi4EZNS0_15gpu_kernel_implIZZZNS0_12_GLOBAL__N_139_amp_non_finite_check_and_unscale_cuda_ERNS_6TensorES5_RKS4_ENKUlvE_clEvENKUlvE1_clEvEUlN3c104HalfEE_EEvRNS_18TensorIteratorBaseERKT_EUlibE0_EEviT1_
    .private_segment_fixed_size: 0
    .sgpr_count:     85
    .sgpr_spill_count: 0
    .symbol:         _ZN2at6native32elementwise_kernel_manual_unrollILi128ELi4EZNS0_15gpu_kernel_implIZZZNS0_12_GLOBAL__N_139_amp_non_finite_check_and_unscale_cuda_ERNS_6TensorES5_RKS4_ENKUlvE_clEvENKUlvE1_clEvEUlN3c104HalfEE_EEvRNS_18TensorIteratorBaseERKT_EUlibE0_EEviT1_.kd
    .uniform_work_group_size: 1
    .uses_dynamic_stack: false
    .vgpr_count:     21
    .vgpr_spill_count: 0
    .wavefront_size: 64
  - .agpr_count:     0
    .args:
      - .offset:         0
        .size:           3368
        .value_kind:     by_value
      - .offset:         3368
        .size:           1
        .value_kind:     by_value
      - .offset:         3376
        .size:           16
        .value_kind:     by_value
      - .offset:         3392
        .size:           4
        .value_kind:     hidden_block_count_x
      - .offset:         3396
        .size:           4
        .value_kind:     hidden_block_count_y
      - .offset:         3400
        .size:           4
        .value_kind:     hidden_block_count_z
      - .offset:         3404
        .size:           2
        .value_kind:     hidden_group_size_x
      - .offset:         3406
        .size:           2
        .value_kind:     hidden_group_size_y
      - .offset:         3408
        .size:           2
        .value_kind:     hidden_group_size_z
      - .offset:         3410
        .size:           2
        .value_kind:     hidden_remainder_x
      - .offset:         3412
        .size:           2
        .value_kind:     hidden_remainder_y
      - .offset:         3414
        .size:           2
        .value_kind:     hidden_remainder_z
      - .offset:         3432
        .size:           8
        .value_kind:     hidden_global_offset_x
      - .offset:         3440
        .size:           8
        .value_kind:     hidden_global_offset_y
      - .offset:         3448
        .size:           8
        .value_kind:     hidden_global_offset_z
      - .offset:         3456
        .size:           2
        .value_kind:     hidden_grid_dims
    .group_segment_fixed_size: 0
    .kernarg_segment_align: 8
    .kernarg_segment_size: 3648
    .language:       OpenCL C
    .language_version:
      - 2
      - 0
    .max_flat_workgroup_size: 512
    .name:           _ZN2at6native12_GLOBAL__N_125multi_tensor_apply_kernelINS1_18TensorListMetadataILi1EEENS1_14UnaryOpFunctorIdLi1ELi1ELi0EEEJZZZNS0_47_amp_foreach_non_finite_check_and_unscale_cuda_EN3c108ArrayRefINS_6TensorEEERS9_RKS9_ENKUlvE_clEvENKUlvE_clEvEUldE_EEEvT_T0_DpT1_
    .private_segment_fixed_size: 0
    .sgpr_count:     39
    .sgpr_spill_count: 0
    .symbol:         _ZN2at6native12_GLOBAL__N_125multi_tensor_apply_kernelINS1_18TensorListMetadataILi1EEENS1_14UnaryOpFunctorIdLi1ELi1ELi0EEEJZZZNS0_47_amp_foreach_non_finite_check_and_unscale_cuda_EN3c108ArrayRefINS_6TensorEEERS9_RKS9_ENKUlvE_clEvENKUlvE_clEvEUldE_EEEvT_T0_DpT1_.kd
    .uniform_work_group_size: 1
    .uses_dynamic_stack: false
    .vgpr_count:     33
    .vgpr_spill_count: 0
    .wavefront_size: 64
  - .agpr_count:     0
    .args:
      - .offset:         0
        .size:           3368
        .value_kind:     by_value
      - .offset:         3368
        .size:           1
        .value_kind:     by_value
      - .offset:         3376
        .size:           16
        .value_kind:     by_value
      - .offset:         3392
        .size:           4
        .value_kind:     hidden_block_count_x
      - .offset:         3396
        .size:           4
        .value_kind:     hidden_block_count_y
      - .offset:         3400
        .size:           4
        .value_kind:     hidden_block_count_z
      - .offset:         3404
        .size:           2
        .value_kind:     hidden_group_size_x
      - .offset:         3406
        .size:           2
        .value_kind:     hidden_group_size_y
      - .offset:         3408
        .size:           2
        .value_kind:     hidden_group_size_z
      - .offset:         3410
        .size:           2
        .value_kind:     hidden_remainder_x
      - .offset:         3412
        .size:           2
        .value_kind:     hidden_remainder_y
      - .offset:         3414
        .size:           2
        .value_kind:     hidden_remainder_z
      - .offset:         3432
        .size:           8
        .value_kind:     hidden_global_offset_x
      - .offset:         3440
        .size:           8
        .value_kind:     hidden_global_offset_y
      - .offset:         3448
        .size:           8
        .value_kind:     hidden_global_offset_z
      - .offset:         3456
        .size:           2
        .value_kind:     hidden_grid_dims
    .group_segment_fixed_size: 0
    .kernarg_segment_align: 8
    .kernarg_segment_size: 3648
    .language:       OpenCL C
    .language_version:
      - 2
      - 0
    .max_flat_workgroup_size: 512
    .name:           _ZN2at6native12_GLOBAL__N_125multi_tensor_apply_kernelINS1_18TensorListMetadataILi1EEENS1_14UnaryOpFunctorIfLi1ELi1ELi0EEEJZZZNS0_47_amp_foreach_non_finite_check_and_unscale_cuda_EN3c108ArrayRefINS_6TensorEEERS9_RKS9_ENKUlvE_clEvENKUlvE0_clEvEUlfE_EEEvT_T0_DpT1_
    .private_segment_fixed_size: 0
    .sgpr_count:     38
    .sgpr_spill_count: 0
    .symbol:         _ZN2at6native12_GLOBAL__N_125multi_tensor_apply_kernelINS1_18TensorListMetadataILi1EEENS1_14UnaryOpFunctorIfLi1ELi1ELi0EEEJZZZNS0_47_amp_foreach_non_finite_check_and_unscale_cuda_EN3c108ArrayRefINS_6TensorEEERS9_RKS9_ENKUlvE_clEvENKUlvE0_clEvEUlfE_EEEvT_T0_DpT1_.kd
    .uniform_work_group_size: 1
    .uses_dynamic_stack: false
    .vgpr_count:     27
    .vgpr_spill_count: 0
    .wavefront_size: 64
  - .agpr_count:     0
    .args:
      - .offset:         0
        .size:           3368
        .value_kind:     by_value
      - .offset:         3368
        .size:           1
        .value_kind:     by_value
      - .offset:         3376
        .size:           16
        .value_kind:     by_value
      - .offset:         3392
        .size:           4
        .value_kind:     hidden_block_count_x
      - .offset:         3396
        .size:           4
        .value_kind:     hidden_block_count_y
      - .offset:         3400
        .size:           4
        .value_kind:     hidden_block_count_z
      - .offset:         3404
        .size:           2
        .value_kind:     hidden_group_size_x
      - .offset:         3406
        .size:           2
        .value_kind:     hidden_group_size_y
      - .offset:         3408
        .size:           2
        .value_kind:     hidden_group_size_z
      - .offset:         3410
        .size:           2
        .value_kind:     hidden_remainder_x
      - .offset:         3412
        .size:           2
        .value_kind:     hidden_remainder_y
      - .offset:         3414
        .size:           2
        .value_kind:     hidden_remainder_z
      - .offset:         3432
        .size:           8
        .value_kind:     hidden_global_offset_x
      - .offset:         3440
        .size:           8
        .value_kind:     hidden_global_offset_y
      - .offset:         3448
        .size:           8
        .value_kind:     hidden_global_offset_z
      - .offset:         3456
        .size:           2
        .value_kind:     hidden_grid_dims
    .group_segment_fixed_size: 0
    .kernarg_segment_align: 8
    .kernarg_segment_size: 3648
    .language:       OpenCL C
    .language_version:
      - 2
      - 0
    .max_flat_workgroup_size: 512
    .name:           _ZN2at6native12_GLOBAL__N_125multi_tensor_apply_kernelINS1_18TensorListMetadataILi1EEENS1_14UnaryOpFunctorIN3c104HalfELi1ELi1ELi0EEEJZZZNS0_47_amp_foreach_non_finite_check_and_unscale_cuda_ENS6_8ArrayRefINS_6TensorEEERSA_RKSA_ENKUlvE_clEvENKUlvE1_clEvEUlfE_EEEvT_T0_DpT1_
    .private_segment_fixed_size: 0
    .sgpr_count:     36
    .sgpr_spill_count: 0
    .symbol:         _ZN2at6native12_GLOBAL__N_125multi_tensor_apply_kernelINS1_18TensorListMetadataILi1EEENS1_14UnaryOpFunctorIN3c104HalfELi1ELi1ELi0EEEJZZZNS0_47_amp_foreach_non_finite_check_and_unscale_cuda_ENS6_8ArrayRefINS_6TensorEEERSA_RKSA_ENKUlvE_clEvENKUlvE1_clEvEUlfE_EEEvT_T0_DpT1_.kd
    .uniform_work_group_size: 1
    .uses_dynamic_stack: false
    .vgpr_count:     28
    .vgpr_spill_count: 0
    .wavefront_size: 64
amdhsa.target:   amdgcn-amd-amdhsa--gfx90a
amdhsa.version:
  - 1
  - 2
...

	.end_amdgpu_metadata
